;; amdgpu-corpus repo=ROCm/rccl kind=compiled arch=gfx1250 opt=O3
	.amdgcn_target "amdgcn-amd-amdhsa--gfx1250"
	.amdhsa_code_object_version 6
	.text
	.p2align	2                               ; -- Begin function __ockl_fprintf_append_string_n
	.type	__ockl_fprintf_append_string_n,@function
__ockl_fprintf_append_string_n:         ; @__ockl_fprintf_append_string_n
; %bb.0:
	s_wait_loadcnt_dscnt 0x0
	s_wait_kmcnt 0x0
	v_or_b32_e32 v2, 2, v0
	v_cmp_eq_u32_e32 vcc_lo, 0, v6
	v_mbcnt_lo_u32_b32 v30, -1, 0
	s_get_pc_i64 s[0:1]
	s_add_nc_u64 s[0:1], s[0:1], .str.3@rel64+4
	s_mov_b32 s6, 0
	s_cmp_lg_u64 s[0:1], 0
	v_cndmask_b32_e32 v3, v2, v0, vcc_lo
	s_cbranch_scc0 .LBB0_113
; %bb.1:
	s_load_b64 s[2:3], s[8:9], 0x50
	s_delay_alu instid0(VALU_DEP_1) | instskip(SKIP_3) | instid1(VALU_DEP_4)
	v_dual_mov_b32 v7, 0 :: v_dual_bitop2_b32 v0, -3, v3 bitop3:0x40
	v_mov_b64_e32 v[8:9], 0x100000002
	v_mov_b64_e32 v[32:33], s[0:1]
	v_and_b32_e32 v2, 2, v3
	v_mov_b64_e32 v[10:11], v[0:1]
	s_mov_b32 s7, 0
	s_branch .LBB0_3
.LBB0_2:                                ;   in Loop: Header=BB0_3 Depth=1
	s_or_b32 exec_lo, exec_lo, s10
	v_sub_nc_u64_e32 v[4:5], v[4:5], v[34:35]
	v_add_nc_u64_e32 v[32:33], v[32:33], v[34:35]
	s_delay_alu instid0(VALU_DEP_2) | instskip(SKIP_1) | instid1(SALU_CYCLE_1)
	v_cmp_eq_u64_e32 vcc_lo, 0, v[4:5]
	s_or_b32 s7, vcc_lo, s7
	s_and_not1_b32 exec_lo, exec_lo, s7
	s_cbranch_execz .LBB0_85
.LBB0_3:                                ; =>This Loop Header: Depth=1
                                        ;     Child Loop BB0_6 Depth 2
                                        ;     Child Loop BB0_14 Depth 2
	;; [unrolled: 1-line block ×11, first 2 shown]
	v_min_u64 v[34:35], v[4:5], 56
	s_delay_alu instid0(VALU_DEP_3)
	v_add_nc_u64_e32 v[16:17], 8, v[32:33]
	s_mov_b32 s0, exec_lo
	v_cmpx_gt_u64_e32 8, v[4:5]
	s_xor_b32 s4, exec_lo, s0
	s_cbranch_execz .LBB0_9
; %bb.4:                                ;   in Loop: Header=BB0_3 Depth=1
	s_wait_loadcnt 0x0
	v_mov_b64_e32 v[12:13], 0
	s_mov_b32 s5, exec_lo
	v_cmpx_ne_u64_e32 0, v[4:5]
	s_cbranch_execz .LBB0_8
; %bb.5:                                ;   in Loop: Header=BB0_3 Depth=1
	v_mov_b64_e32 v[12:13], 0
	v_mov_b64_e32 v[14:15], v[32:33]
	v_lshlrev_b32_e32 v0, 3, v34
	s_mov_b64 s[0:1], 0
	s_mov_b32 s10, 0
.LBB0_6:                                ;   Parent Loop BB0_3 Depth=1
                                        ; =>  This Inner Loop Header: Depth=2
	global_load_u8 v6, v[14:15], off
	v_mov_b32_e32 v17, s6
	s_wait_xcnt 0x0
	v_add_nc_u64_e32 v[14:15], 1, v[14:15]
	s_wait_loadcnt 0x0
	v_and_b32_e32 v16, 0xffff, v6
	s_delay_alu instid0(VALU_DEP_1) | instskip(SKIP_1) | instid1(SALU_CYCLE_1)
	v_lshlrev_b64_e32 v[16:17], s0, v[16:17]
	s_add_nc_u64 s[0:1], s[0:1], 8
	v_cmp_eq_u32_e32 vcc_lo, s0, v0
	s_delay_alu instid0(VALU_DEP_2) | instskip(NEXT) | instid1(VALU_DEP_3)
	v_or_b32_e32 v13, v17, v13
	v_or_b32_e32 v12, v16, v12
	s_or_b32 s10, vcc_lo, s10
	s_delay_alu instid0(SALU_CYCLE_1)
	s_and_not1_b32 exec_lo, exec_lo, s10
	s_cbranch_execnz .LBB0_6
; %bb.7:                                ;   in Loop: Header=BB0_3 Depth=1
	s_or_b32 exec_lo, exec_lo, s10
.LBB0_8:                                ;   in Loop: Header=BB0_3 Depth=1
	s_delay_alu instid0(SALU_CYCLE_1)
	s_or_b32 exec_lo, exec_lo, s5
	v_mov_b64_e32 v[16:17], v[32:33]
.LBB0_9:                                ;   in Loop: Header=BB0_3 Depth=1
	s_or_saveexec_b32 s0, s4
	v_mov_b32_e32 v0, 0
	s_xor_b32 exec_lo, exec_lo, s0
	s_cbranch_execz .LBB0_11
; %bb.10:                               ;   in Loop: Header=BB0_3 Depth=1
	s_wait_loadcnt 0x0
	global_load_b64 v[12:13], v[32:33], off
	v_add_nc_u32_e32 v0, -8, v34
.LBB0_11:                               ;   in Loop: Header=BB0_3 Depth=1
	s_wait_xcnt 0x0
	s_or_b32 exec_lo, exec_lo, s0
	v_add_nc_u64_e32 v[18:19], 8, v[16:17]
                                        ; implicit-def: $vgpr14_vgpr15
	s_mov_b32 s0, exec_lo
	v_cmpx_gt_u32_e32 8, v0
	s_xor_b32 s10, exec_lo, s0
	s_cbranch_execz .LBB0_17
; %bb.12:                               ;   in Loop: Header=BB0_3 Depth=1
	v_mov_b64_e32 v[14:15], 0
	s_mov_b32 s11, exec_lo
	v_cmpx_ne_u32_e32 0, v0
	s_cbranch_execz .LBB0_16
; %bb.13:                               ;   in Loop: Header=BB0_3 Depth=1
	v_mov_b64_e32 v[14:15], 0
	s_mov_b64 s[0:1], 0
	s_mov_b32 s12, 0
	s_mov_b64 s[4:5], 0
.LBB0_14:                               ;   Parent Loop BB0_3 Depth=1
                                        ; =>  This Inner Loop Header: Depth=2
	s_delay_alu instid0(SALU_CYCLE_1) | instskip(SKIP_1) | instid1(SALU_CYCLE_1)
	v_add_nc_u64_e32 v[18:19], s[4:5], v[16:17]
	s_add_nc_u64 s[4:5], s[4:5], 1
	v_cmp_eq_u32_e32 vcc_lo, s4, v0
	global_load_u8 v6, v[18:19], off
	s_wait_xcnt 0x0
	v_mov_b32_e32 v19, s6
	s_or_b32 s12, vcc_lo, s12
	s_wait_loadcnt 0x0
	v_and_b32_e32 v18, 0xffff, v6
	s_delay_alu instid0(VALU_DEP_1) | instskip(SKIP_1) | instid1(VALU_DEP_1)
	v_lshlrev_b64_e32 v[18:19], s0, v[18:19]
	s_add_nc_u64 s[0:1], s[0:1], 8
	v_or_b32_e32 v15, v19, v15
	s_delay_alu instid0(VALU_DEP_2)
	v_or_b32_e32 v14, v18, v14
	s_and_not1_b32 exec_lo, exec_lo, s12
	s_cbranch_execnz .LBB0_14
; %bb.15:                               ;   in Loop: Header=BB0_3 Depth=1
	s_or_b32 exec_lo, exec_lo, s12
.LBB0_16:                               ;   in Loop: Header=BB0_3 Depth=1
	s_delay_alu instid0(SALU_CYCLE_1)
	s_or_b32 exec_lo, exec_lo, s11
	v_mov_b64_e32 v[18:19], v[16:17]
                                        ; implicit-def: $vgpr0
.LBB0_17:                               ;   in Loop: Header=BB0_3 Depth=1
	s_or_saveexec_b32 s0, s10
	v_mov_b32_e32 v6, 0
	s_xor_b32 exec_lo, exec_lo, s0
	s_cbranch_execz .LBB0_19
; %bb.18:                               ;   in Loop: Header=BB0_3 Depth=1
	global_load_b64 v[14:15], v[16:17], off
	v_add_nc_u32_e32 v6, -8, v0
.LBB0_19:                               ;   in Loop: Header=BB0_3 Depth=1
	s_wait_xcnt 0x0
	s_or_b32 exec_lo, exec_lo, s0
	v_add_nc_u64_e32 v[20:21], 8, v[18:19]
	s_mov_b32 s0, exec_lo
	v_cmpx_gt_u32_e32 8, v6
	s_xor_b32 s10, exec_lo, s0
	s_cbranch_execz .LBB0_25
; %bb.20:                               ;   in Loop: Header=BB0_3 Depth=1
	v_mov_b64_e32 v[16:17], 0
	s_mov_b32 s11, exec_lo
	v_cmpx_ne_u32_e32 0, v6
	s_cbranch_execz .LBB0_24
; %bb.21:                               ;   in Loop: Header=BB0_3 Depth=1
	v_mov_b64_e32 v[16:17], 0
	s_mov_b64 s[0:1], 0
	s_mov_b32 s12, 0
	s_mov_b64 s[4:5], 0
.LBB0_22:                               ;   Parent Loop BB0_3 Depth=1
                                        ; =>  This Inner Loop Header: Depth=2
	s_delay_alu instid0(SALU_CYCLE_1) | instskip(SKIP_1) | instid1(SALU_CYCLE_1)
	v_add_nc_u64_e32 v[20:21], s[4:5], v[18:19]
	s_add_nc_u64 s[4:5], s[4:5], 1
	v_cmp_eq_u32_e32 vcc_lo, s4, v6
	global_load_u8 v0, v[20:21], off
	s_wait_xcnt 0x0
	v_mov_b32_e32 v21, s6
	s_or_b32 s12, vcc_lo, s12
	s_wait_loadcnt 0x0
	v_and_b32_e32 v20, 0xffff, v0
	s_delay_alu instid0(VALU_DEP_1) | instskip(SKIP_1) | instid1(VALU_DEP_1)
	v_lshlrev_b64_e32 v[20:21], s0, v[20:21]
	s_add_nc_u64 s[0:1], s[0:1], 8
	v_or_b32_e32 v17, v21, v17
	s_delay_alu instid0(VALU_DEP_2)
	v_or_b32_e32 v16, v20, v16
	s_and_not1_b32 exec_lo, exec_lo, s12
	s_cbranch_execnz .LBB0_22
; %bb.23:                               ;   in Loop: Header=BB0_3 Depth=1
	s_or_b32 exec_lo, exec_lo, s12
.LBB0_24:                               ;   in Loop: Header=BB0_3 Depth=1
	s_delay_alu instid0(SALU_CYCLE_1)
	s_or_b32 exec_lo, exec_lo, s11
	v_mov_b64_e32 v[20:21], v[18:19]
                                        ; implicit-def: $vgpr6
.LBB0_25:                               ;   in Loop: Header=BB0_3 Depth=1
	s_or_saveexec_b32 s0, s10
	v_mov_b32_e32 v0, 0
	s_xor_b32 exec_lo, exec_lo, s0
	s_cbranch_execz .LBB0_27
; %bb.26:                               ;   in Loop: Header=BB0_3 Depth=1
	global_load_b64 v[16:17], v[18:19], off
	v_add_nc_u32_e32 v0, -8, v6
.LBB0_27:                               ;   in Loop: Header=BB0_3 Depth=1
	s_wait_xcnt 0x0
	s_or_b32 exec_lo, exec_lo, s0
	v_add_nc_u64_e32 v[22:23], 8, v[20:21]
                                        ; implicit-def: $vgpr18_vgpr19
	s_mov_b32 s0, exec_lo
	v_cmpx_gt_u32_e32 8, v0
	s_xor_b32 s10, exec_lo, s0
	s_cbranch_execz .LBB0_33
; %bb.28:                               ;   in Loop: Header=BB0_3 Depth=1
	v_mov_b64_e32 v[18:19], 0
	s_mov_b32 s11, exec_lo
	v_cmpx_ne_u32_e32 0, v0
	s_cbranch_execz .LBB0_32
; %bb.29:                               ;   in Loop: Header=BB0_3 Depth=1
	v_mov_b64_e32 v[18:19], 0
	s_mov_b64 s[0:1], 0
	s_mov_b32 s12, 0
	s_mov_b64 s[4:5], 0
.LBB0_30:                               ;   Parent Loop BB0_3 Depth=1
                                        ; =>  This Inner Loop Header: Depth=2
	s_delay_alu instid0(SALU_CYCLE_1) | instskip(SKIP_1) | instid1(SALU_CYCLE_1)
	v_add_nc_u64_e32 v[22:23], s[4:5], v[20:21]
	s_add_nc_u64 s[4:5], s[4:5], 1
	v_cmp_eq_u32_e32 vcc_lo, s4, v0
	global_load_u8 v6, v[22:23], off
	s_wait_xcnt 0x0
	v_mov_b32_e32 v23, s6
	s_or_b32 s12, vcc_lo, s12
	s_wait_loadcnt 0x0
	v_and_b32_e32 v22, 0xffff, v6
	s_delay_alu instid0(VALU_DEP_1) | instskip(SKIP_1) | instid1(VALU_DEP_1)
	v_lshlrev_b64_e32 v[22:23], s0, v[22:23]
	s_add_nc_u64 s[0:1], s[0:1], 8
	v_or_b32_e32 v19, v23, v19
	s_delay_alu instid0(VALU_DEP_2)
	v_or_b32_e32 v18, v22, v18
	s_and_not1_b32 exec_lo, exec_lo, s12
	s_cbranch_execnz .LBB0_30
; %bb.31:                               ;   in Loop: Header=BB0_3 Depth=1
	s_or_b32 exec_lo, exec_lo, s12
.LBB0_32:                               ;   in Loop: Header=BB0_3 Depth=1
	s_delay_alu instid0(SALU_CYCLE_1)
	s_or_b32 exec_lo, exec_lo, s11
	v_mov_b64_e32 v[22:23], v[20:21]
                                        ; implicit-def: $vgpr0
.LBB0_33:                               ;   in Loop: Header=BB0_3 Depth=1
	s_or_saveexec_b32 s0, s10
	v_mov_b32_e32 v6, 0
	s_xor_b32 exec_lo, exec_lo, s0
	s_cbranch_execz .LBB0_35
; %bb.34:                               ;   in Loop: Header=BB0_3 Depth=1
	global_load_b64 v[18:19], v[20:21], off
	v_add_nc_u32_e32 v6, -8, v0
.LBB0_35:                               ;   in Loop: Header=BB0_3 Depth=1
	s_wait_xcnt 0x0
	s_or_b32 exec_lo, exec_lo, s0
	v_add_nc_u64_e32 v[24:25], 8, v[22:23]
	s_mov_b32 s0, exec_lo
	v_cmpx_gt_u32_e32 8, v6
	s_xor_b32 s10, exec_lo, s0
	s_cbranch_execz .LBB0_41
; %bb.36:                               ;   in Loop: Header=BB0_3 Depth=1
	v_mov_b64_e32 v[20:21], 0
	s_mov_b32 s11, exec_lo
	v_cmpx_ne_u32_e32 0, v6
	s_cbranch_execz .LBB0_40
; %bb.37:                               ;   in Loop: Header=BB0_3 Depth=1
	v_mov_b64_e32 v[20:21], 0
	s_mov_b64 s[0:1], 0
	s_mov_b32 s12, 0
	s_mov_b64 s[4:5], 0
.LBB0_38:                               ;   Parent Loop BB0_3 Depth=1
                                        ; =>  This Inner Loop Header: Depth=2
	s_delay_alu instid0(SALU_CYCLE_1) | instskip(SKIP_1) | instid1(SALU_CYCLE_1)
	v_add_nc_u64_e32 v[24:25], s[4:5], v[22:23]
	s_add_nc_u64 s[4:5], s[4:5], 1
	v_cmp_eq_u32_e32 vcc_lo, s4, v6
	global_load_u8 v0, v[24:25], off
	s_wait_xcnt 0x0
	v_mov_b32_e32 v25, s6
	s_or_b32 s12, vcc_lo, s12
	s_wait_loadcnt 0x0
	v_and_b32_e32 v24, 0xffff, v0
	s_delay_alu instid0(VALU_DEP_1) | instskip(SKIP_1) | instid1(VALU_DEP_1)
	v_lshlrev_b64_e32 v[24:25], s0, v[24:25]
	s_add_nc_u64 s[0:1], s[0:1], 8
	v_or_b32_e32 v21, v25, v21
	s_delay_alu instid0(VALU_DEP_2)
	v_or_b32_e32 v20, v24, v20
	s_and_not1_b32 exec_lo, exec_lo, s12
	s_cbranch_execnz .LBB0_38
; %bb.39:                               ;   in Loop: Header=BB0_3 Depth=1
	s_or_b32 exec_lo, exec_lo, s12
.LBB0_40:                               ;   in Loop: Header=BB0_3 Depth=1
	s_delay_alu instid0(SALU_CYCLE_1)
	s_or_b32 exec_lo, exec_lo, s11
	v_mov_b64_e32 v[24:25], v[22:23]
                                        ; implicit-def: $vgpr6
.LBB0_41:                               ;   in Loop: Header=BB0_3 Depth=1
	s_or_saveexec_b32 s0, s10
	v_mov_b32_e32 v0, 0
	s_xor_b32 exec_lo, exec_lo, s0
	s_cbranch_execz .LBB0_43
; %bb.42:                               ;   in Loop: Header=BB0_3 Depth=1
	global_load_b64 v[20:21], v[22:23], off
	v_add_nc_u32_e32 v0, -8, v6
.LBB0_43:                               ;   in Loop: Header=BB0_3 Depth=1
	s_wait_xcnt 0x0
	s_or_b32 exec_lo, exec_lo, s0
	v_add_nc_u64_e32 v[26:27], 8, v[24:25]
                                        ; implicit-def: $vgpr22_vgpr23
	s_mov_b32 s0, exec_lo
	v_cmpx_gt_u32_e32 8, v0
	s_xor_b32 s10, exec_lo, s0
	s_cbranch_execz .LBB0_49
; %bb.44:                               ;   in Loop: Header=BB0_3 Depth=1
	v_mov_b64_e32 v[22:23], 0
	s_mov_b32 s11, exec_lo
	v_cmpx_ne_u32_e32 0, v0
	s_cbranch_execz .LBB0_48
; %bb.45:                               ;   in Loop: Header=BB0_3 Depth=1
	v_mov_b64_e32 v[22:23], 0
	s_mov_b64 s[0:1], 0
	s_mov_b32 s12, 0
	s_mov_b64 s[4:5], 0
.LBB0_46:                               ;   Parent Loop BB0_3 Depth=1
                                        ; =>  This Inner Loop Header: Depth=2
	s_delay_alu instid0(SALU_CYCLE_1) | instskip(SKIP_1) | instid1(SALU_CYCLE_1)
	v_add_nc_u64_e32 v[26:27], s[4:5], v[24:25]
	s_add_nc_u64 s[4:5], s[4:5], 1
	v_cmp_eq_u32_e32 vcc_lo, s4, v0
	global_load_u8 v6, v[26:27], off
	s_wait_xcnt 0x0
	v_mov_b32_e32 v27, s6
	s_or_b32 s12, vcc_lo, s12
	s_wait_loadcnt 0x0
	v_and_b32_e32 v26, 0xffff, v6
	s_delay_alu instid0(VALU_DEP_1) | instskip(SKIP_1) | instid1(VALU_DEP_1)
	v_lshlrev_b64_e32 v[26:27], s0, v[26:27]
	s_add_nc_u64 s[0:1], s[0:1], 8
	v_or_b32_e32 v23, v27, v23
	s_delay_alu instid0(VALU_DEP_2)
	v_or_b32_e32 v22, v26, v22
	s_and_not1_b32 exec_lo, exec_lo, s12
	s_cbranch_execnz .LBB0_46
; %bb.47:                               ;   in Loop: Header=BB0_3 Depth=1
	s_or_b32 exec_lo, exec_lo, s12
.LBB0_48:                               ;   in Loop: Header=BB0_3 Depth=1
	s_delay_alu instid0(SALU_CYCLE_1)
	s_or_b32 exec_lo, exec_lo, s11
	v_mov_b64_e32 v[26:27], v[24:25]
                                        ; implicit-def: $vgpr0
.LBB0_49:                               ;   in Loop: Header=BB0_3 Depth=1
	s_or_saveexec_b32 s0, s10
	v_mov_b32_e32 v6, 0
	s_xor_b32 exec_lo, exec_lo, s0
	s_cbranch_execz .LBB0_51
; %bb.50:                               ;   in Loop: Header=BB0_3 Depth=1
	global_load_b64 v[22:23], v[24:25], off
	v_add_nc_u32_e32 v6, -8, v0
.LBB0_51:                               ;   in Loop: Header=BB0_3 Depth=1
	s_wait_xcnt 0x0
	s_or_b32 exec_lo, exec_lo, s0
	s_delay_alu instid0(SALU_CYCLE_1) | instskip(NEXT) | instid1(VALU_DEP_1)
	s_mov_b32 s0, exec_lo
	v_cmpx_gt_u32_e32 8, v6
	s_xor_b32 s4, exec_lo, s0
	s_cbranch_execz .LBB0_57
; %bb.52:                               ;   in Loop: Header=BB0_3 Depth=1
	v_mov_b64_e32 v[24:25], 0
	s_mov_b32 s5, exec_lo
	v_cmpx_ne_u32_e32 0, v6
	s_cbranch_execz .LBB0_56
; %bb.53:                               ;   in Loop: Header=BB0_3 Depth=1
	v_mov_b64_e32 v[24:25], 0
	s_mov_b64 s[0:1], 0
	s_mov_b32 s10, 0
.LBB0_54:                               ;   Parent Loop BB0_3 Depth=1
                                        ; =>  This Inner Loop Header: Depth=2
	global_load_u8 v0, v[26:27], off
	v_dual_mov_b32 v29, s6 :: v_dual_add_nc_u32 v6, -1, v6
	s_wait_xcnt 0x0
	v_add_nc_u64_e32 v[26:27], 1, v[26:27]
	s_delay_alu instid0(VALU_DEP_2) | instskip(SKIP_3) | instid1(VALU_DEP_1)
	v_cmp_eq_u32_e32 vcc_lo, 0, v6
	s_or_b32 s10, vcc_lo, s10
	s_wait_loadcnt 0x0
	v_and_b32_e32 v28, 0xffff, v0
	v_lshlrev_b64_e32 v[28:29], s0, v[28:29]
	s_add_nc_u64 s[0:1], s[0:1], 8
	s_delay_alu instid0(VALU_DEP_1) | instskip(NEXT) | instid1(VALU_DEP_2)
	v_or_b32_e32 v25, v29, v25
	v_or_b32_e32 v24, v28, v24
	s_and_not1_b32 exec_lo, exec_lo, s10
	s_cbranch_execnz .LBB0_54
; %bb.55:                               ;   in Loop: Header=BB0_3 Depth=1
	s_or_b32 exec_lo, exec_lo, s10
.LBB0_56:                               ;   in Loop: Header=BB0_3 Depth=1
	s_delay_alu instid0(SALU_CYCLE_1)
	s_or_b32 exec_lo, exec_lo, s5
                                        ; implicit-def: $vgpr26_vgpr27
.LBB0_57:                               ;   in Loop: Header=BB0_3 Depth=1
	s_and_not1_saveexec_b32 s0, s4
	s_cbranch_execz .LBB0_59
; %bb.58:                               ;   in Loop: Header=BB0_3 Depth=1
	global_load_b64 v[24:25], v[26:27], off
.LBB0_59:                               ;   in Loop: Header=BB0_3 Depth=1
	s_wait_xcnt 0x0
	s_or_b32 exec_lo, exec_lo, s0
	v_readfirstlane_b32 s0, v30
	v_mov_b64_e32 v[36:37], 0
	s_delay_alu instid0(VALU_DEP_2)
	v_cmp_eq_u32_e64 s0, s0, v30
	s_and_saveexec_b32 s1, s0
	s_cbranch_execz .LBB0_65
; %bb.60:                               ;   in Loop: Header=BB0_3 Depth=1
	s_wait_kmcnt 0x0
	global_load_b64 v[28:29], v7, s[2:3] offset:24 scope:SCOPE_SYS
	s_wait_loadcnt 0x0
	global_inv scope:SCOPE_SYS
	s_clause 0x1
	global_load_b64 v[26:27], v7, s[2:3] offset:40
	global_load_b64 v[36:37], v7, s[2:3]
	s_mov_b32 s4, exec_lo
	s_wait_loadcnt 0x1
	v_and_b32_e32 v26, v26, v28
	v_and_b32_e32 v27, v27, v29
	s_delay_alu instid0(VALU_DEP_1) | instskip(SKIP_1) | instid1(VALU_DEP_1)
	v_mul_u64_e32 v[26:27], 24, v[26:27]
	s_wait_loadcnt 0x0
	v_add_nc_u64_e32 v[26:27], v[36:37], v[26:27]
	global_load_b64 v[26:27], v[26:27], off scope:SCOPE_SYS
	s_wait_xcnt 0x0
	s_wait_loadcnt 0x0
	global_atomic_cmpswap_b64 v[36:37], v7, v[26:29], s[2:3] offset:24 th:TH_ATOMIC_RETURN scope:SCOPE_SYS
	s_wait_loadcnt 0x0
	global_inv scope:SCOPE_SYS
	s_wait_xcnt 0x0
	v_cmpx_ne_u64_e64 v[36:37], v[28:29]
	s_cbranch_execz .LBB0_64
; %bb.61:                               ;   in Loop: Header=BB0_3 Depth=1
	s_mov_b32 s5, 0
.LBB0_62:                               ;   Parent Loop BB0_3 Depth=1
                                        ; =>  This Inner Loop Header: Depth=2
	s_sleep 1
	s_clause 0x1
	global_load_b64 v[26:27], v7, s[2:3] offset:40
	global_load_b64 v[38:39], v7, s[2:3]
	v_mov_b64_e32 v[28:29], v[36:37]
	s_wait_loadcnt 0x1
	s_delay_alu instid0(VALU_DEP_1) | instskip(SKIP_1) | instid1(VALU_DEP_1)
	v_and_b32_e32 v0, v26, v28
	s_wait_loadcnt 0x0
	v_mad_nc_u64_u32 v[36:37], v0, 24, v[38:39]
	s_delay_alu instid0(VALU_DEP_3) | instskip(NEXT) | instid1(VALU_DEP_1)
	v_and_b32_e32 v0, v27, v29
	v_mad_u32 v37, v0, 24, v37
	global_load_b64 v[26:27], v[36:37], off scope:SCOPE_SYS
	s_wait_xcnt 0x0
	s_wait_loadcnt 0x0
	global_atomic_cmpswap_b64 v[36:37], v7, v[26:29], s[2:3] offset:24 th:TH_ATOMIC_RETURN scope:SCOPE_SYS
	s_wait_loadcnt 0x0
	global_inv scope:SCOPE_SYS
	v_cmp_eq_u64_e32 vcc_lo, v[36:37], v[28:29]
	s_or_b32 s5, vcc_lo, s5
	s_wait_xcnt 0x0
	s_and_not1_b32 exec_lo, exec_lo, s5
	s_cbranch_execnz .LBB0_62
; %bb.63:                               ;   in Loop: Header=BB0_3 Depth=1
	s_or_b32 exec_lo, exec_lo, s5
.LBB0_64:                               ;   in Loop: Header=BB0_3 Depth=1
	s_delay_alu instid0(SALU_CYCLE_1)
	s_or_b32 exec_lo, exec_lo, s4
.LBB0_65:                               ;   in Loop: Header=BB0_3 Depth=1
	s_delay_alu instid0(SALU_CYCLE_1)
	s_or_b32 exec_lo, exec_lo, s1
	s_wait_kmcnt 0x0
	s_clause 0x1
	global_load_b64 v[38:39], v7, s[2:3] offset:40
	global_load_b128 v[26:29], v7, s[2:3]
	v_readfirstlane_b32 s4, v36
	v_readfirstlane_b32 s5, v37
	s_mov_b32 s1, exec_lo
	s_wait_loadcnt 0x1
	v_and_b32_e32 v38, s4, v38
	v_and_b32_e32 v39, s5, v39
	s_delay_alu instid0(VALU_DEP_1) | instskip(SKIP_1) | instid1(VALU_DEP_1)
	v_mul_u64_e32 v[36:37], 24, v[38:39]
	s_wait_loadcnt 0x0
	v_add_nc_u64_e32 v[36:37], v[26:27], v[36:37]
	s_wait_xcnt 0x0
	s_and_saveexec_b32 s10, s0
	s_cbranch_execz .LBB0_67
; %bb.66:                               ;   in Loop: Header=BB0_3 Depth=1
	v_mov_b32_e32 v6, s1
	global_store_b128 v[36:37], v[6:9], off offset:8
.LBB0_67:                               ;   in Loop: Header=BB0_3 Depth=1
	s_wait_xcnt 0x0
	s_or_b32 exec_lo, exec_lo, s10
	v_cmp_gt_u64_e32 vcc_lo, 57, v[4:5]
	v_lshlrev_b64_e32 v[38:39], 12, v[38:39]
	v_and_b32_e32 v6, 0xffffff1f, v10
	v_lshl_add_u32 v10, v34, 2, 28
	v_cndmask_b32_e32 v0, 0, v2, vcc_lo
	s_delay_alu instid0(VALU_DEP_4) | instskip(NEXT) | instid1(VALU_DEP_2)
	v_add_nc_u64_e32 v[28:29], v[28:29], v[38:39]
	v_dual_lshlrev_b32 v6, 6, v30 :: v_dual_bitop2_b32 v0, v6, v0 bitop3:0x54
	s_delay_alu instid0(VALU_DEP_2) | instskip(NEXT) | instid1(VALU_DEP_3)
	v_readfirstlane_b32 s10, v28
	v_readfirstlane_b32 s11, v29
	s_delay_alu instid0(VALU_DEP_3)
	v_and_or_b32 v10, 0x1e0, v10, v0
	s_clause 0x3
	global_store_b128 v6, v[10:13], s[10:11]
	global_store_b128 v6, v[14:17], s[10:11] offset:16
	global_store_b128 v6, v[18:21], s[10:11] offset:32
	;; [unrolled: 1-line block ×3, first 2 shown]
	s_wait_xcnt 0x0
	s_and_saveexec_b32 s1, s0
	s_cbranch_execz .LBB0_75
; %bb.68:                               ;   in Loop: Header=BB0_3 Depth=1
	s_clause 0x1
	global_load_b64 v[18:19], v7, s[2:3] offset:32 scope:SCOPE_SYS
	global_load_b64 v[10:11], v7, s[2:3] offset:40
	s_mov_b32 s10, exec_lo
	v_dual_mov_b32 v16, s4 :: v_dual_mov_b32 v17, s5
	s_wait_loadcnt 0x0
	v_and_b32_e32 v11, s5, v11
	v_and_b32_e32 v10, s4, v10
	s_delay_alu instid0(VALU_DEP_1) | instskip(NEXT) | instid1(VALU_DEP_1)
	v_mul_u64_e32 v[10:11], 24, v[10:11]
	v_add_nc_u64_e32 v[14:15], v[26:27], v[10:11]
	global_store_b64 v[14:15], v[18:19], off
	global_wb scope:SCOPE_SYS
	s_wait_storecnt 0x0
	s_wait_xcnt 0x0
	global_atomic_cmpswap_b64 v[12:13], v7, v[16:19], s[2:3] offset:32 th:TH_ATOMIC_RETURN scope:SCOPE_SYS
	s_wait_loadcnt 0x0
	v_cmpx_ne_u64_e64 v[12:13], v[18:19]
	s_cbranch_execz .LBB0_71
; %bb.69:                               ;   in Loop: Header=BB0_3 Depth=1
	s_mov_b32 s11, 0
.LBB0_70:                               ;   Parent Loop BB0_3 Depth=1
                                        ; =>  This Inner Loop Header: Depth=2
	v_dual_mov_b32 v10, s4 :: v_dual_mov_b32 v11, s5
	s_sleep 1
	global_store_b64 v[14:15], v[12:13], off
	global_wb scope:SCOPE_SYS
	s_wait_storecnt 0x0
	s_wait_xcnt 0x0
	global_atomic_cmpswap_b64 v[10:11], v7, v[10:13], s[2:3] offset:32 th:TH_ATOMIC_RETURN scope:SCOPE_SYS
	s_wait_loadcnt 0x0
	v_cmp_eq_u64_e32 vcc_lo, v[10:11], v[12:13]
	v_mov_b64_e32 v[12:13], v[10:11]
	s_or_b32 s11, vcc_lo, s11
	s_delay_alu instid0(SALU_CYCLE_1)
	s_and_not1_b32 exec_lo, exec_lo, s11
	s_cbranch_execnz .LBB0_70
.LBB0_71:                               ;   in Loop: Header=BB0_3 Depth=1
	s_or_b32 exec_lo, exec_lo, s10
	global_load_b64 v[10:11], v7, s[2:3] offset:16
	s_mov_b32 s11, exec_lo
	s_mov_b32 s10, exec_lo
	v_mbcnt_lo_u32_b32 v0, s11, 0
	s_wait_xcnt 0x0
	s_delay_alu instid0(VALU_DEP_1)
	v_cmpx_eq_u32_e32 0, v0
	s_cbranch_execz .LBB0_73
; %bb.72:                               ;   in Loop: Header=BB0_3 Depth=1
	s_bcnt1_i32_b32 s11, s11
	s_delay_alu instid0(SALU_CYCLE_1)
	v_dual_mov_b32 v13, v7 :: v_dual_mov_b32 v12, s11
	global_wb scope:SCOPE_SYS
	s_wait_loadcnt 0x0
	s_wait_storecnt 0x0
	global_atomic_add_u64 v[10:11], v[12:13], off offset:8 scope:SCOPE_SYS
.LBB0_73:                               ;   in Loop: Header=BB0_3 Depth=1
	s_wait_xcnt 0x0
	s_or_b32 exec_lo, exec_lo, s10
	s_wait_loadcnt 0x0
	global_load_b64 v[12:13], v[10:11], off offset:16
	s_wait_loadcnt 0x0
	v_cmp_eq_u64_e32 vcc_lo, 0, v[12:13]
	s_cbranch_vccnz .LBB0_75
; %bb.74:                               ;   in Loop: Header=BB0_3 Depth=1
	global_load_b32 v10, v[10:11], off offset:24
	s_wait_xcnt 0x0
	v_mov_b32_e32 v11, v7
	s_wait_loadcnt 0x0
	v_readfirstlane_b32 s10, v10
	global_wb scope:SCOPE_SYS
	s_wait_storecnt 0x0
	global_store_b64 v[12:13], v[10:11], off scope:SCOPE_SYS
	s_and_b32 m0, s10, 0xffffff
	s_sendmsg sendmsg(MSG_INTERRUPT)
.LBB0_75:                               ;   in Loop: Header=BB0_3 Depth=1
	s_wait_xcnt 0x0
	s_or_b32 exec_lo, exec_lo, s1
	v_add_nc_u64_e32 v[10:11], v[28:29], v[6:7]
	s_branch .LBB0_79
.LBB0_76:                               ;   in Loop: Header=BB0_79 Depth=2
	s_wait_xcnt 0x0
	s_or_b32 exec_lo, exec_lo, s1
	s_delay_alu instid0(VALU_DEP_1)
	v_readfirstlane_b32 s1, v0
	s_cmp_eq_u32 s1, 0
	s_cbranch_scc1 .LBB0_78
; %bb.77:                               ;   in Loop: Header=BB0_79 Depth=2
	s_sleep 1
	s_cbranch_execnz .LBB0_79
	s_branch .LBB0_81
.LBB0_78:                               ;   in Loop: Header=BB0_3 Depth=1
	s_branch .LBB0_81
.LBB0_79:                               ;   Parent Loop BB0_3 Depth=1
                                        ; =>  This Inner Loop Header: Depth=2
	v_mov_b32_e32 v0, 1
	s_and_saveexec_b32 s1, s0
	s_cbranch_execz .LBB0_76
; %bb.80:                               ;   in Loop: Header=BB0_79 Depth=2
	global_load_b32 v0, v[36:37], off offset:20 scope:SCOPE_SYS
	s_wait_loadcnt 0x0
	global_inv scope:SCOPE_SYS
	v_and_b32_e32 v0, 1, v0
	s_branch .LBB0_76
.LBB0_81:                               ;   in Loop: Header=BB0_3 Depth=1
	global_load_b128 v[10:13], v[10:11], off
	s_wait_xcnt 0x0
	s_and_saveexec_b32 s10, s0
	s_cbranch_execz .LBB0_2
; %bb.82:                               ;   in Loop: Header=BB0_3 Depth=1
	s_wait_loadcnt 0x0
	s_clause 0x2
	global_load_b64 v[12:13], v7, s[2:3] offset:40
	global_load_b64 v[20:21], v7, s[2:3] offset:24 scope:SCOPE_SYS
	global_load_b64 v[14:15], v7, s[2:3]
	s_wait_loadcnt 0x2
	v_readfirstlane_b32 s12, v12
	v_readfirstlane_b32 s13, v13
	s_add_nc_u64 s[0:1], s[12:13], 1
	s_delay_alu instid0(SALU_CYCLE_1) | instskip(NEXT) | instid1(SALU_CYCLE_1)
	s_add_nc_u64 s[4:5], s[0:1], s[4:5]
	s_cmp_eq_u64 s[4:5], 0
	s_cselect_b32 s1, s1, s5
	s_cselect_b32 s0, s0, s4
	s_delay_alu instid0(SALU_CYCLE_1) | instskip(SKIP_1) | instid1(SALU_CYCLE_1)
	v_dual_mov_b32 v19, s1 :: v_dual_mov_b32 v18, s0
	s_and_b64 s[4:5], s[0:1], s[12:13]
	s_mul_u64 s[4:5], s[4:5], 24
	s_wait_loadcnt 0x0
	v_add_nc_u64_e32 v[16:17], s[4:5], v[14:15]
	global_store_b64 v[16:17], v[20:21], off
	global_wb scope:SCOPE_SYS
	s_wait_storecnt 0x0
	s_wait_xcnt 0x0
	global_atomic_cmpswap_b64 v[14:15], v7, v[18:21], s[2:3] offset:24 th:TH_ATOMIC_RETURN scope:SCOPE_SYS
	s_wait_loadcnt 0x0
	v_cmp_ne_u64_e32 vcc_lo, v[14:15], v[20:21]
	s_and_b32 exec_lo, exec_lo, vcc_lo
	s_cbranch_execz .LBB0_2
; %bb.83:                               ;   in Loop: Header=BB0_3 Depth=1
	s_mov_b32 s4, 0
.LBB0_84:                               ;   Parent Loop BB0_3 Depth=1
                                        ; =>  This Inner Loop Header: Depth=2
	v_dual_mov_b32 v12, s0 :: v_dual_mov_b32 v13, s1
	s_sleep 1
	global_store_b64 v[16:17], v[14:15], off
	global_wb scope:SCOPE_SYS
	s_wait_storecnt 0x0
	s_wait_xcnt 0x0
	global_atomic_cmpswap_b64 v[12:13], v7, v[12:15], s[2:3] offset:24 th:TH_ATOMIC_RETURN scope:SCOPE_SYS
	s_wait_loadcnt 0x0
	v_cmp_eq_u64_e32 vcc_lo, v[12:13], v[14:15]
	v_mov_b64_e32 v[14:15], v[12:13]
	s_or_b32 s4, vcc_lo, s4
	s_delay_alu instid0(SALU_CYCLE_1)
	s_and_not1_b32 exec_lo, exec_lo, s4
	s_cbranch_execnz .LBB0_84
	s_branch .LBB0_2
.LBB0_85:
	s_or_b32 exec_lo, exec_lo, s7
	s_branch .LBB0_114
.LBB0_86:
	s_load_b64 s[2:3], s[8:9], 0x50
	v_readfirstlane_b32 s0, v30
	v_mov_b64_e32 v[8:9], 0
	s_delay_alu instid0(VALU_DEP_2)
	v_cmp_eq_u32_e64 s0, s0, v30
	s_and_saveexec_b32 s1, s0
	s_cbranch_execz .LBB0_92
; %bb.87:
	v_mov_b32_e32 v0, 0
	s_mov_b32 s4, exec_lo
	s_wait_kmcnt 0x0
	global_load_b64 v[6:7], v0, s[2:3] offset:24 scope:SCOPE_SYS
	s_wait_loadcnt 0x0
	global_inv scope:SCOPE_SYS
	s_clause 0x1
	global_load_b64 v[4:5], v0, s[2:3] offset:40
	global_load_b64 v[8:9], v0, s[2:3]
	s_wait_loadcnt 0x1
	v_and_b32_e32 v4, v4, v6
	v_and_b32_e32 v5, v5, v7
	s_delay_alu instid0(VALU_DEP_1) | instskip(SKIP_1) | instid1(VALU_DEP_1)
	v_mul_u64_e32 v[4:5], 24, v[4:5]
	s_wait_loadcnt 0x0
	v_add_nc_u64_e32 v[4:5], v[8:9], v[4:5]
	global_load_b64 v[4:5], v[4:5], off scope:SCOPE_SYS
	s_wait_xcnt 0x0
	s_wait_loadcnt 0x0
	global_atomic_cmpswap_b64 v[8:9], v0, v[4:7], s[2:3] offset:24 th:TH_ATOMIC_RETURN scope:SCOPE_SYS
	s_wait_loadcnt 0x0
	global_inv scope:SCOPE_SYS
	s_wait_xcnt 0x0
	v_cmpx_ne_u64_e64 v[8:9], v[6:7]
	s_cbranch_execz .LBB0_91
; %bb.88:
	s_mov_b32 s5, 0
.LBB0_89:                               ; =>This Inner Loop Header: Depth=1
	s_sleep 1
	s_clause 0x1
	global_load_b64 v[4:5], v0, s[2:3] offset:40
	global_load_b64 v[10:11], v0, s[2:3]
	v_mov_b64_e32 v[6:7], v[8:9]
	s_wait_loadcnt 0x1
	s_delay_alu instid0(VALU_DEP_1) | instskip(SKIP_1) | instid1(VALU_DEP_1)
	v_and_b32_e32 v2, v4, v6
	s_wait_loadcnt 0x0
	v_mad_nc_u64_u32 v[8:9], v2, 24, v[10:11]
	s_delay_alu instid0(VALU_DEP_3) | instskip(NEXT) | instid1(VALU_DEP_1)
	v_and_b32_e32 v2, v5, v7
	v_mad_u32 v9, v2, 24, v9
	global_load_b64 v[4:5], v[8:9], off scope:SCOPE_SYS
	s_wait_xcnt 0x0
	s_wait_loadcnt 0x0
	global_atomic_cmpswap_b64 v[8:9], v0, v[4:7], s[2:3] offset:24 th:TH_ATOMIC_RETURN scope:SCOPE_SYS
	s_wait_loadcnt 0x0
	global_inv scope:SCOPE_SYS
	v_cmp_eq_u64_e32 vcc_lo, v[8:9], v[6:7]
	s_or_b32 s5, vcc_lo, s5
	s_wait_xcnt 0x0
	s_and_not1_b32 exec_lo, exec_lo, s5
	s_cbranch_execnz .LBB0_89
; %bb.90:
	s_or_b32 exec_lo, exec_lo, s5
.LBB0_91:
	s_delay_alu instid0(SALU_CYCLE_1)
	s_or_b32 exec_lo, exec_lo, s4
.LBB0_92:
	s_delay_alu instid0(SALU_CYCLE_1)
	s_or_b32 exec_lo, exec_lo, s1
	v_readfirstlane_b32 s4, v8
	v_mov_b32_e32 v2, 0
	v_readfirstlane_b32 s5, v9
	s_mov_b32 s1, exec_lo
	s_wait_loadcnt 0x0
	s_wait_kmcnt 0x0
	s_clause 0x1
	global_load_b64 v[10:11], v2, s[2:3] offset:40
	global_load_b128 v[4:7], v2, s[2:3]
	s_wait_loadcnt 0x1
	v_and_b32_e32 v10, s4, v10
	v_and_b32_e32 v11, s5, v11
	s_delay_alu instid0(VALU_DEP_1) | instskip(SKIP_1) | instid1(VALU_DEP_1)
	v_mul_u64_e32 v[8:9], 24, v[10:11]
	s_wait_loadcnt 0x0
	v_add_nc_u64_e32 v[8:9], v[4:5], v[8:9]
	s_wait_xcnt 0x0
	s_and_saveexec_b32 s6, s0
	s_cbranch_execz .LBB0_94
; %bb.93:
	v_mov_b64_e32 v[14:15], 0x100000002
	v_dual_mov_b32 v12, s1 :: v_dual_mov_b32 v13, v2
	global_store_b128 v[8:9], v[12:15], off offset:8
.LBB0_94:
	s_wait_xcnt 0x0
	s_or_b32 exec_lo, exec_lo, s6
	v_lshlrev_b64_e32 v[10:11], 12, v[10:11]
	s_mov_b32 s8, 0
	v_and_or_b32 v0, 0xffffff1f, v3, 32
	s_mov_b32 s10, s8
	s_mov_b32 s11, s8
	;; [unrolled: 1-line block ×3, first 2 shown]
	v_dual_mov_b32 v3, v2 :: v_dual_lshlrev_b32 v14, 6, v30
	v_add_nc_u64_e32 v[6:7], v[6:7], v[10:11]
	v_mov_b64_e32 v[12:13], s[10:11]
	v_mov_b64_e32 v[10:11], s[8:9]
	s_delay_alu instid0(VALU_DEP_3) | instskip(NEXT) | instid1(VALU_DEP_4)
	v_readfirstlane_b32 s6, v6
	v_readfirstlane_b32 s7, v7
	s_clause 0x3
	global_store_b128 v14, v[0:3], s[6:7]
	global_store_b128 v14, v[10:13], s[6:7] offset:16
	global_store_b128 v14, v[10:13], s[6:7] offset:32
	;; [unrolled: 1-line block ×3, first 2 shown]
	s_wait_xcnt 0x0
	s_and_saveexec_b32 s1, s0
	s_cbranch_execz .LBB0_102
; %bb.95:
	v_dual_mov_b32 v6, 0 :: v_dual_mov_b32 v11, s5
	s_mov_b32 s6, exec_lo
	s_clause 0x1
	global_load_b64 v[12:13], v6, s[2:3] offset:32 scope:SCOPE_SYS
	global_load_b64 v[0:1], v6, s[2:3] offset:40
	s_wait_loadcnt 0x0
	v_dual_mov_b32 v10, s4 :: v_dual_bitop2_b32 v1, s5, v1 bitop3:0x40
	v_and_b32_e32 v0, s4, v0
	s_delay_alu instid0(VALU_DEP_1) | instskip(NEXT) | instid1(VALU_DEP_1)
	v_mul_u64_e32 v[0:1], 24, v[0:1]
	v_add_nc_u64_e32 v[4:5], v[4:5], v[0:1]
	global_store_b64 v[4:5], v[12:13], off
	global_wb scope:SCOPE_SYS
	s_wait_storecnt 0x0
	s_wait_xcnt 0x0
	global_atomic_cmpswap_b64 v[2:3], v6, v[10:13], s[2:3] offset:32 th:TH_ATOMIC_RETURN scope:SCOPE_SYS
	s_wait_loadcnt 0x0
	v_cmpx_ne_u64_e64 v[2:3], v[12:13]
	s_cbranch_execz .LBB0_98
; %bb.96:
	s_mov_b32 s7, 0
.LBB0_97:                               ; =>This Inner Loop Header: Depth=1
	v_dual_mov_b32 v0, s4 :: v_dual_mov_b32 v1, s5
	s_sleep 1
	global_store_b64 v[4:5], v[2:3], off
	global_wb scope:SCOPE_SYS
	s_wait_storecnt 0x0
	s_wait_xcnt 0x0
	global_atomic_cmpswap_b64 v[0:1], v6, v[0:3], s[2:3] offset:32 th:TH_ATOMIC_RETURN scope:SCOPE_SYS
	s_wait_loadcnt 0x0
	v_cmp_eq_u64_e32 vcc_lo, v[0:1], v[2:3]
	v_mov_b64_e32 v[2:3], v[0:1]
	s_or_b32 s7, vcc_lo, s7
	s_delay_alu instid0(SALU_CYCLE_1)
	s_and_not1_b32 exec_lo, exec_lo, s7
	s_cbranch_execnz .LBB0_97
.LBB0_98:
	s_or_b32 exec_lo, exec_lo, s6
	v_mov_b32_e32 v3, 0
	s_mov_b32 s7, exec_lo
	s_mov_b32 s6, exec_lo
	v_mbcnt_lo_u32_b32 v2, s7, 0
	global_load_b64 v[0:1], v3, s[2:3] offset:16
	s_wait_xcnt 0x0
	v_cmpx_eq_u32_e32 0, v2
	s_cbranch_execz .LBB0_100
; %bb.99:
	s_bcnt1_i32_b32 s7, s7
	s_delay_alu instid0(SALU_CYCLE_1)
	v_mov_b32_e32 v2, s7
	global_wb scope:SCOPE_SYS
	s_wait_loadcnt 0x0
	s_wait_storecnt 0x0
	global_atomic_add_u64 v[0:1], v[2:3], off offset:8 scope:SCOPE_SYS
.LBB0_100:
	s_wait_xcnt 0x0
	s_or_b32 exec_lo, exec_lo, s6
	s_wait_loadcnt 0x0
	global_load_b64 v[2:3], v[0:1], off offset:16
	s_wait_loadcnt 0x0
	v_cmp_eq_u64_e32 vcc_lo, 0, v[2:3]
	s_cbranch_vccnz .LBB0_102
; %bb.101:
	global_load_b32 v0, v[0:1], off offset:24
	s_wait_xcnt 0x0
	v_mov_b32_e32 v1, 0
	s_wait_loadcnt 0x0
	v_readfirstlane_b32 s6, v0
	global_wb scope:SCOPE_SYS
	s_wait_storecnt 0x0
	global_store_b64 v[2:3], v[0:1], off scope:SCOPE_SYS
	s_and_b32 m0, s6, 0xffffff
	s_sendmsg sendmsg(MSG_INTERRUPT)
.LBB0_102:
	s_wait_xcnt 0x0
	s_or_b32 exec_lo, exec_lo, s1
	s_branch .LBB0_106
.LBB0_103:                              ;   in Loop: Header=BB0_106 Depth=1
	s_wait_xcnt 0x0
	s_or_b32 exec_lo, exec_lo, s1
	s_delay_alu instid0(VALU_DEP_1)
	v_readfirstlane_b32 s1, v0
	s_cmp_eq_u32 s1, 0
	s_cbranch_scc1 .LBB0_105
; %bb.104:                              ;   in Loop: Header=BB0_106 Depth=1
	s_sleep 1
	s_cbranch_execnz .LBB0_106
	s_branch .LBB0_108
.LBB0_105:
	s_branch .LBB0_108
.LBB0_106:                              ; =>This Inner Loop Header: Depth=1
	v_mov_b32_e32 v0, 1
	s_and_saveexec_b32 s1, s0
	s_cbranch_execz .LBB0_103
; %bb.107:                              ;   in Loop: Header=BB0_106 Depth=1
	global_load_b32 v0, v[8:9], off offset:20 scope:SCOPE_SYS
	s_wait_loadcnt 0x0
	global_inv scope:SCOPE_SYS
	v_and_b32_e32 v0, 1, v0
	s_branch .LBB0_103
.LBB0_108:
	s_and_saveexec_b32 s6, s0
	s_cbranch_execz .LBB0_112
; %bb.109:
	v_mov_b32_e32 v6, 0
	s_clause 0x2
	global_load_b64 v[0:1], v6, s[2:3] offset:40
	global_load_b64 v[10:11], v6, s[2:3] offset:24 scope:SCOPE_SYS
	global_load_b64 v[2:3], v6, s[2:3]
	s_wait_loadcnt 0x2
	v_readfirstlane_b32 s8, v0
	v_readfirstlane_b32 s9, v1
	s_add_nc_u64 s[0:1], s[8:9], 1
	s_delay_alu instid0(SALU_CYCLE_1) | instskip(NEXT) | instid1(SALU_CYCLE_1)
	s_add_nc_u64 s[4:5], s[0:1], s[4:5]
	s_cmp_eq_u64 s[4:5], 0
	s_cselect_b32 s1, s1, s5
	s_cselect_b32 s0, s0, s4
	v_mov_b32_e32 v9, s1
	s_and_b64 s[4:5], s[0:1], s[8:9]
	v_mov_b32_e32 v8, s0
	s_mul_u64 s[4:5], s[4:5], 24
	s_wait_loadcnt 0x0
	v_add_nc_u64_e32 v[4:5], s[4:5], v[2:3]
	global_store_b64 v[4:5], v[10:11], off
	global_wb scope:SCOPE_SYS
	s_wait_storecnt 0x0
	s_wait_xcnt 0x0
	global_atomic_cmpswap_b64 v[2:3], v6, v[8:11], s[2:3] offset:24 th:TH_ATOMIC_RETURN scope:SCOPE_SYS
	s_wait_loadcnt 0x0
	v_cmp_ne_u64_e32 vcc_lo, v[2:3], v[10:11]
	s_and_b32 exec_lo, exec_lo, vcc_lo
	s_cbranch_execz .LBB0_112
; %bb.110:
	s_mov_b32 s4, 0
.LBB0_111:                              ; =>This Inner Loop Header: Depth=1
	v_dual_mov_b32 v0, s0 :: v_dual_mov_b32 v1, s1
	s_sleep 1
	global_store_b64 v[4:5], v[2:3], off
	global_wb scope:SCOPE_SYS
	s_wait_storecnt 0x0
	s_wait_xcnt 0x0
	global_atomic_cmpswap_b64 v[0:1], v6, v[0:3], s[2:3] offset:24 th:TH_ATOMIC_RETURN scope:SCOPE_SYS
	s_wait_loadcnt 0x0
	v_cmp_eq_u64_e32 vcc_lo, v[0:1], v[2:3]
	v_mov_b64_e32 v[2:3], v[0:1]
	s_or_b32 s4, vcc_lo, s4
	s_delay_alu instid0(SALU_CYCLE_1)
	s_and_not1_b32 exec_lo, exec_lo, s4
	s_cbranch_execnz .LBB0_111
.LBB0_112:
	s_or_b32 exec_lo, exec_lo, s6
	s_wait_loadcnt 0x0
	s_wait_kmcnt 0x0
	s_set_pc_i64 s[30:31]
.LBB0_113:
	s_cbranch_execnz .LBB0_86
.LBB0_114:
	s_wait_loadcnt 0x0
	s_wait_kmcnt 0x0
	s_set_pc_i64 s[30:31]
.Lfunc_end0:
	.size	__ockl_fprintf_append_string_n, .Lfunc_end0-__ockl_fprintf_append_string_n
                                        ; -- End function
	.set .L__ockl_fprintf_append_string_n.num_vgpr, 40
	.set .L__ockl_fprintf_append_string_n.num_agpr, 0
	.set .L__ockl_fprintf_append_string_n.numbered_sgpr, 32
	.set .L__ockl_fprintf_append_string_n.num_named_barrier, 0
	.set .L__ockl_fprintf_append_string_n.private_seg_size, 0
	.set .L__ockl_fprintf_append_string_n.uses_vcc, 1
	.set .L__ockl_fprintf_append_string_n.uses_flat_scratch, 0
	.set .L__ockl_fprintf_append_string_n.has_dyn_sized_stack, 0
	.set .L__ockl_fprintf_append_string_n.has_recursion, 0
	.set .L__ockl_fprintf_append_string_n.has_indirect_call, 0
	.section	.AMDGPU.csdata,"",@progbits
; Function info:
; codeLenInByte = 4324
; TotalNumSgprs: 34
; NumVgprs: 40
; ScratchSize: 0
; MemoryBound: 0
	.text
	.p2align	2                               ; -- Begin function __assert_fail
	.type	__assert_fail,@function
__assert_fail:                          ; @__assert_fail
; %bb.0:
	s_wait_loadcnt_dscnt 0x0
	s_wait_kmcnt 0x0
	s_mov_b32 s20, s33
	s_mov_b32 s33, s32
	s_or_saveexec_b32 s0, -1
	scratch_store_b32 off, v40, s33 offset:48 ; 4-byte Folded Spill
	s_wait_xcnt 0x0
	s_mov_b32 exec_lo, s0
	v_writelane_b32 v40, s30, 0
	s_add_co_i32 s32, s32, 64
	v_writelane_b32 v40, s31, 1
	v_mov_b32_e32 v8, 0
	s_get_pc_i64 s[0:1]
	s_add_nc_u64 s[0:1], s[0:1], __const.__assert_fail.fmt@rel64+35
	v_dual_mov_b32 v5, v1 :: v_dual_mov_b32 v4, v0
	s_get_pc_i64 s[10:11]
	s_add_nc_u64 s[10:11], s[10:11], __const.__assert_fail.fmt@rel64+20
	global_load_b128 v[0:3], v8, s[0:1]
	s_wait_xcnt 0x0
	s_get_pc_i64 s[0:1]
	s_add_nc_u64 s[0:1], s[0:1], __const.__assert_fail.fmt@rel64+4
	s_clause 0x1
	s_load_b128 s[4:7], s[0:1], 0x0
	s_load_b128 s[12:15], s[10:11], 0x0
	s_load_b64 s[2:3], s[8:9], 0x50
	v_mbcnt_lo_u32_b32 v48, -1, 0
	v_mov_b64_e32 v[6:7], 0
	s_wait_xcnt 0x0
	s_delay_alu instid0(VALU_DEP_2) | instskip(NEXT) | instid1(VALU_DEP_1)
	v_readfirstlane_b32 s0, v48
	v_cmp_eq_u32_e64 s0, s0, v48
	s_wait_kmcnt 0x0
	v_mov_b64_e32 v[12:13], s[6:7]
	v_mov_b64_e32 v[10:11], s[4:5]
	;; [unrolled: 1-line block ×4, first 2 shown]
	s_clause 0x1
	scratch_store_b128 off, v[10:13], s33
	scratch_store_b128 off, v[14:17], s33 offset:16
	s_wait_loadcnt 0x0
	scratch_store_b128 off, v[0:3], s33 offset:31
	s_wait_xcnt 0x0
	s_and_saveexec_b32 s1, s0
	s_cbranch_execz .LBB1_6
; %bb.1:
	global_load_b64 v[2:3], v8, s[2:3] offset:24 scope:SCOPE_SYS
	s_wait_loadcnt 0x0
	global_inv scope:SCOPE_SYS
	s_clause 0x1
	global_load_b64 v[0:1], v8, s[2:3] offset:40
	global_load_b64 v[6:7], v8, s[2:3]
	s_mov_b32 s4, exec_lo
	s_wait_loadcnt 0x1
	v_and_b32_e32 v0, v0, v2
	v_and_b32_e32 v1, v1, v3
	s_delay_alu instid0(VALU_DEP_1) | instskip(SKIP_1) | instid1(VALU_DEP_1)
	v_mul_u64_e32 v[0:1], 24, v[0:1]
	s_wait_loadcnt 0x0
	v_add_nc_u64_e32 v[0:1], v[6:7], v[0:1]
	global_load_b64 v[0:1], v[0:1], off scope:SCOPE_SYS
	s_wait_xcnt 0x0
	s_wait_loadcnt 0x0
	global_atomic_cmpswap_b64 v[6:7], v8, v[0:3], s[2:3] offset:24 th:TH_ATOMIC_RETURN scope:SCOPE_SYS
	s_wait_loadcnt 0x0
	global_inv scope:SCOPE_SYS
	s_wait_xcnt 0x0
	v_cmpx_ne_u64_e64 v[6:7], v[2:3]
	s_cbranch_execz .LBB1_5
; %bb.2:
	v_mov_b32_e32 v0, 0
	s_mov_b32 s5, 0
.LBB1_3:                                ; =>This Inner Loop Header: Depth=1
	s_sleep 1
	s_clause 0x1
	global_load_b64 v[2:3], v0, s[2:3] offset:40
	global_load_b64 v[10:11], v0, s[2:3]
	v_mov_b64_e32 v[12:13], v[6:7]
	s_wait_loadcnt 0x1
	s_delay_alu instid0(VALU_DEP_1) | instskip(SKIP_1) | instid1(VALU_DEP_1)
	v_and_b32_e32 v1, v2, v12
	s_wait_loadcnt 0x0
	v_mad_nc_u64_u32 v[6:7], v1, 24, v[10:11]
	s_delay_alu instid0(VALU_DEP_3) | instskip(NEXT) | instid1(VALU_DEP_1)
	v_and_b32_e32 v1, v3, v13
	v_mad_u32 v7, v1, 24, v7
	global_load_b64 v[10:11], v[6:7], off scope:SCOPE_SYS
	s_wait_xcnt 0x0
	s_wait_loadcnt 0x0
	global_atomic_cmpswap_b64 v[6:7], v0, v[10:13], s[2:3] offset:24 th:TH_ATOMIC_RETURN scope:SCOPE_SYS
	s_wait_loadcnt 0x0
	global_inv scope:SCOPE_SYS
	v_cmp_eq_u64_e32 vcc_lo, v[6:7], v[12:13]
	s_or_b32 s5, vcc_lo, s5
	s_wait_xcnt 0x0
	s_and_not1_b32 exec_lo, exec_lo, s5
	s_cbranch_execnz .LBB1_3
; %bb.4:
	s_or_b32 exec_lo, exec_lo, s5
.LBB1_5:
	s_delay_alu instid0(SALU_CYCLE_1)
	s_or_b32 exec_lo, exec_lo, s4
.LBB1_6:
	s_delay_alu instid0(SALU_CYCLE_1)
	s_or_b32 exec_lo, exec_lo, s1
	s_clause 0x1
	global_load_b64 v[10:11], v8, s[2:3] offset:40
	global_load_b128 v[0:3], v8, s[2:3]
	v_readfirstlane_b32 s4, v6
	v_readfirstlane_b32 s5, v7
	s_mov_b32 s1, exec_lo
	s_wait_loadcnt 0x1
	s_wait_xcnt 0x0
	v_and_b32_e32 v8, s4, v10
	v_and_b32_e32 v9, s5, v11
	s_delay_alu instid0(VALU_DEP_1) | instskip(SKIP_1) | instid1(VALU_DEP_1)
	v_mul_u64_e32 v[6:7], 24, v[8:9]
	s_wait_loadcnt 0x0
	v_add_nc_u64_e32 v[6:7], v[0:1], v[6:7]
	s_and_saveexec_b32 s6, s0
	s_cbranch_execz .LBB1_8
; %bb.7:
	v_mov_b64_e32 v[12:13], 0x100000002
	v_dual_mov_b32 v10, s1 :: v_dual_mov_b32 v11, 0
	global_store_b128 v[6:7], v[10:13], off offset:8
.LBB1_8:
	s_wait_xcnt 0x0
	s_or_b32 exec_lo, exec_lo, s6
	v_lshlrev_b64_e32 v[8:9], 12, v[8:9]
	s_mov_b32 s12, 0
	v_dual_mov_b32 v31, 0 :: v_dual_lshlrev_b32 v30, 6, v48
	s_mov_b32 s14, s12
	s_mov_b32 s15, s12
	;; [unrolled: 1-line block ×3, first 2 shown]
	s_delay_alu instid0(VALU_DEP_2)
	v_add_nc_u64_e32 v[8:9], v[2:3], v[8:9]
	v_mov_b64_e32 v[16:17], s[14:15]
	v_mov_b64_e32 v[14:15], s[12:13]
	v_dual_mov_b32 v10, 33 :: v_dual_mov_b32 v12, 1
	v_dual_mov_b32 v11, v31 :: v_dual_mov_b32 v13, v31
	v_readfirstlane_b32 s6, v8
	v_readfirstlane_b32 s7, v9
	s_clause 0x3
	global_store_b128 v30, v[10:13], s[6:7]
	global_store_b128 v30, v[14:17], s[6:7] offset:16
	global_store_b128 v30, v[14:17], s[6:7] offset:32
	;; [unrolled: 1-line block ×3, first 2 shown]
	s_wait_xcnt 0x0
	s_and_saveexec_b32 s1, s0
	s_cbranch_execz .LBB1_16
; %bb.9:
	s_clause 0x1
	global_load_b64 v[14:15], v31, s[2:3] offset:32 scope:SCOPE_SYS
	global_load_b64 v[2:3], v31, s[2:3] offset:40
	s_mov_b32 s6, exec_lo
	v_dual_mov_b32 v12, s4 :: v_dual_mov_b32 v13, s5
	s_wait_loadcnt 0x0
	v_and_b32_e32 v3, s5, v3
	v_and_b32_e32 v2, s4, v2
	s_delay_alu instid0(VALU_DEP_1) | instskip(NEXT) | instid1(VALU_DEP_1)
	v_mul_u64_e32 v[2:3], 24, v[2:3]
	v_add_nc_u64_e32 v[10:11], v[0:1], v[2:3]
	global_store_b64 v[10:11], v[14:15], off
	global_wb scope:SCOPE_SYS
	s_wait_storecnt 0x0
	s_wait_xcnt 0x0
	global_atomic_cmpswap_b64 v[2:3], v31, v[12:15], s[2:3] offset:32 th:TH_ATOMIC_RETURN scope:SCOPE_SYS
	s_wait_loadcnt 0x0
	v_cmpx_ne_u64_e64 v[2:3], v[14:15]
	s_cbranch_execz .LBB1_12
; %bb.10:
	v_mov_b32_e32 v12, 0
	s_mov_b32 s7, 0
.LBB1_11:                               ; =>This Inner Loop Header: Depth=1
	v_dual_mov_b32 v0, s4 :: v_dual_mov_b32 v1, s5
	s_sleep 1
	global_store_b64 v[10:11], v[2:3], off
	global_wb scope:SCOPE_SYS
	s_wait_storecnt 0x0
	s_wait_xcnt 0x0
	global_atomic_cmpswap_b64 v[0:1], v12, v[0:3], s[2:3] offset:32 th:TH_ATOMIC_RETURN scope:SCOPE_SYS
	s_wait_loadcnt 0x0
	v_cmp_eq_u64_e32 vcc_lo, v[0:1], v[2:3]
	v_mov_b64_e32 v[2:3], v[0:1]
	s_or_b32 s7, vcc_lo, s7
	s_delay_alu instid0(SALU_CYCLE_1)
	s_and_not1_b32 exec_lo, exec_lo, s7
	s_cbranch_execnz .LBB1_11
.LBB1_12:
	s_or_b32 exec_lo, exec_lo, s6
	v_mov_b32_e32 v3, 0
	s_mov_b32 s7, exec_lo
	s_mov_b32 s6, exec_lo
	v_mbcnt_lo_u32_b32 v2, s7, 0
	global_load_b64 v[0:1], v3, s[2:3] offset:16
	s_wait_xcnt 0x0
	v_cmpx_eq_u32_e32 0, v2
	s_cbranch_execz .LBB1_14
; %bb.13:
	s_bcnt1_i32_b32 s7, s7
	s_delay_alu instid0(SALU_CYCLE_1)
	v_mov_b32_e32 v2, s7
	global_wb scope:SCOPE_SYS
	s_wait_loadcnt 0x0
	s_wait_storecnt 0x0
	global_atomic_add_u64 v[0:1], v[2:3], off offset:8 scope:SCOPE_SYS
.LBB1_14:
	s_wait_xcnt 0x0
	s_or_b32 exec_lo, exec_lo, s6
	s_wait_loadcnt 0x0
	global_load_b64 v[2:3], v[0:1], off offset:16
	s_wait_loadcnt 0x0
	v_cmp_eq_u64_e32 vcc_lo, 0, v[2:3]
	s_cbranch_vccnz .LBB1_16
; %bb.15:
	global_load_b32 v0, v[0:1], off offset:24
	s_wait_xcnt 0x0
	v_mov_b32_e32 v1, 0
	s_wait_loadcnt 0x0
	v_readfirstlane_b32 s6, v0
	global_wb scope:SCOPE_SYS
	s_wait_storecnt 0x0
	global_store_b64 v[2:3], v[0:1], off scope:SCOPE_SYS
	s_and_b32 m0, s6, 0xffffff
	s_sendmsg sendmsg(MSG_INTERRUPT)
.LBB1_16:
	s_wait_xcnt 0x0
	s_or_b32 exec_lo, exec_lo, s1
	v_add_nc_u64_e32 v[0:1], v[8:9], v[30:31]
	s_branch .LBB1_20
.LBB1_17:                               ;   in Loop: Header=BB1_20 Depth=1
	s_wait_xcnt 0x0
	s_or_b32 exec_lo, exec_lo, s1
	s_delay_alu instid0(VALU_DEP_1)
	v_readfirstlane_b32 s1, v2
	s_cmp_eq_u32 s1, 0
	s_cbranch_scc1 .LBB1_19
; %bb.18:                               ;   in Loop: Header=BB1_20 Depth=1
	s_sleep 1
	s_cbranch_execnz .LBB1_20
	s_branch .LBB1_22
.LBB1_19:
	s_branch .LBB1_22
.LBB1_20:                               ; =>This Inner Loop Header: Depth=1
	v_mov_b32_e32 v2, 1
	s_and_saveexec_b32 s1, s0
	s_cbranch_execz .LBB1_17
; %bb.21:                               ;   in Loop: Header=BB1_20 Depth=1
	global_load_b32 v2, v[6:7], off offset:20 scope:SCOPE_SYS
	s_wait_loadcnt 0x0
	global_inv scope:SCOPE_SYS
	v_and_b32_e32 v2, 1, v2
	s_branch .LBB1_17
.LBB1_22:
	global_load_b64 v[6:7], v[0:1], off
	s_wait_xcnt 0x0
	s_and_saveexec_b32 s6, s0
	s_cbranch_execz .LBB1_26
; %bb.23:
	v_mov_b32_e32 v10, 0
	s_clause 0x2
	global_load_b64 v[0:1], v10, s[2:3] offset:40
	global_load_b64 v[14:15], v10, s[2:3] offset:24 scope:SCOPE_SYS
	global_load_b64 v[2:3], v10, s[2:3]
	s_wait_loadcnt 0x2
	v_readfirstlane_b32 s10, v0
	v_readfirstlane_b32 s11, v1
	s_add_nc_u64 s[0:1], s[10:11], 1
	s_delay_alu instid0(SALU_CYCLE_1) | instskip(NEXT) | instid1(SALU_CYCLE_1)
	s_add_nc_u64 s[4:5], s[0:1], s[4:5]
	s_cmp_eq_u64 s[4:5], 0
	s_cselect_b32 s1, s1, s5
	s_cselect_b32 s0, s0, s4
	v_mov_b32_e32 v13, s1
	s_and_b64 s[4:5], s[0:1], s[10:11]
	v_mov_b32_e32 v12, s0
	s_mul_u64 s[4:5], s[4:5], 24
	s_wait_loadcnt 0x0
	v_add_nc_u64_e32 v[8:9], s[4:5], v[2:3]
	global_store_b64 v[8:9], v[14:15], off
	global_wb scope:SCOPE_SYS
	s_wait_storecnt 0x0
	s_wait_xcnt 0x0
	global_atomic_cmpswap_b64 v[2:3], v10, v[12:15], s[2:3] offset:24 th:TH_ATOMIC_RETURN scope:SCOPE_SYS
	s_wait_loadcnt 0x0
	v_cmp_ne_u64_e32 vcc_lo, v[2:3], v[14:15]
	s_and_b32 exec_lo, exec_lo, vcc_lo
	s_cbranch_execz .LBB1_26
; %bb.24:
	s_mov_b32 s4, 0
.LBB1_25:                               ; =>This Inner Loop Header: Depth=1
	v_dual_mov_b32 v0, s0 :: v_dual_mov_b32 v1, s1
	s_sleep 1
	global_store_b64 v[8:9], v[2:3], off
	global_wb scope:SCOPE_SYS
	s_wait_storecnt 0x0
	s_wait_xcnt 0x0
	global_atomic_cmpswap_b64 v[0:1], v10, v[0:3], s[2:3] offset:24 th:TH_ATOMIC_RETURN scope:SCOPE_SYS
	s_wait_loadcnt 0x0
	v_cmp_eq_u64_e32 vcc_lo, v[0:1], v[2:3]
	v_mov_b64_e32 v[2:3], v[0:1]
	s_or_b32 s4, vcc_lo, s4
	s_delay_alu instid0(SALU_CYCLE_1)
	s_and_not1_b32 exec_lo, exec_lo, s4
	s_cbranch_execnz .LBB1_25
.LBB1_26:
	s_or_b32 exec_lo, exec_lo, s6
	s_mov_b32 s1, s33
	s_mov_b32 s0, 0
.LBB1_27:                               ; =>This Inner Loop Header: Depth=1
	scratch_load_u8 v0, off, s1
	s_wait_xcnt 0x0
	s_add_co_i32 s1, s1, 1
	s_wait_loadcnt 0x0
	v_cmp_eq_u16_e32 vcc_lo, 0, v0
	v_mov_b32_e32 v0, s1
	s_or_b32 s0, vcc_lo, s0
	s_delay_alu instid0(SALU_CYCLE_1)
	s_and_not1_b32 exec_lo, exec_lo, s0
	s_cbranch_execnz .LBB1_27
; %bb.28:
	s_or_b32 exec_lo, exec_lo, s0
	s_cmp_lg_u32 s33, -1
	s_cbranch_scc0 .LBB1_113
; %bb.29:
	s_mov_b64 s[0:1], src_flat_scratch_base_lo
	v_mov_b64_e32 v[10:11], 0x100000002
	v_dual_add_nc_u32 v0, s0, v0 :: v_dual_bitop2_b32 v28, 2, v6 bitop3:0x40
	s_add_co_i32 s0, s33, s0
	v_dual_mov_b32 v31, 0 :: v_dual_mov_b32 v29, s33
	s_delay_alu instid0(VALU_DEP_2) | instskip(SKIP_3) | instid1(VALU_DEP_2)
	v_subrev_nc_u32_e32 v32, s0, v0
	v_dual_mov_b32 v1, v7 :: v_dual_bitop2_b32 v0, -3, v6 bitop3:0x40
	s_mov_b32 s7, 0
	s_mov_b32 s6, 0
	v_ashrrev_i32_e32 v33, 31, v32
	s_branch .LBB1_31
.LBB1_30:                               ;   in Loop: Header=BB1_31 Depth=1
	s_or_b32 exec_lo, exec_lo, s10
	v_sub_nc_u64_e32 v[32:33], v[32:33], v[34:35]
	v_add_nc_u32_e32 v29, v29, v34
	s_delay_alu instid0(VALU_DEP_2) | instskip(SKIP_1) | instid1(SALU_CYCLE_1)
	v_cmp_eq_u64_e32 vcc_lo, 0, v[32:33]
	s_or_b32 s6, vcc_lo, s6
	s_and_not1_b32 exec_lo, exec_lo, s6
	s_cbranch_execz .LBB1_192
.LBB1_31:                               ; =>This Loop Header: Depth=1
                                        ;     Child Loop BB1_34 Depth 2
                                        ;     Child Loop BB1_42 Depth 2
	;; [unrolled: 1-line block ×11, first 2 shown]
	s_delay_alu instid0(VALU_DEP_1)
	v_min_u64 v[34:35], v[32:33], 56
	v_add_nc_u32_e32 v9, 8, v29
	s_mov_b32 s0, exec_lo
	v_cmpx_gt_u64_e32 8, v[32:33]
	s_xor_b32 s4, exec_lo, s0
	s_cbranch_execz .LBB1_37
; %bb.32:                               ;   in Loop: Header=BB1_31 Depth=1
	v_mov_b64_e32 v[2:3], 0
	s_mov_b32 s5, exec_lo
	v_cmpx_ne_u64_e32 0, v[32:33]
	s_cbranch_execz .LBB1_36
; %bb.33:                               ;   in Loop: Header=BB1_31 Depth=1
	v_mov_b64_e32 v[2:3], 0
	v_dual_mov_b32 v9, v29 :: v_dual_lshlrev_b32 v8, 3, v34
	s_mov_b64 s[0:1], 0
	s_mov_b32 s10, 0
.LBB1_34:                               ;   Parent Loop BB1_31 Depth=1
                                        ; =>  This Inner Loop Header: Depth=2
	scratch_load_u8 v12, v9, off
	s_wait_xcnt 0x0
	v_dual_mov_b32 v13, s7 :: v_dual_add_nc_u32 v9, 1, v9
	s_wait_loadcnt 0x0
	v_and_b32_e32 v12, 0xffff, v12
	s_delay_alu instid0(VALU_DEP_1) | instskip(SKIP_1) | instid1(SALU_CYCLE_1)
	v_lshlrev_b64_e32 v[12:13], s0, v[12:13]
	s_add_nc_u64 s[0:1], s[0:1], 8
	v_cmp_eq_u32_e32 vcc_lo, s0, v8
	s_delay_alu instid0(VALU_DEP_2) | instskip(NEXT) | instid1(VALU_DEP_3)
	v_or_b32_e32 v3, v13, v3
	v_or_b32_e32 v2, v12, v2
	s_or_b32 s10, vcc_lo, s10
	s_delay_alu instid0(SALU_CYCLE_1)
	s_and_not1_b32 exec_lo, exec_lo, s10
	s_cbranch_execnz .LBB1_34
; %bb.35:                               ;   in Loop: Header=BB1_31 Depth=1
	s_or_b32 exec_lo, exec_lo, s10
.LBB1_36:                               ;   in Loop: Header=BB1_31 Depth=1
	s_delay_alu instid0(SALU_CYCLE_1)
	s_or_b32 exec_lo, exec_lo, s5
	v_mov_b32_e32 v9, v29
.LBB1_37:                               ;   in Loop: Header=BB1_31 Depth=1
	s_or_saveexec_b32 s0, s4
	v_mov_b32_e32 v14, 0
	s_xor_b32 exec_lo, exec_lo, s0
	s_cbranch_execz .LBB1_39
; %bb.38:                               ;   in Loop: Header=BB1_31 Depth=1
	scratch_load_b64 v[2:3], v29, off
	v_add_nc_u32_e32 v14, -8, v34
.LBB1_39:                               ;   in Loop: Header=BB1_31 Depth=1
	s_wait_xcnt 0x0
	s_or_b32 exec_lo, exec_lo, s0
	v_add_nc_u32_e32 v8, 8, v9
                                        ; implicit-def: $vgpr12_vgpr13
	s_mov_b32 s0, exec_lo
	v_cmpx_gt_u32_e32 8, v14
	s_xor_b32 s4, exec_lo, s0
	s_cbranch_execz .LBB1_45
; %bb.40:                               ;   in Loop: Header=BB1_31 Depth=1
	v_mov_b64_e32 v[12:13], 0
	s_mov_b32 s5, exec_lo
	v_cmpx_ne_u32_e32 0, v14
	s_cbranch_execz .LBB1_44
; %bb.41:                               ;   in Loop: Header=BB1_31 Depth=1
	v_mov_b64_e32 v[12:13], 0
	s_mov_b64 s[0:1], 0
	s_mov_b32 s10, 0
	s_mov_b32 s11, 0
.LBB1_42:                               ;   Parent Loop BB1_31 Depth=1
                                        ; =>  This Inner Loop Header: Depth=2
	scratch_load_u8 v8, v9, s11
	v_mov_b32_e32 v17, s7
	s_wait_xcnt 0x0
	s_add_co_i32 s11, s11, 1
	s_delay_alu instid0(SALU_CYCLE_1) | instskip(SKIP_3) | instid1(VALU_DEP_1)
	v_cmp_eq_u32_e32 vcc_lo, s11, v14
	s_or_b32 s10, vcc_lo, s10
	s_wait_loadcnt 0x0
	v_and_b32_e32 v16, 0xffff, v8
	v_lshlrev_b64_e32 v[16:17], s0, v[16:17]
	s_add_nc_u64 s[0:1], s[0:1], 8
	s_delay_alu instid0(VALU_DEP_1) | instskip(NEXT) | instid1(VALU_DEP_2)
	v_or_b32_e32 v13, v17, v13
	v_or_b32_e32 v12, v16, v12
	s_and_not1_b32 exec_lo, exec_lo, s10
	s_cbranch_execnz .LBB1_42
; %bb.43:                               ;   in Loop: Header=BB1_31 Depth=1
	s_or_b32 exec_lo, exec_lo, s10
.LBB1_44:                               ;   in Loop: Header=BB1_31 Depth=1
	s_delay_alu instid0(SALU_CYCLE_1)
	s_or_b32 exec_lo, exec_lo, s5
	v_mov_b32_e32 v8, v9
                                        ; implicit-def: $vgpr14
.LBB1_45:                               ;   in Loop: Header=BB1_31 Depth=1
	s_or_saveexec_b32 s0, s4
	v_mov_b32_e32 v16, 0
	s_xor_b32 exec_lo, exec_lo, s0
	s_cbranch_execz .LBB1_47
; %bb.46:                               ;   in Loop: Header=BB1_31 Depth=1
	scratch_load_b64 v[12:13], v9, off
	v_add_nc_u32_e32 v16, -8, v14
.LBB1_47:                               ;   in Loop: Header=BB1_31 Depth=1
	s_wait_xcnt 0x0
	s_or_b32 exec_lo, exec_lo, s0
	v_add_nc_u32_e32 v9, 8, v8
	s_mov_b32 s0, exec_lo
	v_cmpx_gt_u32_e32 8, v16
	s_xor_b32 s4, exec_lo, s0
	s_cbranch_execz .LBB1_53
; %bb.48:                               ;   in Loop: Header=BB1_31 Depth=1
	v_mov_b64_e32 v[14:15], 0
	s_mov_b32 s5, exec_lo
	v_cmpx_ne_u32_e32 0, v16
	s_cbranch_execz .LBB1_52
; %bb.49:                               ;   in Loop: Header=BB1_31 Depth=1
	v_mov_b64_e32 v[14:15], 0
	s_mov_b64 s[0:1], 0
	s_mov_b32 s10, 0
	s_mov_b32 s11, 0
.LBB1_50:                               ;   Parent Loop BB1_31 Depth=1
                                        ; =>  This Inner Loop Header: Depth=2
	scratch_load_u8 v9, v8, s11
	v_mov_b32_e32 v19, s7
	s_wait_xcnt 0x0
	s_add_co_i32 s11, s11, 1
	s_delay_alu instid0(SALU_CYCLE_1) | instskip(SKIP_3) | instid1(VALU_DEP_1)
	v_cmp_eq_u32_e32 vcc_lo, s11, v16
	s_or_b32 s10, vcc_lo, s10
	s_wait_loadcnt 0x0
	v_and_b32_e32 v18, 0xffff, v9
	v_lshlrev_b64_e32 v[18:19], s0, v[18:19]
	s_add_nc_u64 s[0:1], s[0:1], 8
	s_delay_alu instid0(VALU_DEP_1) | instskip(NEXT) | instid1(VALU_DEP_2)
	v_or_b32_e32 v15, v19, v15
	v_or_b32_e32 v14, v18, v14
	s_and_not1_b32 exec_lo, exec_lo, s10
	s_cbranch_execnz .LBB1_50
; %bb.51:                               ;   in Loop: Header=BB1_31 Depth=1
	s_or_b32 exec_lo, exec_lo, s10
.LBB1_52:                               ;   in Loop: Header=BB1_31 Depth=1
	s_delay_alu instid0(SALU_CYCLE_1)
	s_or_b32 exec_lo, exec_lo, s5
	v_mov_b32_e32 v9, v8
                                        ; implicit-def: $vgpr16
.LBB1_53:                               ;   in Loop: Header=BB1_31 Depth=1
	s_or_saveexec_b32 s0, s4
	v_mov_b32_e32 v18, 0
	s_xor_b32 exec_lo, exec_lo, s0
	s_cbranch_execz .LBB1_55
; %bb.54:                               ;   in Loop: Header=BB1_31 Depth=1
	scratch_load_b64 v[14:15], v8, off
	v_add_nc_u32_e32 v18, -8, v16
.LBB1_55:                               ;   in Loop: Header=BB1_31 Depth=1
	s_wait_xcnt 0x0
	s_or_b32 exec_lo, exec_lo, s0
	v_add_nc_u32_e32 v8, 8, v9
                                        ; implicit-def: $vgpr16_vgpr17
	s_mov_b32 s0, exec_lo
	v_cmpx_gt_u32_e32 8, v18
	s_xor_b32 s4, exec_lo, s0
	s_cbranch_execz .LBB1_61
; %bb.56:                               ;   in Loop: Header=BB1_31 Depth=1
	v_mov_b64_e32 v[16:17], 0
	s_mov_b32 s5, exec_lo
	v_cmpx_ne_u32_e32 0, v18
	s_cbranch_execz .LBB1_60
; %bb.57:                               ;   in Loop: Header=BB1_31 Depth=1
	v_mov_b64_e32 v[16:17], 0
	s_mov_b64 s[0:1], 0
	s_mov_b32 s10, 0
	s_mov_b32 s11, 0
.LBB1_58:                               ;   Parent Loop BB1_31 Depth=1
                                        ; =>  This Inner Loop Header: Depth=2
	scratch_load_u8 v8, v9, s11
	v_mov_b32_e32 v21, s7
	s_wait_xcnt 0x0
	s_add_co_i32 s11, s11, 1
	s_delay_alu instid0(SALU_CYCLE_1) | instskip(SKIP_3) | instid1(VALU_DEP_1)
	v_cmp_eq_u32_e32 vcc_lo, s11, v18
	s_or_b32 s10, vcc_lo, s10
	s_wait_loadcnt 0x0
	v_and_b32_e32 v20, 0xffff, v8
	v_lshlrev_b64_e32 v[20:21], s0, v[20:21]
	s_add_nc_u64 s[0:1], s[0:1], 8
	s_delay_alu instid0(VALU_DEP_1) | instskip(NEXT) | instid1(VALU_DEP_2)
	v_or_b32_e32 v17, v21, v17
	v_or_b32_e32 v16, v20, v16
	s_and_not1_b32 exec_lo, exec_lo, s10
	s_cbranch_execnz .LBB1_58
; %bb.59:                               ;   in Loop: Header=BB1_31 Depth=1
	s_or_b32 exec_lo, exec_lo, s10
.LBB1_60:                               ;   in Loop: Header=BB1_31 Depth=1
	s_delay_alu instid0(SALU_CYCLE_1)
	s_or_b32 exec_lo, exec_lo, s5
	v_mov_b32_e32 v8, v9
                                        ; implicit-def: $vgpr18
.LBB1_61:                               ;   in Loop: Header=BB1_31 Depth=1
	s_or_saveexec_b32 s0, s4
	v_mov_b32_e32 v20, 0
	s_xor_b32 exec_lo, exec_lo, s0
	s_cbranch_execz .LBB1_63
; %bb.62:                               ;   in Loop: Header=BB1_31 Depth=1
	scratch_load_b64 v[16:17], v9, off
	v_add_nc_u32_e32 v20, -8, v18
.LBB1_63:                               ;   in Loop: Header=BB1_31 Depth=1
	s_wait_xcnt 0x0
	s_or_b32 exec_lo, exec_lo, s0
	v_add_nc_u32_e32 v9, 8, v8
	s_mov_b32 s0, exec_lo
	v_cmpx_gt_u32_e32 8, v20
	s_xor_b32 s4, exec_lo, s0
	s_cbranch_execz .LBB1_69
; %bb.64:                               ;   in Loop: Header=BB1_31 Depth=1
	v_mov_b64_e32 v[18:19], 0
	s_mov_b32 s5, exec_lo
	v_cmpx_ne_u32_e32 0, v20
	s_cbranch_execz .LBB1_68
; %bb.65:                               ;   in Loop: Header=BB1_31 Depth=1
	v_mov_b64_e32 v[18:19], 0
	s_mov_b64 s[0:1], 0
	s_mov_b32 s10, 0
	s_mov_b32 s11, 0
.LBB1_66:                               ;   Parent Loop BB1_31 Depth=1
                                        ; =>  This Inner Loop Header: Depth=2
	scratch_load_u8 v9, v8, s11
	v_mov_b32_e32 v23, s7
	s_wait_xcnt 0x0
	s_add_co_i32 s11, s11, 1
	s_delay_alu instid0(SALU_CYCLE_1) | instskip(SKIP_3) | instid1(VALU_DEP_1)
	v_cmp_eq_u32_e32 vcc_lo, s11, v20
	s_or_b32 s10, vcc_lo, s10
	s_wait_loadcnt 0x0
	v_and_b32_e32 v22, 0xffff, v9
	v_lshlrev_b64_e32 v[22:23], s0, v[22:23]
	s_add_nc_u64 s[0:1], s[0:1], 8
	s_delay_alu instid0(VALU_DEP_1) | instskip(NEXT) | instid1(VALU_DEP_2)
	v_or_b32_e32 v19, v23, v19
	v_or_b32_e32 v18, v22, v18
	s_and_not1_b32 exec_lo, exec_lo, s10
	s_cbranch_execnz .LBB1_66
; %bb.67:                               ;   in Loop: Header=BB1_31 Depth=1
	s_or_b32 exec_lo, exec_lo, s10
.LBB1_68:                               ;   in Loop: Header=BB1_31 Depth=1
	s_delay_alu instid0(SALU_CYCLE_1)
	s_or_b32 exec_lo, exec_lo, s5
	v_mov_b32_e32 v9, v8
                                        ; implicit-def: $vgpr20
.LBB1_69:                               ;   in Loop: Header=BB1_31 Depth=1
	s_or_saveexec_b32 s0, s4
	v_mov_b32_e32 v22, 0
	s_xor_b32 exec_lo, exec_lo, s0
	s_cbranch_execz .LBB1_71
; %bb.70:                               ;   in Loop: Header=BB1_31 Depth=1
	scratch_load_b64 v[18:19], v8, off
	v_add_nc_u32_e32 v22, -8, v20
.LBB1_71:                               ;   in Loop: Header=BB1_31 Depth=1
	s_wait_xcnt 0x0
	s_or_b32 exec_lo, exec_lo, s0
	v_add_nc_u32_e32 v8, 8, v9
                                        ; implicit-def: $vgpr20_vgpr21
	s_mov_b32 s0, exec_lo
	v_cmpx_gt_u32_e32 8, v22
	s_xor_b32 s4, exec_lo, s0
	s_cbranch_execz .LBB1_77
; %bb.72:                               ;   in Loop: Header=BB1_31 Depth=1
	v_mov_b64_e32 v[20:21], 0
	s_mov_b32 s5, exec_lo
	v_cmpx_ne_u32_e32 0, v22
	s_cbranch_execz .LBB1_76
; %bb.73:                               ;   in Loop: Header=BB1_31 Depth=1
	v_mov_b64_e32 v[20:21], 0
	s_mov_b64 s[0:1], 0
	s_mov_b32 s10, 0
	s_mov_b32 s11, 0
.LBB1_74:                               ;   Parent Loop BB1_31 Depth=1
                                        ; =>  This Inner Loop Header: Depth=2
	scratch_load_u8 v8, v9, s11
	v_mov_b32_e32 v25, s7
	s_wait_xcnt 0x0
	s_add_co_i32 s11, s11, 1
	s_delay_alu instid0(SALU_CYCLE_1) | instskip(SKIP_3) | instid1(VALU_DEP_1)
	v_cmp_eq_u32_e32 vcc_lo, s11, v22
	s_or_b32 s10, vcc_lo, s10
	s_wait_loadcnt 0x0
	v_and_b32_e32 v24, 0xffff, v8
	v_lshlrev_b64_e32 v[24:25], s0, v[24:25]
	s_add_nc_u64 s[0:1], s[0:1], 8
	s_delay_alu instid0(VALU_DEP_1) | instskip(NEXT) | instid1(VALU_DEP_2)
	v_or_b32_e32 v21, v25, v21
	v_or_b32_e32 v20, v24, v20
	s_and_not1_b32 exec_lo, exec_lo, s10
	s_cbranch_execnz .LBB1_74
; %bb.75:                               ;   in Loop: Header=BB1_31 Depth=1
	s_or_b32 exec_lo, exec_lo, s10
.LBB1_76:                               ;   in Loop: Header=BB1_31 Depth=1
	s_delay_alu instid0(SALU_CYCLE_1)
	s_or_b32 exec_lo, exec_lo, s5
	v_mov_b32_e32 v8, v9
                                        ; implicit-def: $vgpr22
.LBB1_77:                               ;   in Loop: Header=BB1_31 Depth=1
	s_or_saveexec_b32 s0, s4
	v_mov_b32_e32 v24, 0
	s_xor_b32 exec_lo, exec_lo, s0
	s_cbranch_execz .LBB1_79
; %bb.78:                               ;   in Loop: Header=BB1_31 Depth=1
	scratch_load_b64 v[20:21], v9, off
	v_add_nc_u32_e32 v24, -8, v22
.LBB1_79:                               ;   in Loop: Header=BB1_31 Depth=1
	s_wait_xcnt 0x0
	s_or_b32 exec_lo, exec_lo, s0
	s_delay_alu instid0(SALU_CYCLE_1) | instskip(NEXT) | instid1(VALU_DEP_1)
	s_mov_b32 s0, exec_lo
	v_cmpx_gt_u32_e32 8, v24
	s_xor_b32 s4, exec_lo, s0
	s_cbranch_execz .LBB1_85
; %bb.80:                               ;   in Loop: Header=BB1_31 Depth=1
	v_mov_b64_e32 v[22:23], 0
	s_mov_b32 s5, exec_lo
	v_cmpx_ne_u32_e32 0, v24
	s_cbranch_execz .LBB1_84
; %bb.81:                               ;   in Loop: Header=BB1_31 Depth=1
	v_mov_b64_e32 v[22:23], 0
	s_mov_b64 s[0:1], 0
	s_mov_b32 s10, 0
.LBB1_82:                               ;   Parent Loop BB1_31 Depth=1
                                        ; =>  This Inner Loop Header: Depth=2
	scratch_load_u8 v9, v8, off
	v_dual_mov_b32 v27, s7 :: v_dual_add_nc_u32 v24, -1, v24
	s_delay_alu instid0(VALU_DEP_1) | instskip(SKIP_3) | instid1(VALU_DEP_1)
	v_cmp_eq_u32_e32 vcc_lo, 0, v24
	s_or_b32 s10, vcc_lo, s10
	s_wait_loadcnt 0x0
	v_and_b32_e32 v26, 0xffff, v9
	v_lshlrev_b64_e32 v[26:27], s0, v[26:27]
	s_wait_xcnt 0x0
	v_add_nc_u32_e32 v8, 1, v8
	s_add_nc_u64 s[0:1], s[0:1], 8
	s_delay_alu instid0(VALU_DEP_2) | instskip(NEXT) | instid1(VALU_DEP_3)
	v_or_b32_e32 v23, v27, v23
	v_or_b32_e32 v22, v26, v22
	s_and_not1_b32 exec_lo, exec_lo, s10
	s_cbranch_execnz .LBB1_82
; %bb.83:                               ;   in Loop: Header=BB1_31 Depth=1
	s_or_b32 exec_lo, exec_lo, s10
.LBB1_84:                               ;   in Loop: Header=BB1_31 Depth=1
	s_delay_alu instid0(SALU_CYCLE_1)
	s_or_b32 exec_lo, exec_lo, s5
                                        ; implicit-def: $vgpr8
.LBB1_85:                               ;   in Loop: Header=BB1_31 Depth=1
	s_and_not1_saveexec_b32 s0, s4
	s_cbranch_execz .LBB1_87
; %bb.86:                               ;   in Loop: Header=BB1_31 Depth=1
	scratch_load_b64 v[22:23], v8, off
.LBB1_87:                               ;   in Loop: Header=BB1_31 Depth=1
	s_wait_xcnt 0x0
	s_or_b32 exec_lo, exec_lo, s0
	v_readfirstlane_b32 s0, v48
	v_mov_b64_e32 v[8:9], 0
	s_delay_alu instid0(VALU_DEP_2)
	v_cmp_eq_u32_e64 s0, s0, v48
	s_and_saveexec_b32 s1, s0
	s_cbranch_execz .LBB1_93
; %bb.88:                               ;   in Loop: Header=BB1_31 Depth=1
	global_load_b64 v[26:27], v31, s[2:3] offset:24 scope:SCOPE_SYS
	s_wait_loadcnt 0x0
	global_inv scope:SCOPE_SYS
	s_clause 0x1
	global_load_b64 v[8:9], v31, s[2:3] offset:40
	global_load_b64 v[24:25], v31, s[2:3]
	s_mov_b32 s4, exec_lo
	s_wait_loadcnt 0x1
	v_and_b32_e32 v8, v8, v26
	v_and_b32_e32 v9, v9, v27
	s_delay_alu instid0(VALU_DEP_1) | instskip(SKIP_1) | instid1(VALU_DEP_1)
	v_mul_u64_e32 v[8:9], 24, v[8:9]
	s_wait_loadcnt 0x0
	v_add_nc_u64_e32 v[8:9], v[24:25], v[8:9]
	global_load_b64 v[24:25], v[8:9], off scope:SCOPE_SYS
	s_wait_xcnt 0x0
	s_wait_loadcnt 0x0
	global_atomic_cmpswap_b64 v[8:9], v31, v[24:27], s[2:3] offset:24 th:TH_ATOMIC_RETURN scope:SCOPE_SYS
	s_wait_loadcnt 0x0
	global_inv scope:SCOPE_SYS
	s_wait_xcnt 0x0
	v_cmpx_ne_u64_e64 v[8:9], v[26:27]
	s_cbranch_execz .LBB1_92
; %bb.89:                               ;   in Loop: Header=BB1_31 Depth=1
	s_mov_b32 s5, 0
.LBB1_90:                               ;   Parent Loop BB1_31 Depth=1
                                        ; =>  This Inner Loop Header: Depth=2
	s_sleep 1
	s_clause 0x1
	global_load_b64 v[24:25], v31, s[2:3] offset:40
	global_load_b64 v[36:37], v31, s[2:3]
	v_mov_b64_e32 v[26:27], v[8:9]
	s_wait_loadcnt 0x1
	s_delay_alu instid0(VALU_DEP_1) | instskip(NEXT) | instid1(VALU_DEP_2)
	v_and_b32_e32 v8, v24, v26
	v_and_b32_e32 v24, v25, v27
	s_wait_loadcnt 0x0
	s_delay_alu instid0(VALU_DEP_2) | instskip(NEXT) | instid1(VALU_DEP_1)
	v_mad_nc_u64_u32 v[8:9], v8, 24, v[36:37]
	v_mad_u32 v9, v24, 24, v9
	global_load_b64 v[24:25], v[8:9], off scope:SCOPE_SYS
	s_wait_xcnt 0x0
	s_wait_loadcnt 0x0
	global_atomic_cmpswap_b64 v[8:9], v31, v[24:27], s[2:3] offset:24 th:TH_ATOMIC_RETURN scope:SCOPE_SYS
	s_wait_loadcnt 0x0
	global_inv scope:SCOPE_SYS
	v_cmp_eq_u64_e32 vcc_lo, v[8:9], v[26:27]
	s_or_b32 s5, vcc_lo, s5
	s_wait_xcnt 0x0
	s_and_not1_b32 exec_lo, exec_lo, s5
	s_cbranch_execnz .LBB1_90
; %bb.91:                               ;   in Loop: Header=BB1_31 Depth=1
	s_or_b32 exec_lo, exec_lo, s5
.LBB1_92:                               ;   in Loop: Header=BB1_31 Depth=1
	s_delay_alu instid0(SALU_CYCLE_1)
	s_or_b32 exec_lo, exec_lo, s4
.LBB1_93:                               ;   in Loop: Header=BB1_31 Depth=1
	s_delay_alu instid0(SALU_CYCLE_1)
	s_or_b32 exec_lo, exec_lo, s1
	s_clause 0x1
	global_load_b64 v[36:37], v31, s[2:3] offset:40
	global_load_b128 v[24:27], v31, s[2:3]
	v_readfirstlane_b32 s4, v8
	v_readfirstlane_b32 s5, v9
	s_mov_b32 s1, exec_lo
	s_wait_loadcnt 0x1
	v_and_b32_e32 v38, s4, v36
	v_and_b32_e32 v39, s5, v37
	s_delay_alu instid0(VALU_DEP_1) | instskip(SKIP_1) | instid1(VALU_DEP_1)
	v_mul_u64_e32 v[8:9], 24, v[38:39]
	s_wait_loadcnt 0x0
	v_add_nc_u64_e32 v[36:37], v[24:25], v[8:9]
	s_wait_xcnt 0x0
	s_and_saveexec_b32 s10, s0
	s_cbranch_execz .LBB1_95
; %bb.94:                               ;   in Loop: Header=BB1_31 Depth=1
	v_dual_mov_b32 v8, s1 :: v_dual_mov_b32 v9, v31
	global_store_b128 v[36:37], v[8:11], off offset:8
.LBB1_95:                               ;   in Loop: Header=BB1_31 Depth=1
	s_wait_xcnt 0x0
	s_or_b32 exec_lo, exec_lo, s10
	v_cmp_gt_u64_e32 vcc_lo, 57, v[32:33]
	v_lshlrev_b64_e32 v[8:9], 12, v[38:39]
	v_and_b32_e32 v0, 0xffffff1f, v0
	v_lshl_add_u32 v39, v34, 2, 28
	v_cndmask_b32_e32 v38, 0, v28, vcc_lo
	s_delay_alu instid0(VALU_DEP_4) | instskip(NEXT) | instid1(VALU_DEP_2)
	v_add_nc_u64_e32 v[8:9], v[26:27], v[8:9]
	v_or_b32_e32 v0, v0, v38
	s_delay_alu instid0(VALU_DEP_2) | instskip(NEXT) | instid1(VALU_DEP_3)
	v_readfirstlane_b32 s10, v8
	v_readfirstlane_b32 s11, v9
	s_delay_alu instid0(VALU_DEP_3)
	v_and_or_b32 v0, 0x1e0, v39, v0
	s_clause 0x3
	global_store_b128 v30, v[0:3], s[10:11]
	global_store_b128 v30, v[12:15], s[10:11] offset:16
	global_store_b128 v30, v[16:19], s[10:11] offset:32
	;; [unrolled: 1-line block ×3, first 2 shown]
	s_wait_xcnt 0x0
	s_and_saveexec_b32 s1, s0
	s_cbranch_execz .LBB1_103
; %bb.96:                               ;   in Loop: Header=BB1_31 Depth=1
	s_clause 0x1
	global_load_b64 v[16:17], v31, s[2:3] offset:32 scope:SCOPE_SYS
	global_load_b64 v[0:1], v31, s[2:3] offset:40
	s_mov_b32 s10, exec_lo
	v_dual_mov_b32 v14, s4 :: v_dual_mov_b32 v15, s5
	s_wait_loadcnt 0x0
	v_and_b32_e32 v1, s5, v1
	v_and_b32_e32 v0, s4, v0
	s_delay_alu instid0(VALU_DEP_1) | instskip(NEXT) | instid1(VALU_DEP_1)
	v_mul_u64_e32 v[0:1], 24, v[0:1]
	v_add_nc_u64_e32 v[12:13], v[24:25], v[0:1]
	global_store_b64 v[12:13], v[16:17], off
	global_wb scope:SCOPE_SYS
	s_wait_storecnt 0x0
	s_wait_xcnt 0x0
	global_atomic_cmpswap_b64 v[2:3], v31, v[14:17], s[2:3] offset:32 th:TH_ATOMIC_RETURN scope:SCOPE_SYS
	s_wait_loadcnt 0x0
	v_cmpx_ne_u64_e64 v[2:3], v[16:17]
	s_cbranch_execz .LBB1_99
; %bb.97:                               ;   in Loop: Header=BB1_31 Depth=1
	s_mov_b32 s11, 0
.LBB1_98:                               ;   Parent Loop BB1_31 Depth=1
                                        ; =>  This Inner Loop Header: Depth=2
	v_dual_mov_b32 v0, s4 :: v_dual_mov_b32 v1, s5
	s_sleep 1
	global_store_b64 v[12:13], v[2:3], off
	global_wb scope:SCOPE_SYS
	s_wait_storecnt 0x0
	s_wait_xcnt 0x0
	global_atomic_cmpswap_b64 v[0:1], v31, v[0:3], s[2:3] offset:32 th:TH_ATOMIC_RETURN scope:SCOPE_SYS
	s_wait_loadcnt 0x0
	v_cmp_eq_u64_e32 vcc_lo, v[0:1], v[2:3]
	v_mov_b64_e32 v[2:3], v[0:1]
	s_or_b32 s11, vcc_lo, s11
	s_delay_alu instid0(SALU_CYCLE_1)
	s_and_not1_b32 exec_lo, exec_lo, s11
	s_cbranch_execnz .LBB1_98
.LBB1_99:                               ;   in Loop: Header=BB1_31 Depth=1
	s_or_b32 exec_lo, exec_lo, s10
	global_load_b64 v[0:1], v31, s[2:3] offset:16
	s_mov_b32 s11, exec_lo
	s_mov_b32 s10, exec_lo
	v_mbcnt_lo_u32_b32 v2, s11, 0
	s_wait_xcnt 0x0
	s_delay_alu instid0(VALU_DEP_1)
	v_cmpx_eq_u32_e32 0, v2
	s_cbranch_execz .LBB1_101
; %bb.100:                              ;   in Loop: Header=BB1_31 Depth=1
	s_bcnt1_i32_b32 s11, s11
	s_delay_alu instid0(SALU_CYCLE_1)
	v_dual_mov_b32 v3, v31 :: v_dual_mov_b32 v2, s11
	global_wb scope:SCOPE_SYS
	s_wait_loadcnt 0x0
	s_wait_storecnt 0x0
	global_atomic_add_u64 v[0:1], v[2:3], off offset:8 scope:SCOPE_SYS
.LBB1_101:                              ;   in Loop: Header=BB1_31 Depth=1
	s_wait_xcnt 0x0
	s_or_b32 exec_lo, exec_lo, s10
	s_wait_loadcnt 0x0
	global_load_b64 v[2:3], v[0:1], off offset:16
	s_wait_loadcnt 0x0
	v_cmp_eq_u64_e32 vcc_lo, 0, v[2:3]
	s_cbranch_vccnz .LBB1_103
; %bb.102:                              ;   in Loop: Header=BB1_31 Depth=1
	global_load_b32 v0, v[0:1], off offset:24
	s_wait_xcnt 0x0
	v_mov_b32_e32 v1, v31
	s_wait_loadcnt 0x0
	v_readfirstlane_b32 s10, v0
	global_wb scope:SCOPE_SYS
	s_wait_storecnt 0x0
	global_store_b64 v[2:3], v[0:1], off scope:SCOPE_SYS
	s_and_b32 m0, s10, 0xffffff
	s_sendmsg sendmsg(MSG_INTERRUPT)
.LBB1_103:                              ;   in Loop: Header=BB1_31 Depth=1
	s_wait_xcnt 0x0
	s_or_b32 exec_lo, exec_lo, s1
	v_add_nc_u64_e32 v[0:1], v[8:9], v[30:31]
	s_branch .LBB1_107
.LBB1_104:                              ;   in Loop: Header=BB1_107 Depth=2
	s_wait_xcnt 0x0
	s_or_b32 exec_lo, exec_lo, s1
	s_delay_alu instid0(VALU_DEP_1)
	v_readfirstlane_b32 s1, v2
	s_cmp_eq_u32 s1, 0
	s_cbranch_scc1 .LBB1_106
; %bb.105:                              ;   in Loop: Header=BB1_107 Depth=2
	s_sleep 1
	s_cbranch_execnz .LBB1_107
	s_branch .LBB1_109
.LBB1_106:                              ;   in Loop: Header=BB1_31 Depth=1
	s_branch .LBB1_109
.LBB1_107:                              ;   Parent Loop BB1_31 Depth=1
                                        ; =>  This Inner Loop Header: Depth=2
	v_mov_b32_e32 v2, 1
	s_and_saveexec_b32 s1, s0
	s_cbranch_execz .LBB1_104
; %bb.108:                              ;   in Loop: Header=BB1_107 Depth=2
	global_load_b32 v2, v[36:37], off offset:20 scope:SCOPE_SYS
	s_wait_loadcnt 0x0
	global_inv scope:SCOPE_SYS
	v_and_b32_e32 v2, 1, v2
	s_branch .LBB1_104
.LBB1_109:                              ;   in Loop: Header=BB1_31 Depth=1
	global_load_b64 v[0:1], v[0:1], off
	s_wait_xcnt 0x0
	s_and_saveexec_b32 s10, s0
	s_cbranch_execz .LBB1_30
; %bb.110:                              ;   in Loop: Header=BB1_31 Depth=1
	s_clause 0x2
	global_load_b64 v[2:3], v31, s[2:3] offset:40
	global_load_b64 v[16:17], v31, s[2:3] offset:24 scope:SCOPE_SYS
	global_load_b64 v[8:9], v31, s[2:3]
	s_wait_loadcnt 0x2
	v_readfirstlane_b32 s12, v2
	v_readfirstlane_b32 s13, v3
	s_add_nc_u64 s[0:1], s[12:13], 1
	s_delay_alu instid0(SALU_CYCLE_1) | instskip(NEXT) | instid1(SALU_CYCLE_1)
	s_add_nc_u64 s[4:5], s[0:1], s[4:5]
	s_cmp_eq_u64 s[4:5], 0
	s_cselect_b32 s1, s1, s5
	s_cselect_b32 s0, s0, s4
	s_delay_alu instid0(SALU_CYCLE_1) | instskip(SKIP_1) | instid1(SALU_CYCLE_1)
	v_dual_mov_b32 v15, s1 :: v_dual_mov_b32 v14, s0
	s_and_b64 s[4:5], s[0:1], s[12:13]
	s_mul_u64 s[4:5], s[4:5], 24
	s_wait_loadcnt 0x0
	v_add_nc_u64_e32 v[2:3], s[4:5], v[8:9]
	global_store_b64 v[2:3], v[16:17], off
	global_wb scope:SCOPE_SYS
	s_wait_storecnt 0x0
	s_wait_xcnt 0x0
	global_atomic_cmpswap_b64 v[14:15], v31, v[14:17], s[2:3] offset:24 th:TH_ATOMIC_RETURN scope:SCOPE_SYS
	s_wait_loadcnt 0x0
	v_cmp_ne_u64_e32 vcc_lo, v[14:15], v[16:17]
	s_and_b32 exec_lo, exec_lo, vcc_lo
	s_cbranch_execz .LBB1_30
; %bb.111:                              ;   in Loop: Header=BB1_31 Depth=1
	s_mov_b32 s4, 0
.LBB1_112:                              ;   Parent Loop BB1_31 Depth=1
                                        ; =>  This Inner Loop Header: Depth=2
	v_dual_mov_b32 v12, s0 :: v_dual_mov_b32 v13, s1
	s_sleep 1
	global_store_b64 v[2:3], v[14:15], off
	global_wb scope:SCOPE_SYS
	s_wait_storecnt 0x0
	s_wait_xcnt 0x0
	global_atomic_cmpswap_b64 v[8:9], v31, v[12:15], s[2:3] offset:24 th:TH_ATOMIC_RETURN scope:SCOPE_SYS
	s_wait_loadcnt 0x0
	v_cmp_eq_u64_e32 vcc_lo, v[8:9], v[14:15]
	v_mov_b64_e32 v[14:15], v[8:9]
	s_or_b32 s4, vcc_lo, s4
	s_delay_alu instid0(SALU_CYCLE_1)
	s_and_not1_b32 exec_lo, exec_lo, s4
	s_cbranch_execnz .LBB1_112
	s_branch .LBB1_30
.LBB1_113:
                                        ; implicit-def: $vgpr0_vgpr1
	s_cbranch_execnz .LBB1_193
.LBB1_114:
	s_get_pc_i64 s[4:5]
	s_add_nc_u64 s[4:5], s[4:5], .str.4@rel64+4
	s_delay_alu instid0(SALU_CYCLE_1)
	s_cmp_lg_u64 s[4:5], 0
	s_cbranch_scc0 .LBB1_221
.LBB1_115:
	v_mov_b64_e32 v[12:13], 0x100000002
	s_get_pc_i64 s[0:1]
	s_add_nc_u64 s[0:1], s[0:1], .str.4@rel64+80
	s_wait_loadcnt 0x0
	v_dual_mov_b32 v11, 0 :: v_dual_bitop2_b32 v2, 2, v0 bitop3:0x40
	v_dual_mov_b32 v7, v1 :: v_dual_bitop2_b32 v6, -3, v0 bitop3:0x40
	s_sub_co_i32 s6, s0, s4
	s_delay_alu instid0(SALU_CYCLE_1)
	s_ashr_i32 s7, s6, 31
	s_branch .LBB1_117
.LBB1_116:                              ;   in Loop: Header=BB1_117 Depth=1
	s_or_b32 exec_lo, exec_lo, s14
	s_sub_nc_u64 s[6:7], s[6:7], s[10:11]
	s_add_nc_u64 s[4:5], s[4:5], s[10:11]
	s_cmp_lg_u64 s[6:7], 0
	s_cbranch_scc0 .LBB1_215
.LBB1_117:                              ; =>This Loop Header: Depth=1
                                        ;     Child Loop BB1_120 Depth 2
                                        ;     Child Loop BB1_127 Depth 2
	;; [unrolled: 1-line block ×11, first 2 shown]
	v_min_u64 v[8:9], s[6:7], 56
	v_cmp_gt_u64_e64 s0, s[6:7], 7
	s_and_b32 vcc_lo, exec_lo, s0
	v_readfirstlane_b32 s10, v8
	v_readfirstlane_b32 s11, v9
	s_cbranch_vccnz .LBB1_122
; %bb.118:                              ;   in Loop: Header=BB1_117 Depth=1
	v_mov_b64_e32 v[8:9], 0
	s_cmp_eq_u64 s[6:7], 0
	s_cbranch_scc1 .LBB1_121
; %bb.119:                              ;   in Loop: Header=BB1_117 Depth=1
	s_mov_b64 s[0:1], 0
	s_mov_b64 s[12:13], 0
.LBB1_120:                              ;   Parent Loop BB1_117 Depth=1
                                        ; =>  This Inner Loop Header: Depth=2
	s_wait_xcnt 0x0
	s_add_nc_u64 s[14:15], s[4:5], s[12:13]
	s_add_nc_u64 s[12:13], s[12:13], 1
	global_load_u8 v3, v11, s[14:15]
	s_cmp_lg_u32 s10, s12
	s_wait_loadcnt 0x0
	v_and_b32_e32 v10, 0xffff, v3
	s_delay_alu instid0(VALU_DEP_1) | instskip(SKIP_1) | instid1(VALU_DEP_1)
	v_lshlrev_b64_e32 v[14:15], s0, v[10:11]
	s_add_nc_u64 s[0:1], s[0:1], 8
	v_or_b32_e32 v8, v14, v8
	s_delay_alu instid0(VALU_DEP_2)
	v_or_b32_e32 v9, v15, v9
	s_cbranch_scc1 .LBB1_120
.LBB1_121:                              ;   in Loop: Header=BB1_117 Depth=1
	s_mov_b64 s[12:13], s[4:5]
	s_mov_b32 s16, 0
	s_cbranch_execz .LBB1_123
	s_branch .LBB1_124
.LBB1_122:                              ;   in Loop: Header=BB1_117 Depth=1
	s_add_nc_u64 s[12:13], s[4:5], 8
	s_mov_b32 s16, 0
.LBB1_123:                              ;   in Loop: Header=BB1_117 Depth=1
	global_load_b64 v[8:9], v11, s[4:5]
	s_add_co_i32 s16, s10, -8
.LBB1_124:                              ;   in Loop: Header=BB1_117 Depth=1
	s_delay_alu instid0(SALU_CYCLE_1)
	s_cmp_gt_u32 s16, 7
	s_cbranch_scc1 .LBB1_129
; %bb.125:                              ;   in Loop: Header=BB1_117 Depth=1
	v_mov_b64_e32 v[14:15], 0
	s_cmp_eq_u32 s16, 0
	s_cbranch_scc1 .LBB1_128
; %bb.126:                              ;   in Loop: Header=BB1_117 Depth=1
	s_mov_b64 s[0:1], 0
	s_wait_xcnt 0x0
	s_mov_b64 s[14:15], 0
.LBB1_127:                              ;   Parent Loop BB1_117 Depth=1
                                        ; =>  This Inner Loop Header: Depth=2
	s_wait_xcnt 0x0
	s_add_nc_u64 s[18:19], s[12:13], s[14:15]
	s_add_nc_u64 s[14:15], s[14:15], 1
	global_load_u8 v3, v11, s[18:19]
	s_cmp_lg_u32 s16, s14
	s_wait_loadcnt 0x0
	v_and_b32_e32 v10, 0xffff, v3
	s_delay_alu instid0(VALU_DEP_1) | instskip(SKIP_1) | instid1(VALU_DEP_1)
	v_lshlrev_b64_e32 v[16:17], s0, v[10:11]
	s_add_nc_u64 s[0:1], s[0:1], 8
	v_or_b32_e32 v14, v16, v14
	s_delay_alu instid0(VALU_DEP_2)
	v_or_b32_e32 v15, v17, v15
	s_cbranch_scc1 .LBB1_127
.LBB1_128:                              ;   in Loop: Header=BB1_117 Depth=1
	s_wait_xcnt 0x0
	s_mov_b64 s[0:1], s[12:13]
	s_mov_b32 s17, 0
	s_cbranch_execz .LBB1_130
	s_branch .LBB1_131
.LBB1_129:                              ;   in Loop: Header=BB1_117 Depth=1
	s_add_nc_u64 s[0:1], s[12:13], 8
	s_wait_xcnt 0x0
                                        ; implicit-def: $vgpr14_vgpr15
	s_mov_b32 s17, 0
.LBB1_130:                              ;   in Loop: Header=BB1_117 Depth=1
	global_load_b64 v[14:15], v11, s[12:13]
	s_add_co_i32 s17, s16, -8
.LBB1_131:                              ;   in Loop: Header=BB1_117 Depth=1
	s_delay_alu instid0(SALU_CYCLE_1)
	s_cmp_gt_u32 s17, 7
	s_cbranch_scc1 .LBB1_136
; %bb.132:                              ;   in Loop: Header=BB1_117 Depth=1
	v_mov_b64_e32 v[16:17], 0
	s_cmp_eq_u32 s17, 0
	s_cbranch_scc1 .LBB1_135
; %bb.133:                              ;   in Loop: Header=BB1_117 Depth=1
	s_wait_xcnt 0x0
	s_mov_b64 s[12:13], 0
	s_mov_b64 s[14:15], 0
.LBB1_134:                              ;   Parent Loop BB1_117 Depth=1
                                        ; =>  This Inner Loop Header: Depth=2
	s_wait_xcnt 0x0
	s_add_nc_u64 s[18:19], s[0:1], s[14:15]
	s_add_nc_u64 s[14:15], s[14:15], 1
	global_load_u8 v3, v11, s[18:19]
	s_cmp_lg_u32 s17, s14
	s_wait_loadcnt 0x0
	v_and_b32_e32 v10, 0xffff, v3
	s_delay_alu instid0(VALU_DEP_1) | instskip(SKIP_1) | instid1(VALU_DEP_1)
	v_lshlrev_b64_e32 v[18:19], s12, v[10:11]
	s_add_nc_u64 s[12:13], s[12:13], 8
	v_or_b32_e32 v16, v18, v16
	s_delay_alu instid0(VALU_DEP_2)
	v_or_b32_e32 v17, v19, v17
	s_cbranch_scc1 .LBB1_134
.LBB1_135:                              ;   in Loop: Header=BB1_117 Depth=1
	s_wait_xcnt 0x0
	s_mov_b64 s[12:13], s[0:1]
	s_mov_b32 s16, 0
	s_cbranch_execz .LBB1_137
	s_branch .LBB1_138
.LBB1_136:                              ;   in Loop: Header=BB1_117 Depth=1
	s_wait_xcnt 0x0
	s_add_nc_u64 s[12:13], s[0:1], 8
	s_mov_b32 s16, 0
.LBB1_137:                              ;   in Loop: Header=BB1_117 Depth=1
	global_load_b64 v[16:17], v11, s[0:1]
	s_add_co_i32 s16, s17, -8
.LBB1_138:                              ;   in Loop: Header=BB1_117 Depth=1
	s_delay_alu instid0(SALU_CYCLE_1)
	s_cmp_gt_u32 s16, 7
	s_cbranch_scc1 .LBB1_143
; %bb.139:                              ;   in Loop: Header=BB1_117 Depth=1
	v_mov_b64_e32 v[18:19], 0
	s_cmp_eq_u32 s16, 0
	s_cbranch_scc1 .LBB1_142
; %bb.140:                              ;   in Loop: Header=BB1_117 Depth=1
	s_wait_xcnt 0x0
	s_mov_b64 s[0:1], 0
	s_mov_b64 s[14:15], 0
.LBB1_141:                              ;   Parent Loop BB1_117 Depth=1
                                        ; =>  This Inner Loop Header: Depth=2
	s_wait_xcnt 0x0
	s_add_nc_u64 s[18:19], s[12:13], s[14:15]
	s_add_nc_u64 s[14:15], s[14:15], 1
	global_load_u8 v3, v11, s[18:19]
	s_cmp_lg_u32 s16, s14
	s_wait_loadcnt 0x0
	v_and_b32_e32 v10, 0xffff, v3
	s_delay_alu instid0(VALU_DEP_1) | instskip(SKIP_1) | instid1(VALU_DEP_1)
	v_lshlrev_b64_e32 v[20:21], s0, v[10:11]
	s_add_nc_u64 s[0:1], s[0:1], 8
	v_or_b32_e32 v18, v20, v18
	s_delay_alu instid0(VALU_DEP_2)
	v_or_b32_e32 v19, v21, v19
	s_cbranch_scc1 .LBB1_141
.LBB1_142:                              ;   in Loop: Header=BB1_117 Depth=1
	s_wait_xcnt 0x0
	s_mov_b64 s[0:1], s[12:13]
	s_mov_b32 s17, 0
	s_cbranch_execz .LBB1_144
	s_branch .LBB1_145
.LBB1_143:                              ;   in Loop: Header=BB1_117 Depth=1
	s_wait_xcnt 0x0
	s_add_nc_u64 s[0:1], s[12:13], 8
                                        ; implicit-def: $vgpr18_vgpr19
	s_mov_b32 s17, 0
.LBB1_144:                              ;   in Loop: Header=BB1_117 Depth=1
	global_load_b64 v[18:19], v11, s[12:13]
	s_add_co_i32 s17, s16, -8
.LBB1_145:                              ;   in Loop: Header=BB1_117 Depth=1
	s_delay_alu instid0(SALU_CYCLE_1)
	s_cmp_gt_u32 s17, 7
	s_cbranch_scc1 .LBB1_150
; %bb.146:                              ;   in Loop: Header=BB1_117 Depth=1
	v_mov_b64_e32 v[20:21], 0
	s_cmp_eq_u32 s17, 0
	s_cbranch_scc1 .LBB1_149
; %bb.147:                              ;   in Loop: Header=BB1_117 Depth=1
	s_wait_xcnt 0x0
	s_mov_b64 s[12:13], 0
	s_mov_b64 s[14:15], 0
.LBB1_148:                              ;   Parent Loop BB1_117 Depth=1
                                        ; =>  This Inner Loop Header: Depth=2
	s_wait_xcnt 0x0
	s_add_nc_u64 s[18:19], s[0:1], s[14:15]
	s_add_nc_u64 s[14:15], s[14:15], 1
	global_load_u8 v3, v11, s[18:19]
	s_cmp_lg_u32 s17, s14
	s_wait_loadcnt 0x0
	v_and_b32_e32 v10, 0xffff, v3
	s_delay_alu instid0(VALU_DEP_1) | instskip(SKIP_1) | instid1(VALU_DEP_1)
	v_lshlrev_b64_e32 v[22:23], s12, v[10:11]
	s_add_nc_u64 s[12:13], s[12:13], 8
	v_or_b32_e32 v20, v22, v20
	s_delay_alu instid0(VALU_DEP_2)
	v_or_b32_e32 v21, v23, v21
	s_cbranch_scc1 .LBB1_148
.LBB1_149:                              ;   in Loop: Header=BB1_117 Depth=1
	s_wait_xcnt 0x0
	s_mov_b64 s[12:13], s[0:1]
	s_mov_b32 s16, 0
	s_cbranch_execz .LBB1_151
	s_branch .LBB1_152
.LBB1_150:                              ;   in Loop: Header=BB1_117 Depth=1
	s_wait_xcnt 0x0
	s_add_nc_u64 s[12:13], s[0:1], 8
	s_mov_b32 s16, 0
.LBB1_151:                              ;   in Loop: Header=BB1_117 Depth=1
	global_load_b64 v[20:21], v11, s[0:1]
	s_add_co_i32 s16, s17, -8
.LBB1_152:                              ;   in Loop: Header=BB1_117 Depth=1
	s_delay_alu instid0(SALU_CYCLE_1)
	s_cmp_gt_u32 s16, 7
	s_cbranch_scc1 .LBB1_157
; %bb.153:                              ;   in Loop: Header=BB1_117 Depth=1
	v_mov_b64_e32 v[22:23], 0
	s_cmp_eq_u32 s16, 0
	s_cbranch_scc1 .LBB1_156
; %bb.154:                              ;   in Loop: Header=BB1_117 Depth=1
	s_wait_xcnt 0x0
	s_mov_b64 s[0:1], 0
	s_mov_b64 s[14:15], 0
.LBB1_155:                              ;   Parent Loop BB1_117 Depth=1
                                        ; =>  This Inner Loop Header: Depth=2
	s_wait_xcnt 0x0
	s_add_nc_u64 s[18:19], s[12:13], s[14:15]
	s_add_nc_u64 s[14:15], s[14:15], 1
	global_load_u8 v3, v11, s[18:19]
	s_cmp_lg_u32 s16, s14
	s_wait_loadcnt 0x0
	v_and_b32_e32 v10, 0xffff, v3
	s_delay_alu instid0(VALU_DEP_1) | instskip(SKIP_1) | instid1(VALU_DEP_1)
	v_lshlrev_b64_e32 v[24:25], s0, v[10:11]
	s_add_nc_u64 s[0:1], s[0:1], 8
	v_or_b32_e32 v22, v24, v22
	s_delay_alu instid0(VALU_DEP_2)
	v_or_b32_e32 v23, v25, v23
	s_cbranch_scc1 .LBB1_155
.LBB1_156:                              ;   in Loop: Header=BB1_117 Depth=1
	s_wait_xcnt 0x0
	s_mov_b64 s[0:1], s[12:13]
	s_mov_b32 s17, 0
	s_cbranch_execz .LBB1_158
	s_branch .LBB1_159
.LBB1_157:                              ;   in Loop: Header=BB1_117 Depth=1
	s_wait_xcnt 0x0
	s_add_nc_u64 s[0:1], s[12:13], 8
                                        ; implicit-def: $vgpr22_vgpr23
	s_mov_b32 s17, 0
.LBB1_158:                              ;   in Loop: Header=BB1_117 Depth=1
	global_load_b64 v[22:23], v11, s[12:13]
	s_add_co_i32 s17, s16, -8
.LBB1_159:                              ;   in Loop: Header=BB1_117 Depth=1
	s_delay_alu instid0(SALU_CYCLE_1)
	s_cmp_gt_u32 s17, 7
	s_cbranch_scc1 .LBB1_164
; %bb.160:                              ;   in Loop: Header=BB1_117 Depth=1
	v_mov_b64_e32 v[24:25], 0
	s_cmp_eq_u32 s17, 0
	s_cbranch_scc1 .LBB1_163
; %bb.161:                              ;   in Loop: Header=BB1_117 Depth=1
	s_wait_xcnt 0x0
	s_mov_b64 s[12:13], 0
	s_mov_b64 s[14:15], s[0:1]
.LBB1_162:                              ;   Parent Loop BB1_117 Depth=1
                                        ; =>  This Inner Loop Header: Depth=2
	global_load_u8 v3, v11, s[14:15]
	s_add_co_i32 s17, s17, -1
	s_wait_xcnt 0x0
	s_add_nc_u64 s[14:15], s[14:15], 1
	s_cmp_lg_u32 s17, 0
	s_wait_loadcnt 0x0
	v_and_b32_e32 v10, 0xffff, v3
	s_delay_alu instid0(VALU_DEP_1) | instskip(SKIP_1) | instid1(VALU_DEP_1)
	v_lshlrev_b64_e32 v[26:27], s12, v[10:11]
	s_add_nc_u64 s[12:13], s[12:13], 8
	v_or_b32_e32 v24, v26, v24
	s_delay_alu instid0(VALU_DEP_2)
	v_or_b32_e32 v25, v27, v25
	s_cbranch_scc1 .LBB1_162
.LBB1_163:                              ;   in Loop: Header=BB1_117 Depth=1
	s_wait_xcnt 0x0
	s_cbranch_execz .LBB1_165
	s_branch .LBB1_166
.LBB1_164:                              ;   in Loop: Header=BB1_117 Depth=1
	s_wait_xcnt 0x0
.LBB1_165:                              ;   in Loop: Header=BB1_117 Depth=1
	global_load_b64 v[24:25], v11, s[0:1]
.LBB1_166:                              ;   in Loop: Header=BB1_117 Depth=1
	s_wait_xcnt 0x0
	v_readfirstlane_b32 s0, v48
	v_mov_b64_e32 v[32:33], 0
	s_delay_alu instid0(VALU_DEP_2)
	v_cmp_eq_u32_e64 s0, s0, v48
	s_and_saveexec_b32 s1, s0
	s_cbranch_execz .LBB1_172
; %bb.167:                              ;   in Loop: Header=BB1_117 Depth=1
	global_load_b64 v[28:29], v11, s[2:3] offset:24 scope:SCOPE_SYS
	s_wait_loadcnt 0x0
	global_inv scope:SCOPE_SYS
	s_clause 0x1
	global_load_b64 v[26:27], v11, s[2:3] offset:40
	global_load_b64 v[32:33], v11, s[2:3]
	s_mov_b32 s12, exec_lo
	s_wait_loadcnt 0x1
	v_and_b32_e32 v26, v26, v28
	v_and_b32_e32 v27, v27, v29
	s_delay_alu instid0(VALU_DEP_1) | instskip(SKIP_1) | instid1(VALU_DEP_1)
	v_mul_u64_e32 v[26:27], 24, v[26:27]
	s_wait_loadcnt 0x0
	v_add_nc_u64_e32 v[26:27], v[32:33], v[26:27]
	global_load_b64 v[26:27], v[26:27], off scope:SCOPE_SYS
	s_wait_xcnt 0x0
	s_wait_loadcnt 0x0
	global_atomic_cmpswap_b64 v[32:33], v11, v[26:29], s[2:3] offset:24 th:TH_ATOMIC_RETURN scope:SCOPE_SYS
	s_wait_loadcnt 0x0
	global_inv scope:SCOPE_SYS
	s_wait_xcnt 0x0
	v_cmpx_ne_u64_e64 v[32:33], v[28:29]
	s_cbranch_execz .LBB1_171
; %bb.168:                              ;   in Loop: Header=BB1_117 Depth=1
	s_mov_b32 s13, 0
.LBB1_169:                              ;   Parent Loop BB1_117 Depth=1
                                        ; =>  This Inner Loop Header: Depth=2
	s_sleep 1
	s_clause 0x1
	global_load_b64 v[26:27], v11, s[2:3] offset:40
	global_load_b64 v[34:35], v11, s[2:3]
	v_mov_b64_e32 v[28:29], v[32:33]
	s_wait_loadcnt 0x1
	s_delay_alu instid0(VALU_DEP_1) | instskip(SKIP_1) | instid1(VALU_DEP_1)
	v_and_b32_e32 v3, v26, v28
	s_wait_loadcnt 0x0
	v_mad_nc_u64_u32 v[32:33], v3, 24, v[34:35]
	s_delay_alu instid0(VALU_DEP_3) | instskip(NEXT) | instid1(VALU_DEP_1)
	v_and_b32_e32 v3, v27, v29
	v_mad_u32 v33, v3, 24, v33
	global_load_b64 v[26:27], v[32:33], off scope:SCOPE_SYS
	s_wait_xcnt 0x0
	s_wait_loadcnt 0x0
	global_atomic_cmpswap_b64 v[32:33], v11, v[26:29], s[2:3] offset:24 th:TH_ATOMIC_RETURN scope:SCOPE_SYS
	s_wait_loadcnt 0x0
	global_inv scope:SCOPE_SYS
	v_cmp_eq_u64_e32 vcc_lo, v[32:33], v[28:29]
	s_or_b32 s13, vcc_lo, s13
	s_wait_xcnt 0x0
	s_and_not1_b32 exec_lo, exec_lo, s13
	s_cbranch_execnz .LBB1_169
; %bb.170:                              ;   in Loop: Header=BB1_117 Depth=1
	s_or_b32 exec_lo, exec_lo, s13
.LBB1_171:                              ;   in Loop: Header=BB1_117 Depth=1
	s_delay_alu instid0(SALU_CYCLE_1)
	s_or_b32 exec_lo, exec_lo, s12
.LBB1_172:                              ;   in Loop: Header=BB1_117 Depth=1
	s_delay_alu instid0(SALU_CYCLE_1)
	s_or_b32 exec_lo, exec_lo, s1
	s_clause 0x1
	global_load_b64 v[34:35], v11, s[2:3] offset:40
	global_load_b128 v[26:29], v11, s[2:3]
	v_readfirstlane_b32 s12, v32
	v_readfirstlane_b32 s13, v33
	s_mov_b32 s1, exec_lo
	s_wait_loadcnt 0x1
	v_and_b32_e32 v34, s12, v34
	v_and_b32_e32 v35, s13, v35
	s_delay_alu instid0(VALU_DEP_1) | instskip(SKIP_1) | instid1(VALU_DEP_1)
	v_mul_u64_e32 v[32:33], 24, v[34:35]
	s_wait_loadcnt 0x0
	v_add_nc_u64_e32 v[32:33], v[26:27], v[32:33]
	s_wait_xcnt 0x0
	s_and_saveexec_b32 s14, s0
	s_cbranch_execz .LBB1_174
; %bb.173:                              ;   in Loop: Header=BB1_117 Depth=1
	v_mov_b32_e32 v10, s1
	global_store_b128 v[32:33], v[10:13], off offset:8
.LBB1_174:                              ;   in Loop: Header=BB1_117 Depth=1
	s_wait_xcnt 0x0
	s_or_b32 exec_lo, exec_lo, s14
	v_cmp_lt_u64_e64 vcc_lo, s[6:7], 57
	v_lshlrev_b64_e32 v[34:35], 12, v[34:35]
	v_and_b32_e32 v6, 0xffffff1f, v6
	s_lshl_b32 s1, s10, 2
	s_delay_alu instid0(SALU_CYCLE_1) | instskip(SKIP_1) | instid1(VALU_DEP_3)
	s_add_co_i32 s1, s1, 28
	v_cndmask_b32_e32 v3, 0, v2, vcc_lo
	v_add_nc_u64_e32 v[28:29], v[28:29], v[34:35]
	s_delay_alu instid0(VALU_DEP_2) | instskip(NEXT) | instid1(VALU_DEP_2)
	v_or_b32_e32 v3, v6, v3
	v_readfirstlane_b32 s14, v28
	s_delay_alu instid0(VALU_DEP_3) | instskip(NEXT) | instid1(VALU_DEP_3)
	v_readfirstlane_b32 s15, v29
	v_and_or_b32 v6, 0x1e0, s1, v3
	s_clause 0x3
	global_store_b128 v30, v[6:9], s[14:15]
	global_store_b128 v30, v[14:17], s[14:15] offset:16
	global_store_b128 v30, v[18:21], s[14:15] offset:32
	;; [unrolled: 1-line block ×3, first 2 shown]
	s_wait_xcnt 0x0
	s_and_saveexec_b32 s1, s0
	s_cbranch_execz .LBB1_182
; %bb.175:                              ;   in Loop: Header=BB1_117 Depth=1
	s_clause 0x1
	global_load_b64 v[18:19], v11, s[2:3] offset:32 scope:SCOPE_SYS
	global_load_b64 v[6:7], v11, s[2:3] offset:40
	s_mov_b32 s14, exec_lo
	v_dual_mov_b32 v16, s12 :: v_dual_mov_b32 v17, s13
	s_wait_loadcnt 0x0
	v_and_b32_e32 v7, s13, v7
	v_and_b32_e32 v6, s12, v6
	s_delay_alu instid0(VALU_DEP_1) | instskip(NEXT) | instid1(VALU_DEP_1)
	v_mul_u64_e32 v[6:7], 24, v[6:7]
	v_add_nc_u64_e32 v[14:15], v[26:27], v[6:7]
	global_store_b64 v[14:15], v[18:19], off
	global_wb scope:SCOPE_SYS
	s_wait_storecnt 0x0
	s_wait_xcnt 0x0
	global_atomic_cmpswap_b64 v[8:9], v11, v[16:19], s[2:3] offset:32 th:TH_ATOMIC_RETURN scope:SCOPE_SYS
	s_wait_loadcnt 0x0
	v_cmpx_ne_u64_e64 v[8:9], v[18:19]
	s_cbranch_execz .LBB1_178
; %bb.176:                              ;   in Loop: Header=BB1_117 Depth=1
	s_mov_b32 s15, 0
.LBB1_177:                              ;   Parent Loop BB1_117 Depth=1
                                        ; =>  This Inner Loop Header: Depth=2
	v_dual_mov_b32 v6, s12 :: v_dual_mov_b32 v7, s13
	s_sleep 1
	global_store_b64 v[14:15], v[8:9], off
	global_wb scope:SCOPE_SYS
	s_wait_storecnt 0x0
	s_wait_xcnt 0x0
	global_atomic_cmpswap_b64 v[6:7], v11, v[6:9], s[2:3] offset:32 th:TH_ATOMIC_RETURN scope:SCOPE_SYS
	s_wait_loadcnt 0x0
	v_cmp_eq_u64_e32 vcc_lo, v[6:7], v[8:9]
	v_mov_b64_e32 v[8:9], v[6:7]
	s_or_b32 s15, vcc_lo, s15
	s_delay_alu instid0(SALU_CYCLE_1)
	s_and_not1_b32 exec_lo, exec_lo, s15
	s_cbranch_execnz .LBB1_177
.LBB1_178:                              ;   in Loop: Header=BB1_117 Depth=1
	s_or_b32 exec_lo, exec_lo, s14
	global_load_b64 v[6:7], v11, s[2:3] offset:16
	s_mov_b32 s15, exec_lo
	s_mov_b32 s14, exec_lo
	v_mbcnt_lo_u32_b32 v3, s15, 0
	s_wait_xcnt 0x0
	s_delay_alu instid0(VALU_DEP_1)
	v_cmpx_eq_u32_e32 0, v3
	s_cbranch_execz .LBB1_180
; %bb.179:                              ;   in Loop: Header=BB1_117 Depth=1
	s_bcnt1_i32_b32 s15, s15
	s_delay_alu instid0(SALU_CYCLE_1)
	v_mov_b32_e32 v10, s15
	global_wb scope:SCOPE_SYS
	s_wait_loadcnt 0x0
	s_wait_storecnt 0x0
	global_atomic_add_u64 v[6:7], v[10:11], off offset:8 scope:SCOPE_SYS
.LBB1_180:                              ;   in Loop: Header=BB1_117 Depth=1
	s_wait_xcnt 0x0
	s_or_b32 exec_lo, exec_lo, s14
	s_wait_loadcnt 0x0
	global_load_b64 v[8:9], v[6:7], off offset:16
	s_wait_loadcnt 0x0
	v_cmp_eq_u64_e32 vcc_lo, 0, v[8:9]
	s_cbranch_vccnz .LBB1_182
; %bb.181:                              ;   in Loop: Header=BB1_117 Depth=1
	global_load_b32 v10, v[6:7], off offset:24
	s_wait_loadcnt 0x0
	v_readfirstlane_b32 s14, v10
	global_wb scope:SCOPE_SYS
	s_wait_storecnt 0x0
	s_wait_xcnt 0x0
	global_store_b64 v[8:9], v[10:11], off scope:SCOPE_SYS
	s_and_b32 m0, s14, 0xffffff
	s_sendmsg sendmsg(MSG_INTERRUPT)
.LBB1_182:                              ;   in Loop: Header=BB1_117 Depth=1
	s_wait_xcnt 0x0
	s_or_b32 exec_lo, exec_lo, s1
	v_mov_b32_e32 v31, v11
	s_delay_alu instid0(VALU_DEP_1)
	v_add_nc_u64_e32 v[6:7], v[28:29], v[30:31]
	s_branch .LBB1_186
.LBB1_183:                              ;   in Loop: Header=BB1_186 Depth=2
	s_wait_xcnt 0x0
	s_or_b32 exec_lo, exec_lo, s1
	s_delay_alu instid0(VALU_DEP_1)
	v_readfirstlane_b32 s1, v3
	s_cmp_eq_u32 s1, 0
	s_cbranch_scc1 .LBB1_185
; %bb.184:                              ;   in Loop: Header=BB1_186 Depth=2
	s_sleep 1
	s_cbranch_execnz .LBB1_186
	s_branch .LBB1_188
.LBB1_185:                              ;   in Loop: Header=BB1_117 Depth=1
	s_branch .LBB1_188
.LBB1_186:                              ;   Parent Loop BB1_117 Depth=1
                                        ; =>  This Inner Loop Header: Depth=2
	v_mov_b32_e32 v3, 1
	s_and_saveexec_b32 s1, s0
	s_cbranch_execz .LBB1_183
; %bb.187:                              ;   in Loop: Header=BB1_186 Depth=2
	global_load_b32 v3, v[32:33], off offset:20 scope:SCOPE_SYS
	s_wait_loadcnt 0x0
	global_inv scope:SCOPE_SYS
	v_and_b32_e32 v3, 1, v3
	s_branch .LBB1_183
.LBB1_188:                              ;   in Loop: Header=BB1_117 Depth=1
	global_load_b64 v[6:7], v[6:7], off
	s_wait_xcnt 0x0
	s_and_saveexec_b32 s14, s0
	s_cbranch_execz .LBB1_116
; %bb.189:                              ;   in Loop: Header=BB1_117 Depth=1
	s_clause 0x2
	global_load_b64 v[8:9], v11, s[2:3] offset:40
	global_load_b64 v[18:19], v11, s[2:3] offset:24 scope:SCOPE_SYS
	global_load_b64 v[14:15], v11, s[2:3]
	s_wait_loadcnt 0x2
	v_readfirstlane_b32 s16, v8
	v_readfirstlane_b32 s17, v9
	s_add_nc_u64 s[0:1], s[16:17], 1
	s_delay_alu instid0(SALU_CYCLE_1) | instskip(NEXT) | instid1(SALU_CYCLE_1)
	s_add_nc_u64 s[12:13], s[0:1], s[12:13]
	s_cmp_eq_u64 s[12:13], 0
	s_cselect_b32 s1, s1, s13
	s_cselect_b32 s0, s0, s12
	s_delay_alu instid0(SALU_CYCLE_1) | instskip(SKIP_1) | instid1(SALU_CYCLE_1)
	v_dual_mov_b32 v17, s1 :: v_dual_mov_b32 v16, s0
	s_and_b64 s[12:13], s[0:1], s[16:17]
	s_mul_u64 s[12:13], s[12:13], 24
	s_wait_loadcnt 0x0
	v_add_nc_u64_e32 v[8:9], s[12:13], v[14:15]
	global_store_b64 v[8:9], v[18:19], off
	global_wb scope:SCOPE_SYS
	s_wait_storecnt 0x0
	s_wait_xcnt 0x0
	global_atomic_cmpswap_b64 v[16:17], v11, v[16:19], s[2:3] offset:24 th:TH_ATOMIC_RETURN scope:SCOPE_SYS
	s_wait_loadcnt 0x0
	v_cmp_ne_u64_e32 vcc_lo, v[16:17], v[18:19]
	s_and_b32 exec_lo, exec_lo, vcc_lo
	s_cbranch_execz .LBB1_116
; %bb.190:                              ;   in Loop: Header=BB1_117 Depth=1
	s_mov_b32 s12, 0
.LBB1_191:                              ;   Parent Loop BB1_117 Depth=1
                                        ; =>  This Inner Loop Header: Depth=2
	v_dual_mov_b32 v14, s0 :: v_dual_mov_b32 v15, s1
	s_sleep 1
	global_store_b64 v[8:9], v[16:17], off
	global_wb scope:SCOPE_SYS
	s_wait_storecnt 0x0
	s_wait_xcnt 0x0
	global_atomic_cmpswap_b64 v[14:15], v11, v[14:17], s[2:3] offset:24 th:TH_ATOMIC_RETURN scope:SCOPE_SYS
	s_wait_loadcnt 0x0
	v_cmp_eq_u64_e32 vcc_lo, v[14:15], v[16:17]
	v_mov_b64_e32 v[16:17], v[14:15]
	s_or_b32 s12, vcc_lo, s12
	s_delay_alu instid0(SALU_CYCLE_1)
	s_and_not1_b32 exec_lo, exec_lo, s12
	s_cbranch_execnz .LBB1_191
	s_branch .LBB1_116
.LBB1_192:
	s_or_b32 exec_lo, exec_lo, s6
	s_branch .LBB1_114
.LBB1_193:
	v_readfirstlane_b32 s0, v48
	v_mov_b64_e32 v[8:9], 0
	s_delay_alu instid0(VALU_DEP_2)
	v_cmp_eq_u32_e64 s0, s0, v48
	s_and_saveexec_b32 s1, s0
	s_cbranch_execz .LBB1_199
; %bb.194:
	s_wait_loadcnt 0x0
	v_mov_b32_e32 v0, 0
	s_mov_b32 s4, exec_lo
	global_load_b64 v[10:11], v0, s[2:3] offset:24 scope:SCOPE_SYS
	s_wait_loadcnt 0x0
	global_inv scope:SCOPE_SYS
	s_clause 0x1
	global_load_b64 v[2:3], v0, s[2:3] offset:40
	global_load_b64 v[8:9], v0, s[2:3]
	s_wait_loadcnt 0x1
	v_and_b32_e32 v2, v2, v10
	v_and_b32_e32 v3, v3, v11
	s_delay_alu instid0(VALU_DEP_1) | instskip(SKIP_1) | instid1(VALU_DEP_1)
	v_mul_u64_e32 v[2:3], 24, v[2:3]
	s_wait_loadcnt 0x0
	v_add_nc_u64_e32 v[2:3], v[8:9], v[2:3]
	global_load_b64 v[8:9], v[2:3], off scope:SCOPE_SYS
	s_wait_xcnt 0x0
	s_wait_loadcnt 0x0
	global_atomic_cmpswap_b64 v[8:9], v0, v[8:11], s[2:3] offset:24 th:TH_ATOMIC_RETURN scope:SCOPE_SYS
	s_wait_loadcnt 0x0
	global_inv scope:SCOPE_SYS
	s_wait_xcnt 0x0
	v_cmpx_ne_u64_e64 v[8:9], v[10:11]
	s_cbranch_execz .LBB1_198
; %bb.195:
	s_mov_b32 s5, 0
.LBB1_196:                              ; =>This Inner Loop Header: Depth=1
	s_sleep 1
	s_clause 0x1
	global_load_b64 v[2:3], v0, s[2:3] offset:40
	global_load_b64 v[12:13], v0, s[2:3]
	v_mov_b64_e32 v[10:11], v[8:9]
	s_wait_loadcnt 0x1
	s_delay_alu instid0(VALU_DEP_1) | instskip(SKIP_1) | instid1(VALU_DEP_1)
	v_and_b32_e32 v1, v2, v10
	s_wait_loadcnt 0x0
	v_mad_nc_u64_u32 v[8:9], v1, 24, v[12:13]
	s_delay_alu instid0(VALU_DEP_3) | instskip(NEXT) | instid1(VALU_DEP_1)
	v_and_b32_e32 v1, v3, v11
	v_mad_u32 v9, v1, 24, v9
	global_load_b64 v[8:9], v[8:9], off scope:SCOPE_SYS
	s_wait_xcnt 0x0
	s_wait_loadcnt 0x0
	global_atomic_cmpswap_b64 v[8:9], v0, v[8:11], s[2:3] offset:24 th:TH_ATOMIC_RETURN scope:SCOPE_SYS
	s_wait_loadcnt 0x0
	global_inv scope:SCOPE_SYS
	v_cmp_eq_u64_e32 vcc_lo, v[8:9], v[10:11]
	s_or_b32 s5, vcc_lo, s5
	s_wait_xcnt 0x0
	s_and_not1_b32 exec_lo, exec_lo, s5
	s_cbranch_execnz .LBB1_196
; %bb.197:
	s_or_b32 exec_lo, exec_lo, s5
.LBB1_198:
	s_delay_alu instid0(SALU_CYCLE_1)
	s_or_b32 exec_lo, exec_lo, s4
.LBB1_199:
	s_delay_alu instid0(SALU_CYCLE_1)
	s_or_b32 exec_lo, exec_lo, s1
	v_readfirstlane_b32 s4, v8
	v_mov_b32_e32 v31, 0
	v_readfirstlane_b32 s5, v9
	s_mov_b32 s1, exec_lo
	global_load_b64 v[10:11], v31, s[2:3] offset:40
	s_wait_loadcnt 0x1
	global_load_b128 v[0:3], v31, s[2:3]
	s_wait_loadcnt 0x1
	v_and_b32_e32 v8, s4, v10
	v_and_b32_e32 v9, s5, v11
	s_delay_alu instid0(VALU_DEP_1) | instskip(SKIP_1) | instid1(VALU_DEP_1)
	v_mul_u64_e32 v[10:11], 24, v[8:9]
	s_wait_loadcnt 0x0
	v_add_nc_u64_e32 v[10:11], v[0:1], v[10:11]
	s_wait_xcnt 0x0
	s_and_saveexec_b32 s6, s0
	s_cbranch_execz .LBB1_201
; %bb.200:
	v_mov_b64_e32 v[14:15], 0x100000002
	v_dual_mov_b32 v12, s1 :: v_dual_mov_b32 v13, v31
	global_store_b128 v[10:11], v[12:15], off offset:8
.LBB1_201:
	s_wait_xcnt 0x0
	s_or_b32 exec_lo, exec_lo, s6
	v_lshlrev_b64_e32 v[8:9], 12, v[8:9]
	s_mov_b32 s12, 0
	v_and_or_b32 v6, 0xffffff1f, v6, 32
	s_mov_b32 s14, s12
	s_mov_b32 s15, s12
	;; [unrolled: 1-line block ×3, first 2 shown]
	v_mov_b64_e32 v[16:17], s[14:15]
	v_add_nc_u64_e32 v[12:13], v[2:3], v[8:9]
	v_mov_b64_e32 v[14:15], s[12:13]
	v_dual_mov_b32 v8, v31 :: v_dual_mov_b32 v9, v31
	s_delay_alu instid0(VALU_DEP_3) | instskip(NEXT) | instid1(VALU_DEP_4)
	v_readfirstlane_b32 s6, v12
	v_readfirstlane_b32 s7, v13
	s_clause 0x3
	global_store_b128 v30, v[6:9], s[6:7]
	global_store_b128 v30, v[14:17], s[6:7] offset:16
	global_store_b128 v30, v[14:17], s[6:7] offset:32
	;; [unrolled: 1-line block ×3, first 2 shown]
	s_wait_xcnt 0x0
	s_and_saveexec_b32 s1, s0
	s_cbranch_execz .LBB1_209
; %bb.202:
	v_dual_mov_b32 v8, 0 :: v_dual_mov_b32 v15, s5
	s_mov_b32 s6, exec_lo
	s_clause 0x1
	global_load_b64 v[16:17], v8, s[2:3] offset:32 scope:SCOPE_SYS
	global_load_b64 v[2:3], v8, s[2:3] offset:40
	s_wait_loadcnt 0x0
	v_dual_mov_b32 v14, s4 :: v_dual_bitop2_b32 v3, s5, v3 bitop3:0x40
	v_and_b32_e32 v2, s4, v2
	s_delay_alu instid0(VALU_DEP_1) | instskip(NEXT) | instid1(VALU_DEP_1)
	v_mul_u64_e32 v[2:3], 24, v[2:3]
	v_add_nc_u64_e32 v[6:7], v[0:1], v[2:3]
	global_store_b64 v[6:7], v[16:17], off
	global_wb scope:SCOPE_SYS
	s_wait_storecnt 0x0
	s_wait_xcnt 0x0
	global_atomic_cmpswap_b64 v[2:3], v8, v[14:17], s[2:3] offset:32 th:TH_ATOMIC_RETURN scope:SCOPE_SYS
	s_wait_loadcnt 0x0
	v_cmpx_ne_u64_e64 v[2:3], v[16:17]
	s_cbranch_execz .LBB1_205
; %bb.203:
	s_mov_b32 s7, 0
.LBB1_204:                              ; =>This Inner Loop Header: Depth=1
	v_dual_mov_b32 v0, s4 :: v_dual_mov_b32 v1, s5
	s_sleep 1
	global_store_b64 v[6:7], v[2:3], off
	global_wb scope:SCOPE_SYS
	s_wait_storecnt 0x0
	s_wait_xcnt 0x0
	global_atomic_cmpswap_b64 v[0:1], v8, v[0:3], s[2:3] offset:32 th:TH_ATOMIC_RETURN scope:SCOPE_SYS
	s_wait_loadcnt 0x0
	v_cmp_eq_u64_e32 vcc_lo, v[0:1], v[2:3]
	v_mov_b64_e32 v[2:3], v[0:1]
	s_or_b32 s7, vcc_lo, s7
	s_delay_alu instid0(SALU_CYCLE_1)
	s_and_not1_b32 exec_lo, exec_lo, s7
	s_cbranch_execnz .LBB1_204
.LBB1_205:
	s_or_b32 exec_lo, exec_lo, s6
	v_mov_b32_e32 v3, 0
	s_mov_b32 s7, exec_lo
	s_mov_b32 s6, exec_lo
	v_mbcnt_lo_u32_b32 v2, s7, 0
	global_load_b64 v[0:1], v3, s[2:3] offset:16
	s_wait_xcnt 0x0
	v_cmpx_eq_u32_e32 0, v2
	s_cbranch_execz .LBB1_207
; %bb.206:
	s_bcnt1_i32_b32 s7, s7
	s_delay_alu instid0(SALU_CYCLE_1)
	v_mov_b32_e32 v2, s7
	global_wb scope:SCOPE_SYS
	s_wait_loadcnt 0x0
	s_wait_storecnt 0x0
	global_atomic_add_u64 v[0:1], v[2:3], off offset:8 scope:SCOPE_SYS
.LBB1_207:
	s_wait_xcnt 0x0
	s_or_b32 exec_lo, exec_lo, s6
	s_wait_loadcnt 0x0
	global_load_b64 v[2:3], v[0:1], off offset:16
	s_wait_loadcnt 0x0
	v_cmp_eq_u64_e32 vcc_lo, 0, v[2:3]
	s_cbranch_vccnz .LBB1_209
; %bb.208:
	global_load_b32 v0, v[0:1], off offset:24
	s_wait_xcnt 0x0
	v_mov_b32_e32 v1, 0
	s_wait_loadcnt 0x0
	v_readfirstlane_b32 s6, v0
	global_wb scope:SCOPE_SYS
	s_wait_storecnt 0x0
	global_store_b64 v[2:3], v[0:1], off scope:SCOPE_SYS
	s_and_b32 m0, s6, 0xffffff
	s_sendmsg sendmsg(MSG_INTERRUPT)
.LBB1_209:
	s_wait_xcnt 0x0
	s_or_b32 exec_lo, exec_lo, s1
	v_add_nc_u64_e32 v[0:1], v[12:13], v[30:31]
	s_branch .LBB1_213
.LBB1_210:                              ;   in Loop: Header=BB1_213 Depth=1
	s_wait_xcnt 0x0
	s_or_b32 exec_lo, exec_lo, s1
	s_delay_alu instid0(VALU_DEP_1)
	v_readfirstlane_b32 s1, v2
	s_cmp_eq_u32 s1, 0
	s_cbranch_scc1 .LBB1_212
; %bb.211:                              ;   in Loop: Header=BB1_213 Depth=1
	s_sleep 1
	s_cbranch_execnz .LBB1_213
	s_branch .LBB1_216
.LBB1_212:
	s_branch .LBB1_216
.LBB1_213:                              ; =>This Inner Loop Header: Depth=1
	v_mov_b32_e32 v2, 1
	s_and_saveexec_b32 s1, s0
	s_cbranch_execz .LBB1_210
; %bb.214:                              ;   in Loop: Header=BB1_213 Depth=1
	global_load_b32 v2, v[10:11], off offset:20 scope:SCOPE_SYS
	s_wait_loadcnt 0x0
	global_inv scope:SCOPE_SYS
	v_and_b32_e32 v2, 1, v2
	s_branch .LBB1_210
.LBB1_215:
	s_branch .LBB1_249
.LBB1_216:
	global_load_b64 v[0:1], v[0:1], off
	s_wait_xcnt 0x0
	s_and_saveexec_b32 s6, s0
	s_cbranch_execz .LBB1_220
; %bb.217:
	v_mov_b32_e32 v10, 0
	s_clause 0x2
	global_load_b64 v[2:3], v10, s[2:3] offset:40
	global_load_b64 v[14:15], v10, s[2:3] offset:24 scope:SCOPE_SYS
	global_load_b64 v[6:7], v10, s[2:3]
	s_wait_loadcnt 0x2
	v_readfirstlane_b32 s10, v2
	v_readfirstlane_b32 s11, v3
	s_add_nc_u64 s[0:1], s[10:11], 1
	s_delay_alu instid0(SALU_CYCLE_1) | instskip(NEXT) | instid1(SALU_CYCLE_1)
	s_add_nc_u64 s[4:5], s[0:1], s[4:5]
	s_cmp_eq_u64 s[4:5], 0
	s_cselect_b32 s1, s1, s5
	s_cselect_b32 s0, s0, s4
	v_mov_b32_e32 v13, s1
	s_and_b64 s[4:5], s[0:1], s[10:11]
	v_mov_b32_e32 v12, s0
	s_mul_u64 s[4:5], s[4:5], 24
	s_wait_loadcnt 0x0
	v_add_nc_u64_e32 v[2:3], s[4:5], v[6:7]
	global_store_b64 v[2:3], v[14:15], off
	global_wb scope:SCOPE_SYS
	s_wait_storecnt 0x0
	s_wait_xcnt 0x0
	global_atomic_cmpswap_b64 v[8:9], v10, v[12:15], s[2:3] offset:24 th:TH_ATOMIC_RETURN scope:SCOPE_SYS
	s_wait_loadcnt 0x0
	v_cmp_ne_u64_e32 vcc_lo, v[8:9], v[14:15]
	s_and_b32 exec_lo, exec_lo, vcc_lo
	s_cbranch_execz .LBB1_220
; %bb.218:
	s_mov_b32 s4, 0
.LBB1_219:                              ; =>This Inner Loop Header: Depth=1
	v_dual_mov_b32 v6, s0 :: v_dual_mov_b32 v7, s1
	s_sleep 1
	global_store_b64 v[2:3], v[8:9], off
	global_wb scope:SCOPE_SYS
	s_wait_storecnt 0x0
	s_wait_xcnt 0x0
	global_atomic_cmpswap_b64 v[6:7], v10, v[6:9], s[2:3] offset:24 th:TH_ATOMIC_RETURN scope:SCOPE_SYS
	s_wait_loadcnt 0x0
	v_cmp_eq_u64_e32 vcc_lo, v[6:7], v[8:9]
	v_mov_b64_e32 v[8:9], v[6:7]
	s_or_b32 s4, vcc_lo, s4
	s_delay_alu instid0(SALU_CYCLE_1)
	s_and_not1_b32 exec_lo, exec_lo, s4
	s_cbranch_execnz .LBB1_219
.LBB1_220:
	s_or_b32 exec_lo, exec_lo, s6
	s_get_pc_i64 s[4:5]
	s_add_nc_u64 s[4:5], s[4:5], .str.4@rel64+4
	s_delay_alu instid0(SALU_CYCLE_1)
	s_cmp_lg_u64 s[4:5], 0
	s_cbranch_scc1 .LBB1_115
.LBB1_221:
                                        ; implicit-def: $vgpr6_vgpr7
	s_cbranch_execz .LBB1_249
; %bb.222:
	v_readfirstlane_b32 s0, v48
	v_mov_b64_e32 v[2:3], 0
	s_delay_alu instid0(VALU_DEP_2)
	v_cmp_eq_u32_e64 s0, s0, v48
	s_and_saveexec_b32 s1, s0
	s_cbranch_execz .LBB1_228
; %bb.223:
	s_wait_loadcnt 0x0
	v_mov_b32_e32 v6, 0
	s_mov_b32 s4, exec_lo
	global_load_b64 v[10:11], v6, s[2:3] offset:24 scope:SCOPE_SYS
	s_wait_loadcnt 0x0
	global_inv scope:SCOPE_SYS
	s_clause 0x1
	global_load_b64 v[2:3], v6, s[2:3] offset:40
	global_load_b64 v[8:9], v6, s[2:3]
	s_wait_loadcnt 0x1
	v_and_b32_e32 v2, v2, v10
	v_and_b32_e32 v3, v3, v11
	s_delay_alu instid0(VALU_DEP_1) | instskip(SKIP_1) | instid1(VALU_DEP_1)
	v_mul_u64_e32 v[2:3], 24, v[2:3]
	s_wait_loadcnt 0x0
	v_add_nc_u64_e32 v[2:3], v[8:9], v[2:3]
	global_load_b64 v[8:9], v[2:3], off scope:SCOPE_SYS
	s_wait_xcnt 0x0
	s_wait_loadcnt 0x0
	global_atomic_cmpswap_b64 v[2:3], v6, v[8:11], s[2:3] offset:24 th:TH_ATOMIC_RETURN scope:SCOPE_SYS
	s_wait_loadcnt 0x0
	global_inv scope:SCOPE_SYS
	s_wait_xcnt 0x0
	v_cmpx_ne_u64_e64 v[2:3], v[10:11]
	s_cbranch_execz .LBB1_227
; %bb.224:
	s_mov_b32 s5, 0
.LBB1_225:                              ; =>This Inner Loop Header: Depth=1
	s_sleep 1
	s_clause 0x1
	global_load_b64 v[8:9], v6, s[2:3] offset:40
	global_load_b64 v[12:13], v6, s[2:3]
	v_mov_b64_e32 v[10:11], v[2:3]
	s_wait_loadcnt 0x1
	s_delay_alu instid0(VALU_DEP_1) | instskip(NEXT) | instid1(VALU_DEP_2)
	v_and_b32_e32 v2, v8, v10
	v_and_b32_e32 v7, v9, v11
	s_wait_loadcnt 0x0
	s_delay_alu instid0(VALU_DEP_2) | instskip(NEXT) | instid1(VALU_DEP_1)
	v_mad_nc_u64_u32 v[2:3], v2, 24, v[12:13]
	v_mad_u32 v3, v7, 24, v3
	global_load_b64 v[8:9], v[2:3], off scope:SCOPE_SYS
	s_wait_xcnt 0x0
	s_wait_loadcnt 0x0
	global_atomic_cmpswap_b64 v[2:3], v6, v[8:11], s[2:3] offset:24 th:TH_ATOMIC_RETURN scope:SCOPE_SYS
	s_wait_loadcnt 0x0
	global_inv scope:SCOPE_SYS
	v_cmp_eq_u64_e32 vcc_lo, v[2:3], v[10:11]
	s_or_b32 s5, vcc_lo, s5
	s_wait_xcnt 0x0
	s_and_not1_b32 exec_lo, exec_lo, s5
	s_cbranch_execnz .LBB1_225
; %bb.226:
	s_or_b32 exec_lo, exec_lo, s5
.LBB1_227:
	s_delay_alu instid0(SALU_CYCLE_1)
	s_or_b32 exec_lo, exec_lo, s4
.LBB1_228:
	s_delay_alu instid0(SALU_CYCLE_1)
	s_or_b32 exec_lo, exec_lo, s1
	v_readfirstlane_b32 s4, v2
	v_mov_b32_e32 v31, 0
	v_readfirstlane_b32 s5, v3
	s_mov_b32 s1, exec_lo
	global_load_b64 v[10:11], v31, s[2:3] offset:40
	s_wait_loadcnt 0x1
	global_load_b128 v[6:9], v31, s[2:3]
	s_wait_loadcnt 0x1
	v_and_b32_e32 v2, s4, v10
	v_and_b32_e32 v3, s5, v11
	s_delay_alu instid0(VALU_DEP_1) | instskip(SKIP_1) | instid1(VALU_DEP_1)
	v_mul_u64_e32 v[10:11], 24, v[2:3]
	s_wait_loadcnt 0x0
	v_add_nc_u64_e32 v[10:11], v[6:7], v[10:11]
	s_wait_xcnt 0x0
	s_and_saveexec_b32 s6, s0
	s_cbranch_execz .LBB1_230
; %bb.229:
	v_mov_b64_e32 v[14:15], 0x100000002
	v_dual_mov_b32 v12, s1 :: v_dual_mov_b32 v13, v31
	global_store_b128 v[10:11], v[12:15], off offset:8
.LBB1_230:
	s_wait_xcnt 0x0
	s_or_b32 exec_lo, exec_lo, s6
	v_lshlrev_b64_e32 v[2:3], 12, v[2:3]
	s_mov_b32 s12, 0
	v_and_or_b32 v0, 0xffffff1f, v0, 32
	s_mov_b32 s13, s12
	s_mov_b32 s14, s12
	;; [unrolled: 1-line block ×3, first 2 shown]
	v_mov_b64_e32 v[12:13], s[12:13]
	v_add_nc_u64_e32 v[8:9], v[8:9], v[2:3]
	v_mov_b64_e32 v[14:15], s[14:15]
	v_dual_mov_b32 v2, v31 :: v_dual_mov_b32 v3, v31
	s_delay_alu instid0(VALU_DEP_3) | instskip(NEXT) | instid1(VALU_DEP_4)
	v_readfirstlane_b32 s6, v8
	v_readfirstlane_b32 s7, v9
	s_clause 0x3
	global_store_b128 v30, v[0:3], s[6:7]
	global_store_b128 v30, v[12:15], s[6:7] offset:16
	global_store_b128 v30, v[12:15], s[6:7] offset:32
	;; [unrolled: 1-line block ×3, first 2 shown]
	s_wait_xcnt 0x0
	s_and_saveexec_b32 s1, s0
	s_cbranch_execz .LBB1_238
; %bb.231:
	v_dual_mov_b32 v12, 0 :: v_dual_mov_b32 v15, s5
	s_mov_b32 s6, exec_lo
	s_clause 0x1
	global_load_b64 v[16:17], v12, s[2:3] offset:32 scope:SCOPE_SYS
	global_load_b64 v[0:1], v12, s[2:3] offset:40
	s_wait_loadcnt 0x0
	v_dual_mov_b32 v14, s4 :: v_dual_bitop2_b32 v1, s5, v1 bitop3:0x40
	v_and_b32_e32 v0, s4, v0
	s_delay_alu instid0(VALU_DEP_1) | instskip(NEXT) | instid1(VALU_DEP_1)
	v_mul_u64_e32 v[0:1], 24, v[0:1]
	v_add_nc_u64_e32 v[6:7], v[6:7], v[0:1]
	global_store_b64 v[6:7], v[16:17], off
	global_wb scope:SCOPE_SYS
	s_wait_storecnt 0x0
	s_wait_xcnt 0x0
	global_atomic_cmpswap_b64 v[2:3], v12, v[14:17], s[2:3] offset:32 th:TH_ATOMIC_RETURN scope:SCOPE_SYS
	s_wait_loadcnt 0x0
	v_cmpx_ne_u64_e64 v[2:3], v[16:17]
	s_cbranch_execz .LBB1_234
; %bb.232:
	s_mov_b32 s7, 0
.LBB1_233:                              ; =>This Inner Loop Header: Depth=1
	v_dual_mov_b32 v0, s4 :: v_dual_mov_b32 v1, s5
	s_sleep 1
	global_store_b64 v[6:7], v[2:3], off
	global_wb scope:SCOPE_SYS
	s_wait_storecnt 0x0
	s_wait_xcnt 0x0
	global_atomic_cmpswap_b64 v[0:1], v12, v[0:3], s[2:3] offset:32 th:TH_ATOMIC_RETURN scope:SCOPE_SYS
	s_wait_loadcnt 0x0
	v_cmp_eq_u64_e32 vcc_lo, v[0:1], v[2:3]
	v_mov_b64_e32 v[2:3], v[0:1]
	s_or_b32 s7, vcc_lo, s7
	s_delay_alu instid0(SALU_CYCLE_1)
	s_and_not1_b32 exec_lo, exec_lo, s7
	s_cbranch_execnz .LBB1_233
.LBB1_234:
	s_or_b32 exec_lo, exec_lo, s6
	v_mov_b32_e32 v3, 0
	s_mov_b32 s7, exec_lo
	s_mov_b32 s6, exec_lo
	v_mbcnt_lo_u32_b32 v2, s7, 0
	global_load_b64 v[0:1], v3, s[2:3] offset:16
	s_wait_xcnt 0x0
	v_cmpx_eq_u32_e32 0, v2
	s_cbranch_execz .LBB1_236
; %bb.235:
	s_bcnt1_i32_b32 s7, s7
	s_delay_alu instid0(SALU_CYCLE_1)
	v_mov_b32_e32 v2, s7
	global_wb scope:SCOPE_SYS
	s_wait_loadcnt 0x0
	s_wait_storecnt 0x0
	global_atomic_add_u64 v[0:1], v[2:3], off offset:8 scope:SCOPE_SYS
.LBB1_236:
	s_wait_xcnt 0x0
	s_or_b32 exec_lo, exec_lo, s6
	s_wait_loadcnt 0x0
	global_load_b64 v[2:3], v[0:1], off offset:16
	s_wait_loadcnt 0x0
	v_cmp_eq_u64_e32 vcc_lo, 0, v[2:3]
	s_cbranch_vccnz .LBB1_238
; %bb.237:
	global_load_b32 v0, v[0:1], off offset:24
	s_wait_xcnt 0x0
	v_mov_b32_e32 v1, 0
	s_wait_loadcnt 0x0
	v_readfirstlane_b32 s6, v0
	global_wb scope:SCOPE_SYS
	s_wait_storecnt 0x0
	global_store_b64 v[2:3], v[0:1], off scope:SCOPE_SYS
	s_and_b32 m0, s6, 0xffffff
	s_sendmsg sendmsg(MSG_INTERRUPT)
.LBB1_238:
	s_wait_xcnt 0x0
	s_or_b32 exec_lo, exec_lo, s1
	v_add_nc_u64_e32 v[0:1], v[8:9], v[30:31]
	s_branch .LBB1_242
.LBB1_239:                              ;   in Loop: Header=BB1_242 Depth=1
	s_wait_xcnt 0x0
	s_or_b32 exec_lo, exec_lo, s1
	s_delay_alu instid0(VALU_DEP_1)
	v_readfirstlane_b32 s1, v2
	s_cmp_eq_u32 s1, 0
	s_cbranch_scc1 .LBB1_241
; %bb.240:                              ;   in Loop: Header=BB1_242 Depth=1
	s_sleep 1
	s_cbranch_execnz .LBB1_242
	s_branch .LBB1_244
.LBB1_241:
	s_branch .LBB1_244
.LBB1_242:                              ; =>This Inner Loop Header: Depth=1
	v_mov_b32_e32 v2, 1
	s_and_saveexec_b32 s1, s0
	s_cbranch_execz .LBB1_239
; %bb.243:                              ;   in Loop: Header=BB1_242 Depth=1
	global_load_b32 v2, v[10:11], off offset:20 scope:SCOPE_SYS
	s_wait_loadcnt 0x0
	global_inv scope:SCOPE_SYS
	v_and_b32_e32 v2, 1, v2
	s_branch .LBB1_239
.LBB1_244:
	global_load_b64 v[6:7], v[0:1], off
	s_wait_xcnt 0x0
	s_and_saveexec_b32 s6, s0
	s_cbranch_execz .LBB1_248
; %bb.245:
	v_mov_b32_e32 v10, 0
	s_clause 0x2
	global_load_b64 v[0:1], v10, s[2:3] offset:40
	global_load_b64 v[14:15], v10, s[2:3] offset:24 scope:SCOPE_SYS
	global_load_b64 v[2:3], v10, s[2:3]
	s_wait_loadcnt 0x2
	v_readfirstlane_b32 s10, v0
	v_readfirstlane_b32 s11, v1
	s_add_nc_u64 s[0:1], s[10:11], 1
	s_delay_alu instid0(SALU_CYCLE_1) | instskip(NEXT) | instid1(SALU_CYCLE_1)
	s_add_nc_u64 s[4:5], s[0:1], s[4:5]
	s_cmp_eq_u64 s[4:5], 0
	s_cselect_b32 s1, s1, s5
	s_cselect_b32 s0, s0, s4
	v_mov_b32_e32 v13, s1
	s_and_b64 s[4:5], s[0:1], s[10:11]
	v_mov_b32_e32 v12, s0
	s_mul_u64 s[4:5], s[4:5], 24
	s_wait_loadcnt 0x0
	v_add_nc_u64_e32 v[8:9], s[4:5], v[2:3]
	global_store_b64 v[8:9], v[14:15], off
	global_wb scope:SCOPE_SYS
	s_wait_storecnt 0x0
	s_wait_xcnt 0x0
	global_atomic_cmpswap_b64 v[2:3], v10, v[12:15], s[2:3] offset:24 th:TH_ATOMIC_RETURN scope:SCOPE_SYS
	s_wait_loadcnt 0x0
	v_cmp_ne_u64_e32 vcc_lo, v[2:3], v[14:15]
	s_and_b32 exec_lo, exec_lo, vcc_lo
	s_cbranch_execz .LBB1_248
; %bb.246:
	s_mov_b32 s4, 0
.LBB1_247:                              ; =>This Inner Loop Header: Depth=1
	v_dual_mov_b32 v0, s0 :: v_dual_mov_b32 v1, s1
	s_sleep 1
	global_store_b64 v[8:9], v[2:3], off
	global_wb scope:SCOPE_SYS
	s_wait_storecnt 0x0
	s_wait_xcnt 0x0
	global_atomic_cmpswap_b64 v[0:1], v10, v[0:3], s[2:3] offset:24 th:TH_ATOMIC_RETURN scope:SCOPE_SYS
	s_wait_loadcnt 0x0
	v_cmp_eq_u64_e32 vcc_lo, v[0:1], v[2:3]
	v_mov_b64_e32 v[2:3], v[0:1]
	s_or_b32 s4, vcc_lo, s4
	s_delay_alu instid0(SALU_CYCLE_1)
	s_and_not1_b32 exec_lo, exec_lo, s4
	s_cbranch_execnz .LBB1_247
.LBB1_248:
	s_or_b32 exec_lo, exec_lo, s6
.LBB1_249:
	v_readfirstlane_b32 s0, v48
	v_mov_b64_e32 v[8:9], 0
	s_delay_alu instid0(VALU_DEP_2)
	v_cmp_eq_u32_e64 s0, s0, v48
	s_and_saveexec_b32 s1, s0
	s_cbranch_execz .LBB1_255
; %bb.250:
	s_wait_loadcnt 0x0
	v_mov_b32_e32 v0, 0
	s_mov_b32 s4, exec_lo
	global_load_b64 v[10:11], v0, s[2:3] offset:24 scope:SCOPE_SYS
	s_wait_loadcnt 0x0
	global_inv scope:SCOPE_SYS
	s_clause 0x1
	global_load_b64 v[2:3], v0, s[2:3] offset:40
	global_load_b64 v[8:9], v0, s[2:3]
	s_wait_loadcnt 0x1
	v_and_b32_e32 v2, v2, v10
	v_and_b32_e32 v3, v3, v11
	s_delay_alu instid0(VALU_DEP_1) | instskip(SKIP_1) | instid1(VALU_DEP_1)
	v_mul_u64_e32 v[2:3], 24, v[2:3]
	s_wait_loadcnt 0x0
	v_add_nc_u64_e32 v[2:3], v[8:9], v[2:3]
	global_load_b64 v[8:9], v[2:3], off scope:SCOPE_SYS
	s_wait_xcnt 0x0
	s_wait_loadcnt 0x0
	global_atomic_cmpswap_b64 v[8:9], v0, v[8:11], s[2:3] offset:24 th:TH_ATOMIC_RETURN scope:SCOPE_SYS
	s_wait_loadcnt 0x0
	global_inv scope:SCOPE_SYS
	s_wait_xcnt 0x0
	v_cmpx_ne_u64_e64 v[8:9], v[10:11]
	s_cbranch_execz .LBB1_254
; %bb.251:
	s_mov_b32 s5, 0
.LBB1_252:                              ; =>This Inner Loop Header: Depth=1
	s_sleep 1
	s_clause 0x1
	global_load_b64 v[2:3], v0, s[2:3] offset:40
	global_load_b64 v[12:13], v0, s[2:3]
	v_mov_b64_e32 v[10:11], v[8:9]
	s_wait_loadcnt 0x1
	s_delay_alu instid0(VALU_DEP_1) | instskip(SKIP_1) | instid1(VALU_DEP_1)
	v_and_b32_e32 v1, v2, v10
	s_wait_loadcnt 0x0
	v_mad_nc_u64_u32 v[8:9], v1, 24, v[12:13]
	s_delay_alu instid0(VALU_DEP_3) | instskip(NEXT) | instid1(VALU_DEP_1)
	v_and_b32_e32 v1, v3, v11
	v_mad_u32 v9, v1, 24, v9
	global_load_b64 v[8:9], v[8:9], off scope:SCOPE_SYS
	s_wait_xcnt 0x0
	s_wait_loadcnt 0x0
	global_atomic_cmpswap_b64 v[8:9], v0, v[8:11], s[2:3] offset:24 th:TH_ATOMIC_RETURN scope:SCOPE_SYS
	s_wait_loadcnt 0x0
	global_inv scope:SCOPE_SYS
	v_cmp_eq_u64_e32 vcc_lo, v[8:9], v[10:11]
	s_or_b32 s5, vcc_lo, s5
	s_wait_xcnt 0x0
	s_and_not1_b32 exec_lo, exec_lo, s5
	s_cbranch_execnz .LBB1_252
; %bb.253:
	s_or_b32 exec_lo, exec_lo, s5
.LBB1_254:
	s_delay_alu instid0(SALU_CYCLE_1)
	s_or_b32 exec_lo, exec_lo, s4
.LBB1_255:
	s_delay_alu instid0(SALU_CYCLE_1)
	s_or_b32 exec_lo, exec_lo, s1
	v_readfirstlane_b32 s4, v8
	v_mov_b32_e32 v31, 0
	v_readfirstlane_b32 s5, v9
	s_mov_b32 s1, exec_lo
	global_load_b64 v[10:11], v31, s[2:3] offset:40
	s_wait_loadcnt 0x1
	global_load_b128 v[0:3], v31, s[2:3]
	s_wait_loadcnt 0x1
	v_and_b32_e32 v8, s4, v10
	v_and_b32_e32 v9, s5, v11
	s_delay_alu instid0(VALU_DEP_1) | instskip(SKIP_1) | instid1(VALU_DEP_1)
	v_mul_u64_e32 v[10:11], 24, v[8:9]
	s_wait_loadcnt 0x0
	v_add_nc_u64_e32 v[10:11], v[0:1], v[10:11]
	s_wait_xcnt 0x0
	s_and_saveexec_b32 s6, s0
	s_cbranch_execz .LBB1_257
; %bb.256:
	v_mov_b64_e32 v[14:15], 0x100000002
	v_dual_mov_b32 v12, s1 :: v_dual_mov_b32 v13, v31
	global_store_b128 v[10:11], v[12:15], off offset:8
.LBB1_257:
	s_wait_xcnt 0x0
	s_or_b32 exec_lo, exec_lo, s6
	v_lshlrev_b64_e32 v[8:9], 12, v[8:9]
	s_mov_b32 s12, 0
	v_and_or_b32 v6, 0xffffff1f, v6, 32
	s_mov_b32 s14, s12
	s_mov_b32 s15, s12
	s_mov_b32 s13, s12
	v_mov_b64_e32 v[16:17], s[14:15]
	v_add_nc_u64_e32 v[12:13], v[2:3], v[8:9]
	v_mov_b64_e32 v[14:15], s[12:13]
	v_dual_mov_b32 v8, 0x331 :: v_dual_mov_b32 v9, v31
	s_delay_alu instid0(VALU_DEP_3) | instskip(NEXT) | instid1(VALU_DEP_4)
	v_readfirstlane_b32 s6, v12
	v_readfirstlane_b32 s7, v13
	s_clause 0x3
	global_store_b128 v30, v[6:9], s[6:7]
	global_store_b128 v30, v[14:17], s[6:7] offset:16
	global_store_b128 v30, v[14:17], s[6:7] offset:32
	;; [unrolled: 1-line block ×3, first 2 shown]
	s_wait_xcnt 0x0
	s_and_saveexec_b32 s1, s0
	s_cbranch_execz .LBB1_265
; %bb.258:
	v_dual_mov_b32 v8, 0 :: v_dual_mov_b32 v15, s5
	s_mov_b32 s6, exec_lo
	s_clause 0x1
	global_load_b64 v[16:17], v8, s[2:3] offset:32 scope:SCOPE_SYS
	global_load_b64 v[2:3], v8, s[2:3] offset:40
	s_wait_loadcnt 0x0
	v_dual_mov_b32 v14, s4 :: v_dual_bitop2_b32 v3, s5, v3 bitop3:0x40
	v_and_b32_e32 v2, s4, v2
	s_delay_alu instid0(VALU_DEP_1) | instskip(NEXT) | instid1(VALU_DEP_1)
	v_mul_u64_e32 v[2:3], 24, v[2:3]
	v_add_nc_u64_e32 v[6:7], v[0:1], v[2:3]
	global_store_b64 v[6:7], v[16:17], off
	global_wb scope:SCOPE_SYS
	s_wait_storecnt 0x0
	s_wait_xcnt 0x0
	global_atomic_cmpswap_b64 v[2:3], v8, v[14:17], s[2:3] offset:32 th:TH_ATOMIC_RETURN scope:SCOPE_SYS
	s_wait_loadcnt 0x0
	v_cmpx_ne_u64_e64 v[2:3], v[16:17]
	s_cbranch_execz .LBB1_261
; %bb.259:
	s_mov_b32 s7, 0
.LBB1_260:                              ; =>This Inner Loop Header: Depth=1
	v_dual_mov_b32 v0, s4 :: v_dual_mov_b32 v1, s5
	s_sleep 1
	global_store_b64 v[6:7], v[2:3], off
	global_wb scope:SCOPE_SYS
	s_wait_storecnt 0x0
	s_wait_xcnt 0x0
	global_atomic_cmpswap_b64 v[0:1], v8, v[0:3], s[2:3] offset:32 th:TH_ATOMIC_RETURN scope:SCOPE_SYS
	s_wait_loadcnt 0x0
	v_cmp_eq_u64_e32 vcc_lo, v[0:1], v[2:3]
	v_mov_b64_e32 v[2:3], v[0:1]
	s_or_b32 s7, vcc_lo, s7
	s_delay_alu instid0(SALU_CYCLE_1)
	s_and_not1_b32 exec_lo, exec_lo, s7
	s_cbranch_execnz .LBB1_260
.LBB1_261:
	s_or_b32 exec_lo, exec_lo, s6
	v_mov_b32_e32 v3, 0
	s_mov_b32 s7, exec_lo
	s_mov_b32 s6, exec_lo
	v_mbcnt_lo_u32_b32 v2, s7, 0
	global_load_b64 v[0:1], v3, s[2:3] offset:16
	s_wait_xcnt 0x0
	v_cmpx_eq_u32_e32 0, v2
	s_cbranch_execz .LBB1_263
; %bb.262:
	s_bcnt1_i32_b32 s7, s7
	s_delay_alu instid0(SALU_CYCLE_1)
	v_mov_b32_e32 v2, s7
	global_wb scope:SCOPE_SYS
	s_wait_loadcnt 0x0
	s_wait_storecnt 0x0
	global_atomic_add_u64 v[0:1], v[2:3], off offset:8 scope:SCOPE_SYS
.LBB1_263:
	s_wait_xcnt 0x0
	s_or_b32 exec_lo, exec_lo, s6
	s_wait_loadcnt 0x0
	global_load_b64 v[2:3], v[0:1], off offset:16
	s_wait_loadcnt 0x0
	v_cmp_eq_u64_e32 vcc_lo, 0, v[2:3]
	s_cbranch_vccnz .LBB1_265
; %bb.264:
	global_load_b32 v0, v[0:1], off offset:24
	s_wait_xcnt 0x0
	v_mov_b32_e32 v1, 0
	s_wait_loadcnt 0x0
	v_readfirstlane_b32 s6, v0
	global_wb scope:SCOPE_SYS
	s_wait_storecnt 0x0
	global_store_b64 v[2:3], v[0:1], off scope:SCOPE_SYS
	s_and_b32 m0, s6, 0xffffff
	s_sendmsg sendmsg(MSG_INTERRUPT)
.LBB1_265:
	s_wait_xcnt 0x0
	s_or_b32 exec_lo, exec_lo, s1
	v_add_nc_u64_e32 v[0:1], v[12:13], v[30:31]
	s_branch .LBB1_269
.LBB1_266:                              ;   in Loop: Header=BB1_269 Depth=1
	s_wait_xcnt 0x0
	s_or_b32 exec_lo, exec_lo, s1
	s_delay_alu instid0(VALU_DEP_1)
	v_readfirstlane_b32 s1, v2
	s_cmp_eq_u32 s1, 0
	s_cbranch_scc1 .LBB1_268
; %bb.267:                              ;   in Loop: Header=BB1_269 Depth=1
	s_sleep 1
	s_cbranch_execnz .LBB1_269
	s_branch .LBB1_271
.LBB1_268:
	s_branch .LBB1_271
.LBB1_269:                              ; =>This Inner Loop Header: Depth=1
	v_mov_b32_e32 v2, 1
	s_and_saveexec_b32 s1, s0
	s_cbranch_execz .LBB1_266
; %bb.270:                              ;   in Loop: Header=BB1_269 Depth=1
	global_load_b32 v2, v[10:11], off offset:20 scope:SCOPE_SYS
	s_wait_loadcnt 0x0
	global_inv scope:SCOPE_SYS
	v_and_b32_e32 v2, 1, v2
	s_branch .LBB1_266
.LBB1_271:
	global_load_b64 v[0:1], v[0:1], off
	s_wait_xcnt 0x0
	s_and_saveexec_b32 s6, s0
	s_cbranch_execz .LBB1_275
; %bb.272:
	v_mov_b32_e32 v10, 0
	s_clause 0x2
	global_load_b64 v[2:3], v10, s[2:3] offset:40
	global_load_b64 v[14:15], v10, s[2:3] offset:24 scope:SCOPE_SYS
	global_load_b64 v[6:7], v10, s[2:3]
	s_wait_loadcnt 0x2
	v_readfirstlane_b32 s10, v2
	v_readfirstlane_b32 s11, v3
	s_add_nc_u64 s[0:1], s[10:11], 1
	s_delay_alu instid0(SALU_CYCLE_1) | instskip(NEXT) | instid1(SALU_CYCLE_1)
	s_add_nc_u64 s[4:5], s[0:1], s[4:5]
	s_cmp_eq_u64 s[4:5], 0
	s_cselect_b32 s1, s1, s5
	s_cselect_b32 s0, s0, s4
	v_mov_b32_e32 v13, s1
	s_and_b64 s[4:5], s[0:1], s[10:11]
	v_mov_b32_e32 v12, s0
	s_mul_u64 s[4:5], s[4:5], 24
	s_wait_loadcnt 0x0
	v_add_nc_u64_e32 v[2:3], s[4:5], v[6:7]
	global_store_b64 v[2:3], v[14:15], off
	global_wb scope:SCOPE_SYS
	s_wait_storecnt 0x0
	s_wait_xcnt 0x0
	global_atomic_cmpswap_b64 v[8:9], v10, v[12:15], s[2:3] offset:24 th:TH_ATOMIC_RETURN scope:SCOPE_SYS
	s_wait_loadcnt 0x0
	v_cmp_ne_u64_e32 vcc_lo, v[8:9], v[14:15]
	s_and_b32 exec_lo, exec_lo, vcc_lo
	s_cbranch_execz .LBB1_275
; %bb.273:
	s_mov_b32 s4, 0
.LBB1_274:                              ; =>This Inner Loop Header: Depth=1
	v_dual_mov_b32 v6, s0 :: v_dual_mov_b32 v7, s1
	s_sleep 1
	global_store_b64 v[2:3], v[8:9], off
	global_wb scope:SCOPE_SYS
	s_wait_storecnt 0x0
	s_wait_xcnt 0x0
	global_atomic_cmpswap_b64 v[6:7], v10, v[6:9], s[2:3] offset:24 th:TH_ATOMIC_RETURN scope:SCOPE_SYS
	s_wait_loadcnt 0x0
	v_cmp_eq_u64_e32 vcc_lo, v[6:7], v[8:9]
	v_mov_b64_e32 v[8:9], v[6:7]
	s_or_b32 s4, vcc_lo, s4
	s_delay_alu instid0(SALU_CYCLE_1)
	s_and_not1_b32 exec_lo, exec_lo, s4
	s_cbranch_execnz .LBB1_274
.LBB1_275:
	s_or_b32 exec_lo, exec_lo, s6
	v_mov_b64_e32 v[2:3], v[4:5]
	s_mov_b32 s0, 0
.LBB1_276:                              ; =>This Inner Loop Header: Depth=1
	global_load_u8 v6, v[2:3], off
	s_wait_xcnt 0x0
	v_add_nc_u64_e32 v[2:3], 1, v[2:3]
	s_wait_loadcnt 0x0
	v_cmp_eq_u16_e32 vcc_lo, 0, v6
	s_or_b32 s0, vcc_lo, s0
	s_delay_alu instid0(SALU_CYCLE_1)
	s_and_not1_b32 exec_lo, exec_lo, s0
	s_cbranch_execnz .LBB1_276
; %bb.277:
	s_or_b32 exec_lo, exec_lo, s0
	s_delay_alu instid0(SALU_CYCLE_1)
	s_mov_b32 s0, exec_lo
	v_cmpx_ne_u64_e32 0, v[4:5]
	s_xor_b32 s6, exec_lo, s0
	s_cbranch_execz .LBB1_363
; %bb.278:
	v_dual_mov_b32 v31, 0 :: v_dual_sub_nc_u32 v26, v2, v4
	v_mov_b64_e32 v[8:9], 0x100000002
	v_and_b32_e32 v28, 2, v0
	s_delay_alu instid0(VALU_DEP_3)
	v_dual_ashrrev_i32 v27, 31, v26 :: v_dual_bitop2_b32 v0, -3, v0 bitop3:0x40
	s_mov_b32 s10, 0
	s_mov_b32 s7, 0
	s_branch .LBB1_280
.LBB1_279:                              ;   in Loop: Header=BB1_280 Depth=1
	s_or_b32 exec_lo, exec_lo, s11
	v_sub_nc_u64_e32 v[26:27], v[26:27], v[32:33]
	v_add_nc_u64_e32 v[4:5], v[4:5], v[32:33]
	s_delay_alu instid0(VALU_DEP_2) | instskip(SKIP_1) | instid1(SALU_CYCLE_1)
	v_cmp_eq_u64_e32 vcc_lo, 0, v[26:27]
	s_or_b32 s7, vcc_lo, s7
	s_and_not1_b32 exec_lo, exec_lo, s7
	s_cbranch_execz .LBB1_362
.LBB1_280:                              ; =>This Loop Header: Depth=1
                                        ;     Child Loop BB1_283 Depth 2
                                        ;     Child Loop BB1_291 Depth 2
	;; [unrolled: 1-line block ×11, first 2 shown]
	s_delay_alu instid0(VALU_DEP_1) | instskip(NEXT) | instid1(VALU_DEP_3)
	v_min_u64 v[32:33], v[26:27], 56
	v_add_nc_u64_e32 v[12:13], 8, v[4:5]
	s_mov_b32 s0, exec_lo
	v_cmpx_gt_u64_e32 8, v[26:27]
	s_xor_b32 s4, exec_lo, s0
	s_cbranch_execz .LBB1_286
; %bb.281:                              ;   in Loop: Header=BB1_280 Depth=1
	v_mov_b64_e32 v[2:3], 0
	s_mov_b32 s5, exec_lo
	v_cmpx_ne_u64_e32 0, v[26:27]
	s_cbranch_execz .LBB1_285
; %bb.282:                              ;   in Loop: Header=BB1_280 Depth=1
	v_mov_b64_e32 v[2:3], 0
	v_mov_b64_e32 v[10:11], v[4:5]
	v_lshlrev_b32_e32 v6, 3, v32
	s_mov_b64 s[0:1], 0
	s_mov_b32 s11, 0
.LBB1_283:                              ;   Parent Loop BB1_280 Depth=1
                                        ; =>  This Inner Loop Header: Depth=2
	global_load_u8 v7, v[10:11], off
	v_mov_b32_e32 v13, s10
	s_wait_xcnt 0x0
	v_add_nc_u64_e32 v[10:11], 1, v[10:11]
	s_wait_loadcnt 0x0
	v_and_b32_e32 v12, 0xffff, v7
	s_delay_alu instid0(VALU_DEP_1) | instskip(SKIP_1) | instid1(SALU_CYCLE_1)
	v_lshlrev_b64_e32 v[12:13], s0, v[12:13]
	s_add_nc_u64 s[0:1], s[0:1], 8
	v_cmp_eq_u32_e32 vcc_lo, s0, v6
	s_delay_alu instid0(VALU_DEP_2) | instskip(NEXT) | instid1(VALU_DEP_3)
	v_or_b32_e32 v3, v13, v3
	v_or_b32_e32 v2, v12, v2
	s_or_b32 s11, vcc_lo, s11
	s_delay_alu instid0(SALU_CYCLE_1)
	s_and_not1_b32 exec_lo, exec_lo, s11
	s_cbranch_execnz .LBB1_283
; %bb.284:                              ;   in Loop: Header=BB1_280 Depth=1
	s_or_b32 exec_lo, exec_lo, s11
.LBB1_285:                              ;   in Loop: Header=BB1_280 Depth=1
	s_delay_alu instid0(SALU_CYCLE_1)
	s_or_b32 exec_lo, exec_lo, s5
	v_mov_b64_e32 v[12:13], v[4:5]
.LBB1_286:                              ;   in Loop: Header=BB1_280 Depth=1
	s_or_saveexec_b32 s0, s4
	v_mov_b32_e32 v14, 0
	s_xor_b32 exec_lo, exec_lo, s0
	s_cbranch_execz .LBB1_288
; %bb.287:                              ;   in Loop: Header=BB1_280 Depth=1
	global_load_b64 v[2:3], v[4:5], off
	v_add_nc_u32_e32 v14, -8, v32
.LBB1_288:                              ;   in Loop: Header=BB1_280 Depth=1
	s_wait_xcnt 0x0
	s_or_b32 exec_lo, exec_lo, s0
	v_add_nc_u64_e32 v[6:7], 8, v[12:13]
                                        ; implicit-def: $vgpr10_vgpr11
	s_mov_b32 s0, exec_lo
	v_cmpx_gt_u32_e32 8, v14
	s_xor_b32 s11, exec_lo, s0
	s_cbranch_execz .LBB1_294
; %bb.289:                              ;   in Loop: Header=BB1_280 Depth=1
	v_mov_b64_e32 v[10:11], 0
	s_mov_b32 s12, exec_lo
	v_cmpx_ne_u32_e32 0, v14
	s_cbranch_execz .LBB1_293
; %bb.290:                              ;   in Loop: Header=BB1_280 Depth=1
	v_mov_b64_e32 v[10:11], 0
	s_mov_b64 s[0:1], 0
	s_mov_b32 s13, 0
	s_mov_b64 s[4:5], 0
.LBB1_291:                              ;   Parent Loop BB1_280 Depth=1
                                        ; =>  This Inner Loop Header: Depth=2
	s_delay_alu instid0(SALU_CYCLE_1) | instskip(SKIP_1) | instid1(SALU_CYCLE_1)
	v_add_nc_u64_e32 v[6:7], s[4:5], v[12:13]
	s_add_nc_u64 s[4:5], s[4:5], 1
	v_cmp_eq_u32_e32 vcc_lo, s4, v14
	global_load_u8 v6, v[6:7], off
	s_wait_xcnt 0x0
	v_mov_b32_e32 v7, s10
	s_or_b32 s13, vcc_lo, s13
	s_wait_loadcnt 0x0
	v_and_b32_e32 v6, 0xffff, v6
	s_delay_alu instid0(VALU_DEP_1) | instskip(SKIP_1) | instid1(VALU_DEP_1)
	v_lshlrev_b64_e32 v[6:7], s0, v[6:7]
	s_add_nc_u64 s[0:1], s[0:1], 8
	v_or_b32_e32 v11, v7, v11
	s_delay_alu instid0(VALU_DEP_2)
	v_or_b32_e32 v10, v6, v10
	s_and_not1_b32 exec_lo, exec_lo, s13
	s_cbranch_execnz .LBB1_291
; %bb.292:                              ;   in Loop: Header=BB1_280 Depth=1
	s_or_b32 exec_lo, exec_lo, s13
.LBB1_293:                              ;   in Loop: Header=BB1_280 Depth=1
	s_delay_alu instid0(SALU_CYCLE_1)
	s_or_b32 exec_lo, exec_lo, s12
	v_mov_b64_e32 v[6:7], v[12:13]
                                        ; implicit-def: $vgpr14
.LBB1_294:                              ;   in Loop: Header=BB1_280 Depth=1
	s_or_saveexec_b32 s0, s11
	v_mov_b32_e32 v15, 0
	s_xor_b32 exec_lo, exec_lo, s0
	s_cbranch_execz .LBB1_296
; %bb.295:                              ;   in Loop: Header=BB1_280 Depth=1
	global_load_b64 v[10:11], v[12:13], off
	v_add_nc_u32_e32 v15, -8, v14
.LBB1_296:                              ;   in Loop: Header=BB1_280 Depth=1
	s_wait_xcnt 0x0
	s_or_b32 exec_lo, exec_lo, s0
	v_add_nc_u64_e32 v[16:17], 8, v[6:7]
	s_mov_b32 s0, exec_lo
	v_cmpx_gt_u32_e32 8, v15
	s_xor_b32 s11, exec_lo, s0
	s_cbranch_execz .LBB1_302
; %bb.297:                              ;   in Loop: Header=BB1_280 Depth=1
	v_mov_b64_e32 v[12:13], 0
	s_mov_b32 s12, exec_lo
	v_cmpx_ne_u32_e32 0, v15
	s_cbranch_execz .LBB1_301
; %bb.298:                              ;   in Loop: Header=BB1_280 Depth=1
	v_mov_b64_e32 v[12:13], 0
	s_mov_b64 s[0:1], 0
	s_mov_b32 s13, 0
	s_mov_b64 s[4:5], 0
.LBB1_299:                              ;   Parent Loop BB1_280 Depth=1
                                        ; =>  This Inner Loop Header: Depth=2
	s_delay_alu instid0(SALU_CYCLE_1) | instskip(SKIP_1) | instid1(SALU_CYCLE_1)
	v_add_nc_u64_e32 v[16:17], s[4:5], v[6:7]
	s_add_nc_u64 s[4:5], s[4:5], 1
	v_cmp_eq_u32_e32 vcc_lo, s4, v15
	global_load_u8 v14, v[16:17], off
	s_wait_xcnt 0x0
	v_mov_b32_e32 v17, s10
	s_or_b32 s13, vcc_lo, s13
	s_wait_loadcnt 0x0
	v_and_b32_e32 v16, 0xffff, v14
	s_delay_alu instid0(VALU_DEP_1) | instskip(SKIP_1) | instid1(VALU_DEP_1)
	v_lshlrev_b64_e32 v[16:17], s0, v[16:17]
	s_add_nc_u64 s[0:1], s[0:1], 8
	v_or_b32_e32 v13, v17, v13
	s_delay_alu instid0(VALU_DEP_2)
	v_or_b32_e32 v12, v16, v12
	s_and_not1_b32 exec_lo, exec_lo, s13
	s_cbranch_execnz .LBB1_299
; %bb.300:                              ;   in Loop: Header=BB1_280 Depth=1
	s_or_b32 exec_lo, exec_lo, s13
.LBB1_301:                              ;   in Loop: Header=BB1_280 Depth=1
	s_delay_alu instid0(SALU_CYCLE_1)
	s_or_b32 exec_lo, exec_lo, s12
	v_mov_b64_e32 v[16:17], v[6:7]
                                        ; implicit-def: $vgpr15
.LBB1_302:                              ;   in Loop: Header=BB1_280 Depth=1
	s_or_saveexec_b32 s0, s11
	v_mov_b32_e32 v18, 0
	s_xor_b32 exec_lo, exec_lo, s0
	s_cbranch_execz .LBB1_304
; %bb.303:                              ;   in Loop: Header=BB1_280 Depth=1
	global_load_b64 v[12:13], v[6:7], off
	v_add_nc_u32_e32 v18, -8, v15
.LBB1_304:                              ;   in Loop: Header=BB1_280 Depth=1
	s_wait_xcnt 0x0
	s_or_b32 exec_lo, exec_lo, s0
	v_add_nc_u64_e32 v[6:7], 8, v[16:17]
                                        ; implicit-def: $vgpr14_vgpr15
	s_mov_b32 s0, exec_lo
	v_cmpx_gt_u32_e32 8, v18
	s_xor_b32 s11, exec_lo, s0
	s_cbranch_execz .LBB1_310
; %bb.305:                              ;   in Loop: Header=BB1_280 Depth=1
	v_mov_b64_e32 v[14:15], 0
	s_mov_b32 s12, exec_lo
	v_cmpx_ne_u32_e32 0, v18
	s_cbranch_execz .LBB1_309
; %bb.306:                              ;   in Loop: Header=BB1_280 Depth=1
	v_mov_b64_e32 v[14:15], 0
	s_mov_b64 s[0:1], 0
	s_mov_b32 s13, 0
	s_mov_b64 s[4:5], 0
.LBB1_307:                              ;   Parent Loop BB1_280 Depth=1
                                        ; =>  This Inner Loop Header: Depth=2
	s_delay_alu instid0(SALU_CYCLE_1) | instskip(SKIP_1) | instid1(SALU_CYCLE_1)
	v_add_nc_u64_e32 v[6:7], s[4:5], v[16:17]
	s_add_nc_u64 s[4:5], s[4:5], 1
	v_cmp_eq_u32_e32 vcc_lo, s4, v18
	global_load_u8 v6, v[6:7], off
	s_wait_xcnt 0x0
	v_mov_b32_e32 v7, s10
	s_or_b32 s13, vcc_lo, s13
	s_wait_loadcnt 0x0
	v_and_b32_e32 v6, 0xffff, v6
	s_delay_alu instid0(VALU_DEP_1) | instskip(SKIP_1) | instid1(VALU_DEP_1)
	v_lshlrev_b64_e32 v[6:7], s0, v[6:7]
	s_add_nc_u64 s[0:1], s[0:1], 8
	v_or_b32_e32 v15, v7, v15
	s_delay_alu instid0(VALU_DEP_2)
	v_or_b32_e32 v14, v6, v14
	s_and_not1_b32 exec_lo, exec_lo, s13
	s_cbranch_execnz .LBB1_307
; %bb.308:                              ;   in Loop: Header=BB1_280 Depth=1
	s_or_b32 exec_lo, exec_lo, s13
.LBB1_309:                              ;   in Loop: Header=BB1_280 Depth=1
	s_delay_alu instid0(SALU_CYCLE_1)
	s_or_b32 exec_lo, exec_lo, s12
	v_mov_b64_e32 v[6:7], v[16:17]
                                        ; implicit-def: $vgpr18
.LBB1_310:                              ;   in Loop: Header=BB1_280 Depth=1
	s_or_saveexec_b32 s0, s11
	v_mov_b32_e32 v19, 0
	s_xor_b32 exec_lo, exec_lo, s0
	s_cbranch_execz .LBB1_312
; %bb.311:                              ;   in Loop: Header=BB1_280 Depth=1
	global_load_b64 v[14:15], v[16:17], off
	v_add_nc_u32_e32 v19, -8, v18
.LBB1_312:                              ;   in Loop: Header=BB1_280 Depth=1
	s_wait_xcnt 0x0
	s_or_b32 exec_lo, exec_lo, s0
	v_add_nc_u64_e32 v[20:21], 8, v[6:7]
	s_mov_b32 s0, exec_lo
	v_cmpx_gt_u32_e32 8, v19
	s_xor_b32 s11, exec_lo, s0
	s_cbranch_execz .LBB1_318
; %bb.313:                              ;   in Loop: Header=BB1_280 Depth=1
	v_mov_b64_e32 v[16:17], 0
	s_mov_b32 s12, exec_lo
	v_cmpx_ne_u32_e32 0, v19
	s_cbranch_execz .LBB1_317
; %bb.314:                              ;   in Loop: Header=BB1_280 Depth=1
	v_mov_b64_e32 v[16:17], 0
	s_mov_b64 s[0:1], 0
	s_mov_b32 s13, 0
	s_mov_b64 s[4:5], 0
.LBB1_315:                              ;   Parent Loop BB1_280 Depth=1
                                        ; =>  This Inner Loop Header: Depth=2
	s_delay_alu instid0(SALU_CYCLE_1) | instskip(SKIP_1) | instid1(SALU_CYCLE_1)
	v_add_nc_u64_e32 v[20:21], s[4:5], v[6:7]
	s_add_nc_u64 s[4:5], s[4:5], 1
	v_cmp_eq_u32_e32 vcc_lo, s4, v19
	global_load_u8 v18, v[20:21], off
	s_wait_xcnt 0x0
	v_mov_b32_e32 v21, s10
	s_or_b32 s13, vcc_lo, s13
	s_wait_loadcnt 0x0
	v_and_b32_e32 v20, 0xffff, v18
	s_delay_alu instid0(VALU_DEP_1) | instskip(SKIP_1) | instid1(VALU_DEP_1)
	v_lshlrev_b64_e32 v[20:21], s0, v[20:21]
	s_add_nc_u64 s[0:1], s[0:1], 8
	v_or_b32_e32 v17, v21, v17
	s_delay_alu instid0(VALU_DEP_2)
	v_or_b32_e32 v16, v20, v16
	s_and_not1_b32 exec_lo, exec_lo, s13
	s_cbranch_execnz .LBB1_315
; %bb.316:                              ;   in Loop: Header=BB1_280 Depth=1
	s_or_b32 exec_lo, exec_lo, s13
.LBB1_317:                              ;   in Loop: Header=BB1_280 Depth=1
	s_delay_alu instid0(SALU_CYCLE_1)
	s_or_b32 exec_lo, exec_lo, s12
	v_mov_b64_e32 v[20:21], v[6:7]
                                        ; implicit-def: $vgpr19
.LBB1_318:                              ;   in Loop: Header=BB1_280 Depth=1
	s_or_saveexec_b32 s0, s11
	v_mov_b32_e32 v22, 0
	s_xor_b32 exec_lo, exec_lo, s0
	s_cbranch_execz .LBB1_320
; %bb.319:                              ;   in Loop: Header=BB1_280 Depth=1
	global_load_b64 v[16:17], v[6:7], off
	v_add_nc_u32_e32 v22, -8, v19
.LBB1_320:                              ;   in Loop: Header=BB1_280 Depth=1
	s_wait_xcnt 0x0
	s_or_b32 exec_lo, exec_lo, s0
	v_add_nc_u64_e32 v[6:7], 8, v[20:21]
                                        ; implicit-def: $vgpr18_vgpr19
	s_mov_b32 s0, exec_lo
	v_cmpx_gt_u32_e32 8, v22
	s_xor_b32 s11, exec_lo, s0
	s_cbranch_execz .LBB1_326
; %bb.321:                              ;   in Loop: Header=BB1_280 Depth=1
	v_mov_b64_e32 v[18:19], 0
	s_mov_b32 s12, exec_lo
	v_cmpx_ne_u32_e32 0, v22
	s_cbranch_execz .LBB1_325
; %bb.322:                              ;   in Loop: Header=BB1_280 Depth=1
	v_mov_b64_e32 v[18:19], 0
	s_mov_b64 s[0:1], 0
	s_mov_b32 s13, 0
	s_mov_b64 s[4:5], 0
.LBB1_323:                              ;   Parent Loop BB1_280 Depth=1
                                        ; =>  This Inner Loop Header: Depth=2
	s_delay_alu instid0(SALU_CYCLE_1) | instskip(SKIP_1) | instid1(SALU_CYCLE_1)
	v_add_nc_u64_e32 v[6:7], s[4:5], v[20:21]
	s_add_nc_u64 s[4:5], s[4:5], 1
	v_cmp_eq_u32_e32 vcc_lo, s4, v22
	global_load_u8 v6, v[6:7], off
	s_wait_xcnt 0x0
	v_mov_b32_e32 v7, s10
	s_or_b32 s13, vcc_lo, s13
	s_wait_loadcnt 0x0
	v_and_b32_e32 v6, 0xffff, v6
	s_delay_alu instid0(VALU_DEP_1) | instskip(SKIP_1) | instid1(VALU_DEP_1)
	v_lshlrev_b64_e32 v[6:7], s0, v[6:7]
	s_add_nc_u64 s[0:1], s[0:1], 8
	v_or_b32_e32 v19, v7, v19
	s_delay_alu instid0(VALU_DEP_2)
	v_or_b32_e32 v18, v6, v18
	s_and_not1_b32 exec_lo, exec_lo, s13
	s_cbranch_execnz .LBB1_323
; %bb.324:                              ;   in Loop: Header=BB1_280 Depth=1
	s_or_b32 exec_lo, exec_lo, s13
.LBB1_325:                              ;   in Loop: Header=BB1_280 Depth=1
	s_delay_alu instid0(SALU_CYCLE_1)
	s_or_b32 exec_lo, exec_lo, s12
	v_mov_b64_e32 v[6:7], v[20:21]
                                        ; implicit-def: $vgpr22
.LBB1_326:                              ;   in Loop: Header=BB1_280 Depth=1
	s_or_saveexec_b32 s0, s11
	v_mov_b32_e32 v23, 0
	s_xor_b32 exec_lo, exec_lo, s0
	s_cbranch_execz .LBB1_328
; %bb.327:                              ;   in Loop: Header=BB1_280 Depth=1
	global_load_b64 v[18:19], v[20:21], off
	v_add_nc_u32_e32 v23, -8, v22
.LBB1_328:                              ;   in Loop: Header=BB1_280 Depth=1
	s_wait_xcnt 0x0
	s_or_b32 exec_lo, exec_lo, s0
	s_delay_alu instid0(SALU_CYCLE_1) | instskip(NEXT) | instid1(VALU_DEP_1)
	s_mov_b32 s0, exec_lo
	v_cmpx_gt_u32_e32 8, v23
	s_xor_b32 s4, exec_lo, s0
	s_cbranch_execz .LBB1_334
; %bb.329:                              ;   in Loop: Header=BB1_280 Depth=1
	v_mov_b64_e32 v[20:21], 0
	s_mov_b32 s5, exec_lo
	v_cmpx_ne_u32_e32 0, v23
	s_cbranch_execz .LBB1_333
; %bb.330:                              ;   in Loop: Header=BB1_280 Depth=1
	v_mov_b64_e32 v[20:21], 0
	s_mov_b64 s[0:1], 0
	s_mov_b32 s11, 0
.LBB1_331:                              ;   Parent Loop BB1_280 Depth=1
                                        ; =>  This Inner Loop Header: Depth=2
	global_load_u8 v22, v[6:7], off
	v_dual_mov_b32 v25, s10 :: v_dual_add_nc_u32 v23, -1, v23
	s_wait_xcnt 0x0
	v_add_nc_u64_e32 v[6:7], 1, v[6:7]
	s_delay_alu instid0(VALU_DEP_2) | instskip(SKIP_3) | instid1(VALU_DEP_1)
	v_cmp_eq_u32_e32 vcc_lo, 0, v23
	s_or_b32 s11, vcc_lo, s11
	s_wait_loadcnt 0x0
	v_and_b32_e32 v24, 0xffff, v22
	v_lshlrev_b64_e32 v[24:25], s0, v[24:25]
	s_add_nc_u64 s[0:1], s[0:1], 8
	s_delay_alu instid0(VALU_DEP_1) | instskip(NEXT) | instid1(VALU_DEP_2)
	v_or_b32_e32 v21, v25, v21
	v_or_b32_e32 v20, v24, v20
	s_and_not1_b32 exec_lo, exec_lo, s11
	s_cbranch_execnz .LBB1_331
; %bb.332:                              ;   in Loop: Header=BB1_280 Depth=1
	s_or_b32 exec_lo, exec_lo, s11
.LBB1_333:                              ;   in Loop: Header=BB1_280 Depth=1
	s_delay_alu instid0(SALU_CYCLE_1)
	s_or_b32 exec_lo, exec_lo, s5
                                        ; implicit-def: $vgpr6_vgpr7
.LBB1_334:                              ;   in Loop: Header=BB1_280 Depth=1
	s_and_not1_saveexec_b32 s0, s4
	s_cbranch_execz .LBB1_336
; %bb.335:                              ;   in Loop: Header=BB1_280 Depth=1
	global_load_b64 v[20:21], v[6:7], off
.LBB1_336:                              ;   in Loop: Header=BB1_280 Depth=1
	s_wait_xcnt 0x0
	s_or_b32 exec_lo, exec_lo, s0
	v_readfirstlane_b32 s0, v48
	v_mov_b64_e32 v[6:7], 0
	s_delay_alu instid0(VALU_DEP_2)
	v_cmp_eq_u32_e64 s0, s0, v48
	s_and_saveexec_b32 s1, s0
	s_cbranch_execz .LBB1_342
; %bb.337:                              ;   in Loop: Header=BB1_280 Depth=1
	global_load_b64 v[24:25], v31, s[2:3] offset:24 scope:SCOPE_SYS
	s_wait_loadcnt 0x0
	global_inv scope:SCOPE_SYS
	s_clause 0x1
	global_load_b64 v[6:7], v31, s[2:3] offset:40
	global_load_b64 v[22:23], v31, s[2:3]
	s_mov_b32 s4, exec_lo
	s_wait_loadcnt 0x1
	v_and_b32_e32 v6, v6, v24
	v_and_b32_e32 v7, v7, v25
	s_delay_alu instid0(VALU_DEP_1) | instskip(SKIP_1) | instid1(VALU_DEP_1)
	v_mul_u64_e32 v[6:7], 24, v[6:7]
	s_wait_loadcnt 0x0
	v_add_nc_u64_e32 v[6:7], v[22:23], v[6:7]
	global_load_b64 v[22:23], v[6:7], off scope:SCOPE_SYS
	s_wait_xcnt 0x0
	s_wait_loadcnt 0x0
	global_atomic_cmpswap_b64 v[6:7], v31, v[22:25], s[2:3] offset:24 th:TH_ATOMIC_RETURN scope:SCOPE_SYS
	s_wait_loadcnt 0x0
	global_inv scope:SCOPE_SYS
	s_wait_xcnt 0x0
	v_cmpx_ne_u64_e64 v[6:7], v[24:25]
	s_cbranch_execz .LBB1_341
; %bb.338:                              ;   in Loop: Header=BB1_280 Depth=1
	s_mov_b32 s5, 0
.LBB1_339:                              ;   Parent Loop BB1_280 Depth=1
                                        ; =>  This Inner Loop Header: Depth=2
	s_sleep 1
	s_clause 0x1
	global_load_b64 v[22:23], v31, s[2:3] offset:40
	global_load_b64 v[34:35], v31, s[2:3]
	v_mov_b64_e32 v[24:25], v[6:7]
	s_wait_loadcnt 0x1
	s_delay_alu instid0(VALU_DEP_1) | instskip(NEXT) | instid1(VALU_DEP_2)
	v_and_b32_e32 v6, v22, v24
	v_and_b32_e32 v22, v23, v25
	s_wait_loadcnt 0x0
	s_delay_alu instid0(VALU_DEP_2) | instskip(NEXT) | instid1(VALU_DEP_1)
	v_mad_nc_u64_u32 v[6:7], v6, 24, v[34:35]
	v_mad_u32 v7, v22, 24, v7
	global_load_b64 v[22:23], v[6:7], off scope:SCOPE_SYS
	s_wait_xcnt 0x0
	s_wait_loadcnt 0x0
	global_atomic_cmpswap_b64 v[6:7], v31, v[22:25], s[2:3] offset:24 th:TH_ATOMIC_RETURN scope:SCOPE_SYS
	s_wait_loadcnt 0x0
	global_inv scope:SCOPE_SYS
	v_cmp_eq_u64_e32 vcc_lo, v[6:7], v[24:25]
	s_or_b32 s5, vcc_lo, s5
	s_wait_xcnt 0x0
	s_and_not1_b32 exec_lo, exec_lo, s5
	s_cbranch_execnz .LBB1_339
; %bb.340:                              ;   in Loop: Header=BB1_280 Depth=1
	s_or_b32 exec_lo, exec_lo, s5
.LBB1_341:                              ;   in Loop: Header=BB1_280 Depth=1
	s_delay_alu instid0(SALU_CYCLE_1)
	s_or_b32 exec_lo, exec_lo, s4
.LBB1_342:                              ;   in Loop: Header=BB1_280 Depth=1
	s_delay_alu instid0(SALU_CYCLE_1)
	s_or_b32 exec_lo, exec_lo, s1
	s_clause 0x1
	global_load_b64 v[34:35], v31, s[2:3] offset:40
	global_load_b128 v[22:25], v31, s[2:3]
	v_readfirstlane_b32 s4, v6
	v_readfirstlane_b32 s5, v7
	s_mov_b32 s1, exec_lo
	s_wait_loadcnt 0x1
	v_and_b32_e32 v36, s4, v34
	v_and_b32_e32 v37, s5, v35
	s_delay_alu instid0(VALU_DEP_1) | instskip(SKIP_1) | instid1(VALU_DEP_1)
	v_mul_u64_e32 v[6:7], 24, v[36:37]
	s_wait_loadcnt 0x0
	v_add_nc_u64_e32 v[34:35], v[22:23], v[6:7]
	s_wait_xcnt 0x0
	s_and_saveexec_b32 s11, s0
	s_cbranch_execz .LBB1_344
; %bb.343:                              ;   in Loop: Header=BB1_280 Depth=1
	v_dual_mov_b32 v6, s1 :: v_dual_mov_b32 v7, v31
	global_store_b128 v[34:35], v[6:9], off offset:8
.LBB1_344:                              ;   in Loop: Header=BB1_280 Depth=1
	s_wait_xcnt 0x0
	s_or_b32 exec_lo, exec_lo, s11
	v_cmp_gt_u64_e32 vcc_lo, 57, v[26:27]
	v_lshlrev_b64_e32 v[6:7], 12, v[36:37]
	v_and_b32_e32 v0, 0xffffff1f, v0
	v_lshl_add_u32 v36, v32, 2, 28
	v_cndmask_b32_e32 v29, 0, v28, vcc_lo
	s_delay_alu instid0(VALU_DEP_4) | instskip(NEXT) | instid1(VALU_DEP_2)
	v_add_nc_u64_e32 v[6:7], v[24:25], v[6:7]
	v_or_b32_e32 v0, v0, v29
	s_delay_alu instid0(VALU_DEP_2) | instskip(NEXT) | instid1(VALU_DEP_3)
	v_readfirstlane_b32 s12, v6
	v_readfirstlane_b32 s13, v7
	s_delay_alu instid0(VALU_DEP_3)
	v_and_or_b32 v0, 0x1e0, v36, v0
	s_clause 0x3
	global_store_b128 v30, v[0:3], s[12:13]
	global_store_b128 v30, v[10:13], s[12:13] offset:16
	global_store_b128 v30, v[14:17], s[12:13] offset:32
	;; [unrolled: 1-line block ×3, first 2 shown]
	s_wait_xcnt 0x0
	s_and_saveexec_b32 s1, s0
	s_cbranch_execz .LBB1_352
; %bb.345:                              ;   in Loop: Header=BB1_280 Depth=1
	s_clause 0x1
	global_load_b64 v[14:15], v31, s[2:3] offset:32 scope:SCOPE_SYS
	global_load_b64 v[0:1], v31, s[2:3] offset:40
	s_mov_b32 s11, exec_lo
	v_dual_mov_b32 v12, s4 :: v_dual_mov_b32 v13, s5
	s_wait_loadcnt 0x0
	v_and_b32_e32 v1, s5, v1
	v_and_b32_e32 v0, s4, v0
	s_delay_alu instid0(VALU_DEP_1) | instskip(NEXT) | instid1(VALU_DEP_1)
	v_mul_u64_e32 v[0:1], 24, v[0:1]
	v_add_nc_u64_e32 v[10:11], v[22:23], v[0:1]
	global_store_b64 v[10:11], v[14:15], off
	global_wb scope:SCOPE_SYS
	s_wait_storecnt 0x0
	s_wait_xcnt 0x0
	global_atomic_cmpswap_b64 v[2:3], v31, v[12:15], s[2:3] offset:32 th:TH_ATOMIC_RETURN scope:SCOPE_SYS
	s_wait_loadcnt 0x0
	v_cmpx_ne_u64_e64 v[2:3], v[14:15]
	s_cbranch_execz .LBB1_348
; %bb.346:                              ;   in Loop: Header=BB1_280 Depth=1
	s_mov_b32 s12, 0
.LBB1_347:                              ;   Parent Loop BB1_280 Depth=1
                                        ; =>  This Inner Loop Header: Depth=2
	v_dual_mov_b32 v0, s4 :: v_dual_mov_b32 v1, s5
	s_sleep 1
	global_store_b64 v[10:11], v[2:3], off
	global_wb scope:SCOPE_SYS
	s_wait_storecnt 0x0
	s_wait_xcnt 0x0
	global_atomic_cmpswap_b64 v[0:1], v31, v[0:3], s[2:3] offset:32 th:TH_ATOMIC_RETURN scope:SCOPE_SYS
	s_wait_loadcnt 0x0
	v_cmp_eq_u64_e32 vcc_lo, v[0:1], v[2:3]
	v_mov_b64_e32 v[2:3], v[0:1]
	s_or_b32 s12, vcc_lo, s12
	s_delay_alu instid0(SALU_CYCLE_1)
	s_and_not1_b32 exec_lo, exec_lo, s12
	s_cbranch_execnz .LBB1_347
.LBB1_348:                              ;   in Loop: Header=BB1_280 Depth=1
	s_or_b32 exec_lo, exec_lo, s11
	global_load_b64 v[0:1], v31, s[2:3] offset:16
	s_mov_b32 s12, exec_lo
	s_mov_b32 s11, exec_lo
	v_mbcnt_lo_u32_b32 v2, s12, 0
	s_wait_xcnt 0x0
	s_delay_alu instid0(VALU_DEP_1)
	v_cmpx_eq_u32_e32 0, v2
	s_cbranch_execz .LBB1_350
; %bb.349:                              ;   in Loop: Header=BB1_280 Depth=1
	s_bcnt1_i32_b32 s12, s12
	s_delay_alu instid0(SALU_CYCLE_1)
	v_dual_mov_b32 v3, v31 :: v_dual_mov_b32 v2, s12
	global_wb scope:SCOPE_SYS
	s_wait_loadcnt 0x0
	s_wait_storecnt 0x0
	global_atomic_add_u64 v[0:1], v[2:3], off offset:8 scope:SCOPE_SYS
.LBB1_350:                              ;   in Loop: Header=BB1_280 Depth=1
	s_wait_xcnt 0x0
	s_or_b32 exec_lo, exec_lo, s11
	s_wait_loadcnt 0x0
	global_load_b64 v[2:3], v[0:1], off offset:16
	s_wait_loadcnt 0x0
	v_cmp_eq_u64_e32 vcc_lo, 0, v[2:3]
	s_cbranch_vccnz .LBB1_352
; %bb.351:                              ;   in Loop: Header=BB1_280 Depth=1
	global_load_b32 v0, v[0:1], off offset:24
	s_wait_xcnt 0x0
	v_mov_b32_e32 v1, v31
	s_wait_loadcnt 0x0
	v_readfirstlane_b32 s11, v0
	global_wb scope:SCOPE_SYS
	s_wait_storecnt 0x0
	global_store_b64 v[2:3], v[0:1], off scope:SCOPE_SYS
	s_and_b32 m0, s11, 0xffffff
	s_sendmsg sendmsg(MSG_INTERRUPT)
.LBB1_352:                              ;   in Loop: Header=BB1_280 Depth=1
	s_wait_xcnt 0x0
	s_or_b32 exec_lo, exec_lo, s1
	v_add_nc_u64_e32 v[0:1], v[6:7], v[30:31]
	s_branch .LBB1_356
.LBB1_353:                              ;   in Loop: Header=BB1_356 Depth=2
	s_wait_xcnt 0x0
	s_or_b32 exec_lo, exec_lo, s1
	s_delay_alu instid0(VALU_DEP_1)
	v_readfirstlane_b32 s1, v2
	s_cmp_eq_u32 s1, 0
	s_cbranch_scc1 .LBB1_355
; %bb.354:                              ;   in Loop: Header=BB1_356 Depth=2
	s_sleep 1
	s_cbranch_execnz .LBB1_356
	s_branch .LBB1_358
.LBB1_355:                              ;   in Loop: Header=BB1_280 Depth=1
	s_branch .LBB1_358
.LBB1_356:                              ;   Parent Loop BB1_280 Depth=1
                                        ; =>  This Inner Loop Header: Depth=2
	v_mov_b32_e32 v2, 1
	s_and_saveexec_b32 s1, s0
	s_cbranch_execz .LBB1_353
; %bb.357:                              ;   in Loop: Header=BB1_356 Depth=2
	global_load_b32 v2, v[34:35], off offset:20 scope:SCOPE_SYS
	s_wait_loadcnt 0x0
	global_inv scope:SCOPE_SYS
	v_and_b32_e32 v2, 1, v2
	s_branch .LBB1_353
.LBB1_358:                              ;   in Loop: Header=BB1_280 Depth=1
	global_load_b64 v[0:1], v[0:1], off
	s_wait_xcnt 0x0
	s_and_saveexec_b32 s11, s0
	s_cbranch_execz .LBB1_279
; %bb.359:                              ;   in Loop: Header=BB1_280 Depth=1
	s_clause 0x2
	global_load_b64 v[2:3], v31, s[2:3] offset:40
	global_load_b64 v[14:15], v31, s[2:3] offset:24 scope:SCOPE_SYS
	global_load_b64 v[6:7], v31, s[2:3]
	s_wait_loadcnt 0x2
	v_readfirstlane_b32 s12, v2
	v_readfirstlane_b32 s13, v3
	s_add_nc_u64 s[0:1], s[12:13], 1
	s_delay_alu instid0(SALU_CYCLE_1) | instskip(NEXT) | instid1(SALU_CYCLE_1)
	s_add_nc_u64 s[4:5], s[0:1], s[4:5]
	s_cmp_eq_u64 s[4:5], 0
	s_cselect_b32 s1, s1, s5
	s_cselect_b32 s0, s0, s4
	s_delay_alu instid0(SALU_CYCLE_1) | instskip(SKIP_1) | instid1(SALU_CYCLE_1)
	v_dual_mov_b32 v13, s1 :: v_dual_mov_b32 v12, s0
	s_and_b64 s[4:5], s[0:1], s[12:13]
	s_mul_u64 s[4:5], s[4:5], 24
	s_wait_loadcnt 0x0
	v_add_nc_u64_e32 v[2:3], s[4:5], v[6:7]
	global_store_b64 v[2:3], v[14:15], off
	global_wb scope:SCOPE_SYS
	s_wait_storecnt 0x0
	s_wait_xcnt 0x0
	global_atomic_cmpswap_b64 v[12:13], v31, v[12:15], s[2:3] offset:24 th:TH_ATOMIC_RETURN scope:SCOPE_SYS
	s_wait_loadcnt 0x0
	v_cmp_ne_u64_e32 vcc_lo, v[12:13], v[14:15]
	s_and_b32 exec_lo, exec_lo, vcc_lo
	s_cbranch_execz .LBB1_279
; %bb.360:                              ;   in Loop: Header=BB1_280 Depth=1
	s_mov_b32 s4, 0
.LBB1_361:                              ;   Parent Loop BB1_280 Depth=1
                                        ; =>  This Inner Loop Header: Depth=2
	v_dual_mov_b32 v10, s0 :: v_dual_mov_b32 v11, s1
	s_sleep 1
	global_store_b64 v[2:3], v[12:13], off
	global_wb scope:SCOPE_SYS
	s_wait_storecnt 0x0
	s_wait_xcnt 0x0
	global_atomic_cmpswap_b64 v[6:7], v31, v[10:13], s[2:3] offset:24 th:TH_ATOMIC_RETURN scope:SCOPE_SYS
	s_wait_loadcnt 0x0
	v_cmp_eq_u64_e32 vcc_lo, v[6:7], v[12:13]
	v_mov_b64_e32 v[12:13], v[6:7]
	s_or_b32 s4, vcc_lo, s4
	s_delay_alu instid0(SALU_CYCLE_1)
	s_and_not1_b32 exec_lo, exec_lo, s4
	s_cbranch_execnz .LBB1_361
	s_branch .LBB1_279
.LBB1_362:
	s_or_b32 exec_lo, exec_lo, s7
                                        ; implicit-def: $vgpr30
                                        ; implicit-def: $vgpr48
.LBB1_363:
	s_and_not1_saveexec_b32 s6, s6
	s_cbranch_execz .LBB1_391
; %bb.364:
	v_readfirstlane_b32 s0, v48
	v_mov_b64_e32 v[2:3], 0
	s_delay_alu instid0(VALU_DEP_2)
	v_cmp_eq_u32_e64 s0, s0, v48
	s_and_saveexec_b32 s1, s0
	s_cbranch_execz .LBB1_370
; %bb.365:
	v_mov_b32_e32 v4, 0
	s_mov_b32 s4, exec_lo
	global_load_b64 v[8:9], v4, s[2:3] offset:24 scope:SCOPE_SYS
	s_wait_loadcnt 0x0
	global_inv scope:SCOPE_SYS
	s_clause 0x1
	global_load_b64 v[2:3], v4, s[2:3] offset:40
	global_load_b64 v[6:7], v4, s[2:3]
	s_wait_loadcnt 0x1
	v_and_b32_e32 v2, v2, v8
	v_and_b32_e32 v3, v3, v9
	s_delay_alu instid0(VALU_DEP_1) | instskip(SKIP_1) | instid1(VALU_DEP_1)
	v_mul_u64_e32 v[2:3], 24, v[2:3]
	s_wait_loadcnt 0x0
	v_add_nc_u64_e32 v[2:3], v[6:7], v[2:3]
	global_load_b64 v[6:7], v[2:3], off scope:SCOPE_SYS
	s_wait_xcnt 0x0
	s_wait_loadcnt 0x0
	global_atomic_cmpswap_b64 v[2:3], v4, v[6:9], s[2:3] offset:24 th:TH_ATOMIC_RETURN scope:SCOPE_SYS
	s_wait_loadcnt 0x0
	global_inv scope:SCOPE_SYS
	s_wait_xcnt 0x0
	v_cmpx_ne_u64_e64 v[2:3], v[8:9]
	s_cbranch_execz .LBB1_369
; %bb.366:
	s_mov_b32 s5, 0
.LBB1_367:                              ; =>This Inner Loop Header: Depth=1
	s_sleep 1
	s_clause 0x1
	global_load_b64 v[6:7], v4, s[2:3] offset:40
	global_load_b64 v[10:11], v4, s[2:3]
	v_mov_b64_e32 v[8:9], v[2:3]
	s_wait_loadcnt 0x1
	s_delay_alu instid0(VALU_DEP_1) | instskip(NEXT) | instid1(VALU_DEP_2)
	v_and_b32_e32 v2, v6, v8
	v_and_b32_e32 v5, v7, v9
	s_wait_loadcnt 0x0
	s_delay_alu instid0(VALU_DEP_2) | instskip(NEXT) | instid1(VALU_DEP_1)
	v_mad_nc_u64_u32 v[2:3], v2, 24, v[10:11]
	v_mad_u32 v3, v5, 24, v3
	global_load_b64 v[6:7], v[2:3], off scope:SCOPE_SYS
	s_wait_xcnt 0x0
	s_wait_loadcnt 0x0
	global_atomic_cmpswap_b64 v[2:3], v4, v[6:9], s[2:3] offset:24 th:TH_ATOMIC_RETURN scope:SCOPE_SYS
	s_wait_loadcnt 0x0
	global_inv scope:SCOPE_SYS
	v_cmp_eq_u64_e32 vcc_lo, v[2:3], v[8:9]
	s_or_b32 s5, vcc_lo, s5
	s_wait_xcnt 0x0
	s_and_not1_b32 exec_lo, exec_lo, s5
	s_cbranch_execnz .LBB1_367
; %bb.368:
	s_or_b32 exec_lo, exec_lo, s5
.LBB1_369:
	s_delay_alu instid0(SALU_CYCLE_1)
	s_or_b32 exec_lo, exec_lo, s4
.LBB1_370:
	s_delay_alu instid0(SALU_CYCLE_1)
	s_or_b32 exec_lo, exec_lo, s1
	v_readfirstlane_b32 s4, v2
	v_mov_b32_e32 v31, 0
	v_readfirstlane_b32 s5, v3
	s_mov_b32 s1, exec_lo
	s_clause 0x1
	global_load_b64 v[8:9], v31, s[2:3] offset:40
	global_load_b128 v[4:7], v31, s[2:3]
	s_wait_loadcnt 0x1
	v_and_b32_e32 v2, s4, v8
	v_and_b32_e32 v3, s5, v9
	s_delay_alu instid0(VALU_DEP_1) | instskip(SKIP_1) | instid1(VALU_DEP_1)
	v_mul_u64_e32 v[8:9], 24, v[2:3]
	s_wait_loadcnt 0x0
	v_add_nc_u64_e32 v[8:9], v[4:5], v[8:9]
	s_wait_xcnt 0x0
	s_and_saveexec_b32 s7, s0
	s_cbranch_execz .LBB1_372
; %bb.371:
	v_mov_b64_e32 v[12:13], 0x100000002
	v_dual_mov_b32 v10, s1 :: v_dual_mov_b32 v11, v31
	global_store_b128 v[8:9], v[10:13], off offset:8
.LBB1_372:
	s_wait_xcnt 0x0
	s_or_b32 exec_lo, exec_lo, s7
	v_lshlrev_b64_e32 v[2:3], 12, v[2:3]
	s_mov_b32 s12, 0
	v_and_or_b32 v0, 0xffffff1f, v0, 32
	s_mov_b32 s13, s12
	s_mov_b32 s14, s12
	;; [unrolled: 1-line block ×3, first 2 shown]
	v_mov_b64_e32 v[10:11], s[12:13]
	v_add_nc_u64_e32 v[6:7], v[6:7], v[2:3]
	v_mov_b64_e32 v[12:13], s[14:15]
	v_dual_mov_b32 v2, v31 :: v_dual_mov_b32 v3, v31
	s_delay_alu instid0(VALU_DEP_3) | instskip(NEXT) | instid1(VALU_DEP_4)
	v_readfirstlane_b32 s10, v6
	v_readfirstlane_b32 s11, v7
	s_clause 0x3
	global_store_b128 v30, v[0:3], s[10:11]
	global_store_b128 v30, v[10:13], s[10:11] offset:16
	global_store_b128 v30, v[10:13], s[10:11] offset:32
	global_store_b128 v30, v[10:13], s[10:11] offset:48
	s_wait_xcnt 0x0
	s_and_saveexec_b32 s1, s0
	s_cbranch_execz .LBB1_380
; %bb.373:
	v_dual_mov_b32 v10, 0 :: v_dual_mov_b32 v13, s5
	s_mov_b32 s7, exec_lo
	s_clause 0x1
	global_load_b64 v[14:15], v10, s[2:3] offset:32 scope:SCOPE_SYS
	global_load_b64 v[0:1], v10, s[2:3] offset:40
	s_wait_loadcnt 0x0
	v_dual_mov_b32 v12, s4 :: v_dual_bitop2_b32 v1, s5, v1 bitop3:0x40
	v_and_b32_e32 v0, s4, v0
	s_delay_alu instid0(VALU_DEP_1) | instskip(NEXT) | instid1(VALU_DEP_1)
	v_mul_u64_e32 v[0:1], 24, v[0:1]
	v_add_nc_u64_e32 v[4:5], v[4:5], v[0:1]
	global_store_b64 v[4:5], v[14:15], off
	global_wb scope:SCOPE_SYS
	s_wait_storecnt 0x0
	s_wait_xcnt 0x0
	global_atomic_cmpswap_b64 v[2:3], v10, v[12:15], s[2:3] offset:32 th:TH_ATOMIC_RETURN scope:SCOPE_SYS
	s_wait_loadcnt 0x0
	v_cmpx_ne_u64_e64 v[2:3], v[14:15]
	s_cbranch_execz .LBB1_376
; %bb.374:
	s_mov_b32 s10, 0
.LBB1_375:                              ; =>This Inner Loop Header: Depth=1
	v_dual_mov_b32 v0, s4 :: v_dual_mov_b32 v1, s5
	s_sleep 1
	global_store_b64 v[4:5], v[2:3], off
	global_wb scope:SCOPE_SYS
	s_wait_storecnt 0x0
	s_wait_xcnt 0x0
	global_atomic_cmpswap_b64 v[0:1], v10, v[0:3], s[2:3] offset:32 th:TH_ATOMIC_RETURN scope:SCOPE_SYS
	s_wait_loadcnt 0x0
	v_cmp_eq_u64_e32 vcc_lo, v[0:1], v[2:3]
	v_mov_b64_e32 v[2:3], v[0:1]
	s_or_b32 s10, vcc_lo, s10
	s_delay_alu instid0(SALU_CYCLE_1)
	s_and_not1_b32 exec_lo, exec_lo, s10
	s_cbranch_execnz .LBB1_375
.LBB1_376:
	s_or_b32 exec_lo, exec_lo, s7
	v_mov_b32_e32 v3, 0
	s_mov_b32 s10, exec_lo
	s_mov_b32 s7, exec_lo
	v_mbcnt_lo_u32_b32 v2, s10, 0
	global_load_b64 v[0:1], v3, s[2:3] offset:16
	s_wait_xcnt 0x0
	v_cmpx_eq_u32_e32 0, v2
	s_cbranch_execz .LBB1_378
; %bb.377:
	s_bcnt1_i32_b32 s10, s10
	s_delay_alu instid0(SALU_CYCLE_1)
	v_mov_b32_e32 v2, s10
	global_wb scope:SCOPE_SYS
	s_wait_loadcnt 0x0
	s_wait_storecnt 0x0
	global_atomic_add_u64 v[0:1], v[2:3], off offset:8 scope:SCOPE_SYS
.LBB1_378:
	s_wait_xcnt 0x0
	s_or_b32 exec_lo, exec_lo, s7
	s_wait_loadcnt 0x0
	global_load_b64 v[2:3], v[0:1], off offset:16
	s_wait_loadcnt 0x0
	v_cmp_eq_u64_e32 vcc_lo, 0, v[2:3]
	s_cbranch_vccnz .LBB1_380
; %bb.379:
	global_load_b32 v0, v[0:1], off offset:24
	s_wait_xcnt 0x0
	v_mov_b32_e32 v1, 0
	s_wait_loadcnt 0x0
	v_readfirstlane_b32 s7, v0
	global_wb scope:SCOPE_SYS
	s_wait_storecnt 0x0
	global_store_b64 v[2:3], v[0:1], off scope:SCOPE_SYS
	s_and_b32 m0, s7, 0xffffff
	s_sendmsg sendmsg(MSG_INTERRUPT)
.LBB1_380:
	s_wait_xcnt 0x0
	s_or_b32 exec_lo, exec_lo, s1
	v_add_nc_u64_e32 v[0:1], v[6:7], v[30:31]
	s_branch .LBB1_384
.LBB1_381:                              ;   in Loop: Header=BB1_384 Depth=1
	s_wait_xcnt 0x0
	s_or_b32 exec_lo, exec_lo, s1
	s_delay_alu instid0(VALU_DEP_1)
	v_readfirstlane_b32 s1, v2
	s_cmp_eq_u32 s1, 0
	s_cbranch_scc1 .LBB1_383
; %bb.382:                              ;   in Loop: Header=BB1_384 Depth=1
	s_sleep 1
	s_cbranch_execnz .LBB1_384
	s_branch .LBB1_386
.LBB1_383:
	s_branch .LBB1_386
.LBB1_384:                              ; =>This Inner Loop Header: Depth=1
	v_mov_b32_e32 v2, 1
	s_and_saveexec_b32 s1, s0
	s_cbranch_execz .LBB1_381
; %bb.385:                              ;   in Loop: Header=BB1_384 Depth=1
	global_load_b32 v2, v[8:9], off offset:20 scope:SCOPE_SYS
	s_wait_loadcnt 0x0
	global_inv scope:SCOPE_SYS
	v_and_b32_e32 v2, 1, v2
	s_branch .LBB1_381
.LBB1_386:
	global_load_b64 v[0:1], v[0:1], off
	s_wait_xcnt 0x0
	s_and_saveexec_b32 s7, s0
	s_cbranch_execz .LBB1_390
; %bb.387:
	v_mov_b32_e32 v8, 0
	s_clause 0x2
	global_load_b64 v[2:3], v8, s[2:3] offset:40
	global_load_b64 v[12:13], v8, s[2:3] offset:24 scope:SCOPE_SYS
	global_load_b64 v[4:5], v8, s[2:3]
	s_wait_loadcnt 0x2
	v_readfirstlane_b32 s10, v2
	v_readfirstlane_b32 s11, v3
	s_add_nc_u64 s[0:1], s[10:11], 1
	s_delay_alu instid0(SALU_CYCLE_1) | instskip(NEXT) | instid1(SALU_CYCLE_1)
	s_add_nc_u64 s[4:5], s[0:1], s[4:5]
	s_cmp_eq_u64 s[4:5], 0
	s_cselect_b32 s1, s1, s5
	s_cselect_b32 s0, s0, s4
	v_mov_b32_e32 v11, s1
	s_and_b64 s[4:5], s[0:1], s[10:11]
	v_mov_b32_e32 v10, s0
	s_mul_u64 s[4:5], s[4:5], 24
	s_wait_loadcnt 0x0
	v_add_nc_u64_e32 v[6:7], s[4:5], v[4:5]
	global_store_b64 v[6:7], v[12:13], off
	global_wb scope:SCOPE_SYS
	s_wait_storecnt 0x0
	s_wait_xcnt 0x0
	global_atomic_cmpswap_b64 v[4:5], v8, v[10:13], s[2:3] offset:24 th:TH_ATOMIC_RETURN scope:SCOPE_SYS
	s_wait_loadcnt 0x0
	v_cmp_ne_u64_e32 vcc_lo, v[4:5], v[12:13]
	s_and_b32 exec_lo, exec_lo, vcc_lo
	s_cbranch_execz .LBB1_390
; %bb.388:
	s_mov_b32 s4, 0
.LBB1_389:                              ; =>This Inner Loop Header: Depth=1
	v_dual_mov_b32 v2, s0 :: v_dual_mov_b32 v3, s1
	s_sleep 1
	global_store_b64 v[6:7], v[4:5], off
	global_wb scope:SCOPE_SYS
	s_wait_storecnt 0x0
	s_wait_xcnt 0x0
	global_atomic_cmpswap_b64 v[2:3], v8, v[2:5], s[2:3] offset:24 th:TH_ATOMIC_RETURN scope:SCOPE_SYS
	s_wait_loadcnt 0x0
	v_cmp_eq_u64_e32 vcc_lo, v[2:3], v[4:5]
	v_mov_b64_e32 v[4:5], v[2:3]
	s_or_b32 s4, vcc_lo, s4
	s_delay_alu instid0(SALU_CYCLE_1)
	s_and_not1_b32 exec_lo, exec_lo, s4
	s_cbranch_execnz .LBB1_389
.LBB1_390:
	s_or_b32 exec_lo, exec_lo, s7
.LBB1_391:
	s_delay_alu instid0(SALU_CYCLE_1)
	s_or_b32 exec_lo, exec_lo, s6
	s_get_pc_i64 s[0:1]
	s_add_nc_u64 s[0:1], s[0:1], .str.3@rel64+4
	s_get_pc_i64 s[2:3]
	s_add_nc_u64 s[2:3], s[2:3], .str.3@rel64+32
	v_dual_mov_b32 v2, s0 :: v_dual_mov_b32 v3, s1
	s_sub_co_i32 s4, s2, s0
	v_mov_b32_e32 v6, 1
	s_ashr_i32 s5, s4, 31
	s_delay_alu instid0(SALU_CYCLE_1) | instskip(SKIP_2) | instid1(SALU_CYCLE_1)
	v_dual_mov_b32 v4, s4 :: v_dual_mov_b32 v5, s5
	s_get_pc_i64 s[2:3]
	s_add_nc_u64 s[2:3], s[2:3], __ockl_fprintf_append_string_n@rel64+4
	s_swap_pc_i64 s[30:31], s[2:3]
	s_trap 2
.Lfunc_end1:
	.size	__assert_fail, .Lfunc_end1-__assert_fail
                                        ; -- End function
	.set .L__assert_fail.num_vgpr, max(49, .L__ockl_fprintf_append_string_n.num_vgpr)
	.set .L__assert_fail.num_agpr, max(0, .L__ockl_fprintf_append_string_n.num_agpr)
	.set .L__assert_fail.numbered_sgpr, max(34, .L__ockl_fprintf_append_string_n.numbered_sgpr)
	.set .L__assert_fail.num_named_barrier, max(0, .L__ockl_fprintf_append_string_n.num_named_barrier)
	.set .L__assert_fail.private_seg_size, 64+max(.L__ockl_fprintf_append_string_n.private_seg_size)
	.set .L__assert_fail.uses_vcc, or(1, .L__ockl_fprintf_append_string_n.uses_vcc)
	.set .L__assert_fail.uses_flat_scratch, or(1, .L__ockl_fprintf_append_string_n.uses_flat_scratch)
	.set .L__assert_fail.has_dyn_sized_stack, or(0, .L__ockl_fprintf_append_string_n.has_dyn_sized_stack)
	.set .L__assert_fail.has_recursion, or(0, .L__ockl_fprintf_append_string_n.has_recursion)
	.set .L__assert_fail.has_indirect_call, or(0, .L__ockl_fprintf_append_string_n.has_indirect_call)
	.section	.AMDGPU.csdata,"",@progbits
; Function info:
; codeLenInByte = 15740
; TotalNumSgprs: 36
; NumVgprs: 49
; ScratchSize: 64
; MemoryBound: 0
	.text
	.p2align	2                               ; -- Begin function _ZN12_GLOBAL__N_17runRingI12hip_bfloat168FuncProdIS1_E11ProtoSimpleILi2ELi2ELi0ELi1ELi0ELi0EELi0ELi0ELi1ELi0EEEviiP15ncclDevWorkColl
	.type	_ZN12_GLOBAL__N_17runRingI12hip_bfloat168FuncProdIS1_E11ProtoSimpleILi2ELi2ELi0ELi1ELi0ELi0EELi0ELi0ELi1ELi0EEEviiP15ncclDevWorkColl,@function
_ZN12_GLOBAL__N_17runRingI12hip_bfloat168FuncProdIS1_E11ProtoSimpleILi2ELi2ELi0ELi1ELi0ELi0EELi0ELi0ELi1ELi0EEEviiP15ncclDevWorkColl: ; @_ZN12_GLOBAL__N_17runRingI12hip_bfloat168FuncProdIS1_E11ProtoSimpleILi2ELi2ELi0ELi1ELi0ELi0EELi0ELi0ELi1ELi0EEEviiP15ncclDevWorkColl
; %bb.0:
	s_wait_loadcnt_dscnt 0x0
	s_wait_kmcnt 0x0
	s_mov_b32 s79, s33
	s_mov_b32 s33, s32
	s_or_saveexec_b32 s0, -1
	scratch_store_b32 off, v93, s33 offset:116 ; 4-byte Folded Spill
	s_wait_xcnt 0x0
	s_mov_b32 exec_lo, s0
	s_addk_co_i32 s32, 0x80
	s_clause 0x1c
	scratch_store_b32 off, v40, s33 offset:112
	; meta instruction
	scratch_store_b32 off, v41, s33 offset:108
	; meta instruction
	;; [unrolled: 2-line block ×28, first 2 shown]
	scratch_store_b32 off, v92, s33
	v_writelane_b32 v93, s30, 0
	v_writelane_b32 v93, s31, 1
	s_trap 2
	flat_load_b32 v7, v[2:3]
	ds_load_b32 v6, v0
	s_mov_b32 s0, exec_lo
                                        ; implicit-def: $vgpr14_vgpr15
                                        ; implicit-def: $vgpr16_vgpr17
                                        ; implicit-def: $vgpr4_vgpr5
	s_wait_dscnt 0x0
	v_readfirstlane_b32 s16, v6
	s_wait_loadcnt 0x0
	v_and_b32_e32 v8, 0xff, v7
	s_wait_xcnt 0x0
	s_delay_alu instid0(VALU_DEP_1)
	v_cmpx_ne_u32_e64 v6, v8
	s_xor_b32 s0, exec_lo, s0
	s_cbranch_execz .LBB2_6
; %bb.1:
	v_bfe_u32 v9, v7, 8, 8
	v_not_b32_e32 v8, v8
	s_mov_b32 s1, exec_lo
                                        ; implicit-def: $vgpr14_vgpr15
                                        ; implicit-def: $vgpr16_vgpr17
                                        ; implicit-def: $vgpr4_vgpr5
	s_delay_alu instid0(VALU_DEP_2)
	v_cmpx_ne_u32_e64 v6, v9
	s_xor_b32 s1, exec_lo, s1
	s_cbranch_execz .LBB2_3
; %bb.2:
	s_clause 0x1
	flat_load_b128 v[10:13], v[2:3] offset:72
	flat_load_b64 v[4:5], v[2:3] offset:96
	v_add_nc_u32_e32 v6, v6, v8
                                        ; implicit-def: $vgpr9
                                        ; implicit-def: $vgpr8
	s_wait_loadcnt_dscnt 0x101
	s_delay_alu instid0(VALU_DEP_1) | instskip(SKIP_3) | instid1(VALU_DEP_3)
	v_mad_nc_u64_u32 v[16:17], v12, v6, v[10:11]
	s_wait_loadcnt_dscnt 0x0
	v_lshrrev_b64 v[14:15], 13, v[4:5]
	v_mov_b64_e32 v[4:5], v[12:13]
	v_mad_u32 v7, v13, v6, v17
	v_ashrrev_i32_e32 v6, 31, v6
	s_delay_alu instid0(VALU_DEP_1)
	v_mad_u32 v17, v12, v6, v7
.LBB2_3:
	s_wait_xcnt 0x0
	s_and_not1_saveexec_b32 s1, s1
	s_cbranch_execz .LBB2_5
; %bb.4:
	s_clause 0x1
	flat_load_b128 v[10:13], v[2:3] offset:72
	flat_load_b128 v[4:7], v[2:3] offset:88
	s_wait_loadcnt_dscnt 0x0
	v_dual_add_nc_u32 v6, v9, v8 :: v_dual_lshrrev_b32 v14, 2, v7
	s_delay_alu instid0(VALU_DEP_1) | instskip(NEXT) | instid1(VALU_DEP_1)
	v_mad_nc_u64_u32 v[16:17], v12, v6, v[10:11]
	v_mad_u32 v8, v13, v6, v17
	v_ashrrev_i32_e32 v6, 31, v6
	s_delay_alu instid0(VALU_DEP_1)
	v_mad_u32 v17, v12, v6, v8
.LBB2_5:
	s_wait_xcnt 0x0
	s_or_b32 exec_lo, exec_lo, s1
.LBB2_6:
	s_and_not1_saveexec_b32 s0, s0
	s_cbranch_execz .LBB2_8
; %bb.7:
	s_clause 0x1
	flat_load_b64 v[6:7], v[2:3] offset:96
	flat_load_b64 v[4:5], v[2:3] offset:72
	v_mov_b64_e32 v[16:17], 0
	s_wait_loadcnt_dscnt 0x101
	v_lshlrev_b64_e32 v[14:15], 8, v[6:7]
.LBB2_8:
	s_wait_xcnt 0x0
	s_or_b32 exec_lo, exec_lo, s0
	s_trap 2
	ds_load_b64 v[6:7], v0
	s_mov_b32 s1, 0
	s_mov_b32 s2, exec_lo
	s_wait_dscnt 0x0
	v_cmp_ne_u32_e32 vcc_lo, -1, v6
	v_cndmask_b32_e64 v15, 0, 1, vcc_lo
	v_cmp_ne_u32_e32 vcc_lo, -1, v7
	s_delay_alu instid0(VALU_DEP_2) | instskip(NEXT) | instid1(VALU_DEP_1)
	v_add_co_ci_u32_e64 v8, null, 0, v15, vcc_lo
	v_lshlrev_b32_e32 v6, 1, v8
	s_delay_alu instid0(VALU_DEP_1)
	v_cmpx_le_u32_e64 v6, v1
	s_xor_b32 s42, exec_lo, s2
	s_cbranch_execz .LBB2_1514
; %bb.9:
	s_clause 0x3
	flat_load_b128 v[10:13], v[2:3] offset:16
	flat_load_b64 v[32:33], v[2:3] offset:104
	flat_load_u16 v7, v[2:3] offset:8
	flat_load_b32 v6, v[2:3] offset:4
	s_trap 2
	s_load_b32 s0, s[8:9], 0x0
	s_bfe_u32 s2, ttmp6, 0x4000c
	s_and_b32 s3, ttmp6, 15
	s_add_co_i32 s2, s2, 1
	s_getreg_b32 s4, hwreg(HW_REG_IB_STS2, 6, 4)
	s_mul_i32 s2, ttmp9, s2
	v_dual_mov_b32 v9, 0 :: v_dual_mov_b32 v30, 4
	s_add_co_i32 s3, s3, s2
	s_cmp_eq_u32 s4, 0
	s_cselect_b32 s2, ttmp9, s3
	s_wait_kmcnt 0x0
	s_cmp_lt_u32 s2, s0
	s_cselect_b32 s0, 12, 18
	s_delay_alu instid0(SALU_CYCLE_1)
	s_add_nc_u64 s[0:1], s[8:9], s[0:1]
	global_load_u16 v25, v9, s[0:1]
	s_wait_xcnt 0x0
	ds_load_b32 v9, v0
	s_mov_b32 s1, exec_lo
	s_wait_dscnt 0x0
	v_readfirstlane_b32 s6, v9
	v_cmpx_ge_i32_e64 v0, v15
	s_cbranch_execz .LBB2_19
; %bb.10:
	v_cmp_ge_u32_e64 s0, v0, v8
                                        ; implicit-def: $vgpr30
	s_and_saveexec_b32 s2, s0
	s_delay_alu instid0(SALU_CYCLE_1)
	s_xor_b32 s0, exec_lo, s2
	s_cbranch_execz .LBB2_16
; %bb.11:
	v_cndmask_b32_e64 v9, 0, 1, vcc_lo
	s_mov_b32 s2, exec_lo
	s_delay_alu instid0(VALU_DEP_1) | instskip(NEXT) | instid1(VALU_DEP_1)
	v_sub_nc_u32_e32 v9, v1, v9
	v_cmpx_ge_u32_e64 v0, v9
	s_xor_b32 s2, exec_lo, s2
; %bb.12:
                                        ; implicit-def: $vgpr8
; %bb.13:
	s_delay_alu instid0(SALU_CYCLE_1)
	s_or_saveexec_b32 s2, s2
	v_mov_b32_e32 v30, 16
	s_xor_b32 exec_lo, exec_lo, s2
; %bb.14:
	v_sub_nc_u32_e32 v8, v1, v8
	s_delay_alu instid0(VALU_DEP_1)
	v_cmp_lt_i32_e32 vcc_lo, v0, v8
	v_cndmask_b32_e64 v30, 32, 0, vcc_lo
; %bb.15:
	s_or_b32 exec_lo, exec_lo, s2
.LBB2_16:
	s_and_not1_saveexec_b32 s0, s0
; %bb.17:
	v_mov_b32_e32 v30, 8
; %bb.18:
	s_or_b32 exec_lo, exec_lo, s0
.LBB2_19:
	s_delay_alu instid0(SALU_CYCLE_1) | instskip(NEXT) | instid1(VALU_DEP_1)
	s_or_b32 exec_lo, exec_lo, s1
	v_dual_mov_b32 v36, -1 :: v_dual_bitop2_b32 v8, 36, v30 bitop3:0x40
	s_delay_alu instid0(VALU_DEP_1)
	v_cmp_ne_u32_e32 vcc_lo, 0, v8
	s_and_saveexec_b32 s0, vcc_lo
	s_cbranch_execz .LBB2_21
; %bb.20:
	s_trap 2
	ds_load_b32 v36, v0
.LBB2_21:
	s_or_b32 exec_lo, exec_lo, s0
	v_and_b32_e32 v8, 24, v30
	s_mov_b32 s1, exec_lo
	s_delay_alu instid0(VALU_DEP_1)
	v_cmpx_ne_u32_e32 0, v8
	s_cbranch_execz .LBB2_23
; %bb.22:
	s_trap 2
	s_wait_dscnt 0x0
	ds_load_b32 v36, v0
.LBB2_23:
	s_or_b32 exec_lo, exec_lo, s1
	s_wait_loadcnt 0x1
	v_lshrrev_b64 v[6:7], 31, v[6:7]
	v_mov_b64_e32 v[20:21], 0
                                        ; implicit-def: $vgpr18_vgpr19
                                        ; implicit-def: $vgpr24
                                        ; implicit-def: $vgpr98_vgpr99
                                        ; implicit-def: $vgpr26_vgpr27
                                        ; implicit-def: $vgpr34_vgpr35
                                        ; implicit-def: $vgpr22_vgpr23
	s_delay_alu instid0(VALU_DEP_2) | instskip(SKIP_1) | instid1(VALU_DEP_2)
	v_and_b32_e32 v8, 3, v6
	v_mov_b64_e32 v[6:7], 0
	v_and_b32_e32 v37, 0xffff, v8
	s_and_saveexec_b32 s0, vcc_lo
	s_cbranch_execz .LBB2_33
; %bb.24:
	s_trap 2
	ds_load_b64 v[6:7], v0
	s_mov_b32 s1, exec_lo
                                        ; implicit-def: $vgpr18_vgpr19
	s_wait_dscnt 0x0
	v_readfirstlane_b32 s2, v6
	v_readfirstlane_b32 s3, v7
	flat_load_b64 v[6:7], v36, s[2:3] scale_offset
	s_wait_loadcnt_dscnt 0x0
	v_mad_nc_u64_u32 v[8:9], 0xa8, v37, v[6:7]
	flat_load_b32 v6, v[8:9] offset:640
	s_wait_loadcnt_dscnt 0x0
	v_cmpx_eq_u32_e32 1, v6
	s_cbranch_execz .LBB2_26
; %bb.25:
	flat_load_b64 v[18:19], v[8:9] offset:648
	v_or_b32_e32 v30, 0x2000, v30
	s_wait_loadcnt_dscnt 0x0
	flat_load_b64 v[6:7], v[18:19]
	s_trap 2
	s_wait_loadcnt_dscnt 0x0
	ds_store_b64 v0, v[6:7]
	flat_load_b64 v[6:7], v[18:19] offset:8
	s_wait_loadcnt_dscnt 0x0
	ds_store_b64 v0, v[6:7]
	flat_load_b64 v[6:7], v[18:19] offset:16
	s_wait_loadcnt_dscnt 0x0
	ds_store_b64 v0, v[6:7]
.LBB2_26:
	s_wait_xcnt 0x0
	s_or_b32 exec_lo, exec_lo, s1
	flat_load_b64 v[6:7], v[8:9] offset:608
	s_mov_b32 s1, exec_lo
                                        ; implicit-def: $vgpr22_vgpr23
	s_wait_loadcnt_dscnt 0x0
	v_add_nc_u64_e32 v[98:99], 3, v[6:7]
	v_and_b32_e32 v6, 32, v30
	s_delay_alu instid0(VALU_DEP_2) | instskip(SKIP_1) | instid1(VALU_DEP_2)
	v_and_b32_e32 v98, -4, v98
	s_wait_xcnt 0x0
	v_cmpx_ne_u32_e32 0, v6
	s_cbranch_execz .LBB2_28
; %bb.27:
	flat_load_b64 v[22:23], v[8:9] offset:560
	global_wb scope:SCOPE_SYS
	s_wait_storecnt 0x0
	s_wait_xcnt 0x0
	s_wait_loadcnt_dscnt 0x0
	flat_store_b64 v[22:23], v[98:99] scope:SCOPE_SYS
.LBB2_28:
	s_wait_xcnt 0x0
	s_or_b32 exec_lo, exec_lo, s1
	v_and_b32_e32 v24, 4, v30
	v_add_nc_u64_e32 v[20:21], 0x1f8, v[8:9]
	v_mov_b64_e32 v[6:7], 0
                                        ; implicit-def: $vgpr26_vgpr27
                                        ; implicit-def: $vgpr34_vgpr35
	s_delay_alu instid0(VALU_DEP_3)
	v_cmp_ne_u32_e32 vcc_lo, 0, v24
                                        ; implicit-def: $vgpr24
	s_and_saveexec_b32 s1, vcc_lo
	s_cbranch_execz .LBB2_32
; %bb.29:
	v_and_b32_e32 v6, 0x800, v30
	s_mov_b32 s2, exec_lo
	s_delay_alu instid0(VALU_DEP_1)
	v_cmpx_eq_u32_e32 0, v6
	s_cbranch_execz .LBB2_31
; %bb.30:
	s_trap 2
	ds_store_b64 v0, v[20:21]
.LBB2_31:
	s_or_b32 exec_lo, exec_lo, s2
	flat_load_b64 v[22:23], v[8:9] offset:552
	s_wait_loadcnt_dscnt 0x0
	flat_load_b64 v[34:35], v[22:23] scope:SCOPE_SYS
	s_clause 0x2
	flat_load_b32 v24, v[8:9] offset:576
	flat_load_b64 v[6:7], v[8:9] offset:600
	flat_load_b64 v[26:27], v[8:9] offset:520
	s_wait_xcnt 0x0
	v_or_b32_e32 v8, 0x100, v30
	s_wait_loadcnt_dscnt 0x101
	v_cmp_eq_u64_e32 vcc_lo, 0, v[6:7]
	s_delay_alu instid0(VALU_DEP_2)
	v_dual_ashrrev_i32 v24, 1, v24 :: v_dual_cndmask_b32 v30, v8, v30, vcc_lo
.LBB2_32:
	s_or_b32 exec_lo, exec_lo, s1
.LBB2_33:
	s_delay_alu instid0(SALU_CYCLE_1) | instskip(NEXT) | instid1(VALU_DEP_1)
	s_or_b32 exec_lo, exec_lo, s0
	v_and_b32_e32 v8, 24, v30
	s_mov_b32 s0, exec_lo
                                        ; implicit-def: $vgpr28_vgpr29
	s_delay_alu instid0(VALU_DEP_1)
	v_cmpx_ne_u32_e32 0, v8
	s_cbranch_execz .LBB2_41
; %bb.34:
	s_trap 2
	ds_load_b64 v[6:7], v0
	v_or_b32_e32 v28, 0x100, v30
	s_wait_dscnt 0x0
	v_readfirstlane_b32 s2, v6
	v_readfirstlane_b32 s3, v7
	flat_load_b64 v[6:7], v36, s[2:3] scale_offset
	s_wait_loadcnt_dscnt 0x0
	v_mad_nc_u64_u32 v[20:21], 0xa8, v37, v[6:7]
	flat_load_b128 v[6:9], v[20:21] offset:96
	s_wait_loadcnt_dscnt 0x0
	v_cmp_eq_u64_e32 vcc_lo, 0, v[6:7]
	v_cndmask_b32_e32 v30, v28, v30, vcc_lo
	s_delay_alu instid0(VALU_DEP_1) | instskip(NEXT) | instid1(VALU_DEP_1)
	v_and_b32_e32 v28, 16, v30
	v_cmp_ne_u32_e32 vcc_lo, 0, v28
                                        ; implicit-def: $vgpr28_vgpr29
	s_wait_xcnt 0x0
	s_and_saveexec_b32 s1, vcc_lo
	s_cbranch_execz .LBB2_36
; %bb.35:
	s_clause 0x2
	flat_load_b64 v[22:23], v[20:21] offset:48
	flat_load_b64 v[28:29], v[20:21] offset:120
	;; [unrolled: 1-line block ×3, first 2 shown]
.LBB2_36:
	s_wait_xcnt 0x0
	s_or_b32 exec_lo, exec_lo, s1
	v_add_nc_u64_e32 v[98:99], 3, v[8:9]
	v_and_b32_e32 v8, 8, v30
	s_mov_b32 s1, exec_lo
	s_delay_alu instid0(VALU_DEP_2) | instskip(NEXT) | instid1(VALU_DEP_2)
	v_and_b32_e32 v98, -4, v98
	v_cmpx_ne_u32_e32 0, v8
	s_cbranch_execz .LBB2_40
; %bb.37:
	v_and_b32_e32 v8, 0x800, v30
	s_mov_b32 s2, exec_lo
	s_delay_alu instid0(VALU_DEP_1)
	v_cmpx_eq_u32_e32 0, v8
	s_cbranch_execz .LBB2_39
; %bb.38:
	s_trap 2
	ds_store_b64 v0, v[20:21]
.LBB2_39:
	s_or_b32 exec_lo, exec_lo, s2
	s_wait_loadcnt_dscnt 0x202
	flat_load_b64 v[22:23], v[20:21] offset:56
	s_wait_loadcnt_dscnt 0x0
	flat_load_b64 v[34:35], v[22:23] scope:SCOPE_SYS
	s_clause 0x1
	flat_load_b32 v8, v[20:21] offset:72
	flat_load_b64 v[26:27], v[20:21] offset:16
	s_wait_loadcnt_dscnt 0x101
	v_ashrrev_i32_e32 v24, 1, v8
.LBB2_40:
	s_wait_xcnt 0x0
	s_or_b32 exec_lo, exec_lo, s1
.LBB2_41:
	s_delay_alu instid0(SALU_CYCLE_1)
	s_or_b32 exec_lo, exec_lo, s0
	v_cmp_eq_u32_e64 s0, 0, v0
	s_and_saveexec_b32 s1, s0
	s_cbranch_execz .LBB2_43
; %bb.42:
	flat_load_b64 v[8:9], v[2:3] offset:32
	ds_store_2addr_b64 v0, v[12:13], v[10:11] offset1:1
	s_trap 2
	s_wait_loadcnt_dscnt 0x1
	ds_store_b64 v0, v[8:9]
	ds_store_b64 v0, v[32:33]
.LBB2_43:
	s_wait_xcnt 0x0
	s_or_b32 exec_lo, exec_lo, s1
	v_mov_b64_e32 v[32:33], 0
	s_wait_loadcnt 0x0
	v_and_b32_e32 v60, 0xffff, v25
	s_mov_b32 s43, exec_lo
	v_cmpx_lt_i64_e32 0, v[4:5]
	s_cbranch_execz .LBB2_1480
; %bb.44:
	flat_load_b32 v8, v[2:3] offset:4
	s_wait_xcnt 0x0
	v_dual_mov_b32 v3, 0 :: v_dual_bitop2_b32 v9, 31, v31 bitop3:0x40
	s_wait_dscnt 0x1
	v_dual_ashrrev_i32 v25, 31, v24 :: v_dual_lshrrev_b32 v36, 5, v1
	v_dual_ashrrev_i32 v10, 31, v0 :: v_dual_lshlrev_b32 v11, 1, v1
	s_ashr_i32 s7, s6, 31
	v_and_b32_e32 v2, 0x1fffff00, v14
	s_lshr_b32 s7, s7, 29
	s_ashr_i32 s17, s16, 31
	s_add_co_i32 s7, s6, s7
	v_cmp_eq_u32_e64 s6, 0, v9
	v_dual_lshrrev_b32 v9, 27, v10 :: v_dual_mov_b32 v55, v3
	v_dual_mov_b32 v65, v3 :: v_dual_lshlrev_b32 v64, 9, v36
	v_mul_u64_e32 v[52:53], s[16:17], v[2:3]
	v_and_b32_e32 v68, 0x3fc0, v11
	v_mov_b64_e32 v[96:97], v[2:3]
	s_delay_alu instid0(VALU_DEP_4)
	v_add_nc_u32_e32 v70, 0xfffffe00, v64
	v_add_nc_u32_e32 v2, v0, v9
	s_add_co_i32 s44, s16, s16
	v_subrev_nc_u32_e32 v80, 64, v68
	s_not_b32 s10, s16
	v_ashrrev_i32_e32 v71, 31, v70
	v_ashrrev_i32_e32 v72, 5, v2
	v_and_b32_e32 v2, 0xffffffe0, v2
	s_ashr_i32 s11, s7, 4
	s_cmp_gt_i32 s16, 0
	v_ashrrev_i32_e32 v81, 31, v80
	s_cselect_b32 s10, s10, -1
	s_ashr_i32 s7, s7, 31
	v_sub_nc_u32_e32 v73, v0, v2
	s_lshr_b32 s7, s7, 28
	s_add_co_i32 s24, s10, s44
	s_add_co_i32 s11, s11, s7
	s_ashr_i32 s25, s24, 31
	s_ashr_i32 s45, s11, 4
	s_cmp_gt_i32 s16, 2
	v_dual_mov_b32 v61, 1 :: v_dual_lshlrev_b32 v48, 4, v0
	s_cselect_b32 s46, -1, 0
	s_add_co_i32 s13, s16, 1
	v_cmp_ge_i32_e32 vcc_lo, v0, v1
	v_mov_b64_e32 v[38:39], 0
	v_cmp_eq_u64_e64 s4, 0, v[28:29]
	v_cmp_ne_u64_e64 s5, 0, v[28:29]
	v_mov_b64_e32 v[50:51], 0
	v_mov_b64_e32 v[32:33], 0
	v_add_nc_u64_e32 v[82:83], 0x200, v[70:71]
	v_add_nc_u64_e32 v[84:85], 64, v[80:81]
	v_cmp_eq_u32_e64 s1, 32, v1
	v_cmp_ne_u32_e64 s2, 32, v1
	v_cmp_ne_u32_e64 s3, v1, v60
	v_dual_mov_b32 v62, 0x90 :: v_dual_mov_b32 v37, v3
	v_dual_mov_b32 v63, 0x88 :: v_dual_lshlrev_b32 v54, 10, v36
	v_dual_mov_b32 v67, v3 :: v_dual_lshlrev_b32 v66, 8, v36
	v_dual_mov_b32 v69, v3 :: v_dual_ashrrev_i32 v49, 31, v48
	s_mov_b32 s19, 0
	s_mov_b64 s[20:21], 0xffffffff
	s_add_nc_u64 s[22:23], s[16:17], -1
	s_mov_b32 s59, 0
	s_trap 2
	v_sub_nc_u32_e32 v74, 0, v72
	s_wait_loadcnt_dscnt 0x0
	v_and_b32_e32 v2, 1, v8
	v_lshlrev_b32_e32 v8, 10, v72
	v_cmp_gt_i32_e64 s10, 1, v73
	v_cmp_lt_i32_e64 s11, v73, v15
	v_cmp_le_i32_e64 s12, v73, v15
	v_cmp_eq_u32_e64 s7, 1, v2
	v_lshl_add_u32 v86, v73, 4, v8
	s_xor_b32 s47, s7, -1
	s_cmp_ge_i32 s13, s16
	s_delay_alu instid0(VALU_DEP_1)
	v_ashrrev_i32_e32 v87, 31, v86
	s_cselect_b32 s14, s16, 0
	s_add_co_i32 s56, s16, -2
	s_sub_co_i32 s28, s13, s14
	s_xor_b32 s57, vcc_lo, -1
	s_ashr_i32 s26, s17, 31
	s_sub_co_i32 s58, 0, s16
	s_ashr_i32 s29, s28, 31
	s_branch .LBB2_47
.LBB2_45:                               ;   in Loop: Header=BB2_47 Depth=1
	s_or_b32 exec_lo, exec_lo, s15
.LBB2_46:                               ;   in Loop: Header=BB2_47 Depth=1
	s_delay_alu instid0(SALU_CYCLE_1) | instskip(SKIP_1) | instid1(VALU_DEP_1)
	s_or_b32 exec_lo, exec_lo, s14
	v_add_nc_u64_e32 v[50:51], v[50:51], v[52:53]
	v_cmp_ge_i64_e32 vcc_lo, v[50:51], v[4:5]
	s_or_b32 s59, vcc_lo, s59
	s_delay_alu instid0(SALU_CYCLE_1)
	s_and_not1_b32 exec_lo, exec_lo, s59
	s_cbranch_execz .LBB2_1479
.LBB2_47:                               ; =>This Loop Header: Depth=1
                                        ;     Child Loop BB2_57 Depth 2
                                        ;       Child Loop BB2_65 Depth 3
                                        ;       Child Loop BB2_89 Depth 3
	;; [unrolled: 1-line block ×9, first 2 shown]
                                        ;     Child Loop BB2_201 Depth 2
                                        ;       Child Loop BB2_207 Depth 3
                                        ;       Child Loop BB2_231 Depth 3
	;; [unrolled: 1-line block ×3, first 2 shown]
                                        ;     Child Loop BB2_275 Depth 2
                                        ;       Child Loop BB2_278 Depth 3
                                        ;         Child Loop BB2_286 Depth 4
                                        ;         Child Loop BB2_314 Depth 4
	;; [unrolled: 1-line block ×9, first 2 shown]
                                        ;       Child Loop BB2_508 Depth 3
                                        ;         Child Loop BB2_514 Depth 4
                                        ;         Child Loop BB2_542 Depth 4
	;; [unrolled: 1-line block ×3, first 2 shown]
                                        ;     Child Loop BB2_583 Depth 2
                                        ;       Child Loop BB2_591 Depth 3
                                        ;       Child Loop BB2_619 Depth 3
	;; [unrolled: 1-line block ×4, first 2 shown]
                                        ;         Child Loop BB2_694 Depth 4
                                        ;       Child Loop BB2_700 Depth 3
                                        ;         Child Loop BB2_733 Depth 4
                                        ;       Child Loop BB2_743 Depth 3
                                        ;       Child Loop BB2_763 Depth 3
                                        ;         Child Loop BB2_768 Depth 4
                                        ;       Child Loop BB2_781 Depth 3
                                        ;       Child Loop BB2_818 Depth 3
	;; [unrolled: 1-line block ×6, first 2 shown]
                                        ;     Child Loop BB2_934 Depth 2
                                        ;       Child Loop BB2_940 Depth 3
                                        ;       Child Loop BB2_968 Depth 3
	;; [unrolled: 1-line block ×3, first 2 shown]
                                        ;     Child Loop BB2_1009 Depth 2
                                        ;       Child Loop BB2_1012 Depth 3
                                        ;         Child Loop BB2_1020 Depth 4
                                        ;         Child Loop BB2_1048 Depth 4
	;; [unrolled: 1-line block ×4, first 2 shown]
                                        ;           Child Loop BB2_1091 Depth 5
                                        ;         Child Loop BB2_1097 Depth 4
                                        ;           Child Loop BB2_1098 Depth 5
                                        ;         Child Loop BB2_1107 Depth 4
                                        ;         Child Loop BB2_1112 Depth 4
                                        ;           Child Loop BB2_1113 Depth 5
                                        ;         Child Loop BB2_1125 Depth 4
                                        ;         Child Loop BB2_1130 Depth 4
	;; [unrolled: 1-line block ×6, first 2 shown]
                                        ;       Child Loop BB2_1195 Depth 3
                                        ;         Child Loop BB2_1201 Depth 4
                                        ;         Child Loop BB2_1229 Depth 4
	;; [unrolled: 1-line block ×3, first 2 shown]
                                        ;     Child Loop BB2_1273 Depth 2
                                        ;       Child Loop BB2_1281 Depth 3
                                        ;       Child Loop BB2_1305 Depth 3
	;; [unrolled: 1-line block ×9, first 2 shown]
                                        ;     Child Loop BB2_1413 Depth 2
                                        ;       Child Loop BB2_1419 Depth 3
                                        ;       Child Loop BB2_1443 Depth 3
	;; [unrolled: 1-line block ×3, first 2 shown]
	v_sub_nc_u64_e32 v[100:101], v[4:5], v[50:51]
	s_mov_b32 s40, exec_lo
	s_delay_alu instid0(VALU_DEP_1)
	v_cmpx_lt_i64_e64 v[100:101], v[52:53]
	s_cbranch_execz .LBB2_53
; %bb.48:                               ;   in Loop: Header=BB2_47 Depth=1
	v_add_nc_u64_e32 v[8:9], s[22:23], v[100:101]
	s_delay_alu instid0(VALU_DEP_1) | instskip(NEXT) | instid1(VALU_DEP_1)
	v_dual_mov_b32 v10, v3 :: v_dual_bitop2_b32 v11, s17, v9 bitop3:0x54
	v_cmp_ne_u64_e32 vcc_lo, 0, v[10:11]
                                        ; implicit-def: $vgpr10_vgpr11
	s_and_saveexec_b32 s13, vcc_lo
	s_delay_alu instid0(SALU_CYCLE_1)
	s_xor_b32 s41, exec_lo, s13
	s_cbranch_execz .LBB2_50
; %bb.49:                               ;   in Loop: Header=BB2_47 Depth=1
	s_mov_b32 s27, s26
	v_dual_mov_b32 v15, v3 :: v_dual_ashrrev_i32 v10, 31, v9
	s_add_nc_u64 s[14:15], s[16:17], s[26:27]
	v_mov_b32_e32 v103, v3
	s_xor_b64 s[14:15], s[14:15], s[26:27]
	s_delay_alu instid0(VALU_DEP_2) | instskip(SKIP_3) | instid1(VALU_DEP_1)
	v_mov_b32_e32 v11, v10
	s_cvt_f32_u32 s13, s14
	s_cvt_f32_u32 s18, s15
	s_sub_nc_u64 s[62:63], 0, s[14:15]
	v_add_nc_u64_e32 v[8:9], v[8:9], v[10:11]
	s_delay_alu instid0(SALU_CYCLE_1) | instskip(NEXT) | instid1(SALU_CYCLE_3)
	s_fmamk_f32 s13, s18, 0x4f800000, s13
	v_s_rcp_f32 s13, s13
	s_delay_alu instid0(VALU_DEP_1) | instskip(NEXT) | instid1(VALU_DEP_2)
	v_xor_b32_e32 v2, v8, v10
	v_xor_b32_e32 v14, v9, v10
	;; [unrolled: 1-line block ×3, first 2 shown]
	s_delay_alu instid0(TRANS32_DEP_1) | instskip(NEXT) | instid1(SALU_CYCLE_3)
	s_mul_f32 s13, s13, 0x5f7ffffc
	s_mul_f32 s18, s13, 0x2f800000
	s_delay_alu instid0(SALU_CYCLE_3) | instskip(NEXT) | instid1(SALU_CYCLE_3)
	s_trunc_f32 s18, s18
	s_fmamk_f32 s13, s18, 0xcf800000, s13
	s_cvt_u32_f32 s61, s18
	s_delay_alu instid0(SALU_CYCLE_2) | instskip(NEXT) | instid1(SALU_CYCLE_3)
	s_cvt_u32_f32 s60, s13
	s_mul_u64 s[72:73], s[62:63], s[60:61]
	s_delay_alu instid0(SALU_CYCLE_1)
	s_mul_hi_u32 s75, s60, s73
	s_mul_i32 s74, s60, s73
	s_mul_hi_u32 s18, s60, s72
	s_mul_i32 s27, s61, s72
	s_add_nc_u64 s[74:75], s[18:19], s[74:75]
	s_mul_hi_u32 s13, s61, s72
	s_mul_hi_u32 s76, s61, s73
	s_add_co_u32 s18, s74, s27
	s_add_co_ci_u32 s18, s75, s13
	s_mul_i32 s72, s61, s73
	s_add_co_ci_u32 s73, s76, 0
	s_delay_alu instid0(SALU_CYCLE_1) | instskip(NEXT) | instid1(SALU_CYCLE_1)
	s_add_nc_u64 s[72:73], s[18:19], s[72:73]
	s_add_co_u32 s60, s60, s72
	s_cselect_b32 s13, -1, 0
	s_delay_alu instid0(SALU_CYCLE_1) | instskip(SKIP_1) | instid1(SALU_CYCLE_1)
	s_cmp_lg_u32 s13, 0
	s_add_co_ci_u32 s61, s61, s73
	s_mul_u64 s[62:63], s[62:63], s[60:61]
	s_delay_alu instid0(SALU_CYCLE_1)
	s_mul_hi_u32 s73, s60, s63
	s_mul_i32 s72, s60, s63
	s_mul_hi_u32 s18, s60, s62
	s_mul_i32 s27, s61, s62
	s_add_nc_u64 s[72:73], s[18:19], s[72:73]
	s_mul_hi_u32 s13, s61, s62
	s_mul_hi_u32 s74, s61, s63
	s_add_co_u32 s18, s72, s27
	s_add_co_ci_u32 s18, s73, s13
	s_mul_i32 s62, s61, s63
	s_add_co_ci_u32 s63, s74, 0
	s_delay_alu instid0(SALU_CYCLE_1) | instskip(NEXT) | instid1(SALU_CYCLE_1)
	s_add_nc_u64 s[62:63], s[18:19], s[62:63]
	s_add_co_u32 s60, s60, s62
	s_cselect_b32 s13, -1, 0
	v_mul_hi_u32 v102, v2, s60
	s_cmp_lg_u32 s13, 0
	s_add_co_ci_u32 s18, s61, s63
	s_and_b64 s[62:63], s[60:61], s[20:21]
	v_mul_u64_e32 v[12:13], s[18:19], v[2:3]
	v_mul_u64_e32 v[8:9], s[62:63], v[14:15]
	;; [unrolled: 1-line block ×3, first 2 shown]
	s_delay_alu instid0(VALU_DEP_3) | instskip(NEXT) | instid1(VALU_DEP_1)
	v_add_nc_u64_e32 v[12:13], v[102:103], v[12:13]
	v_add_co_u32 v8, vcc_lo, v12, v8
	s_delay_alu instid0(VALU_DEP_2) | instskip(NEXT) | instid1(VALU_DEP_4)
	v_add_co_ci_u32_e32 v102, vcc_lo, v13, v9, vcc_lo
	v_add_co_ci_u32_e32 v97, vcc_lo, 0, v97, vcc_lo
	s_delay_alu instid0(VALU_DEP_1) | instskip(NEXT) | instid1(VALU_DEP_1)
	v_add_nc_u64_e32 v[8:9], v[102:103], v[96:97]
	v_mul_u64_e32 v[12:13], s[14:15], v[8:9]
	s_delay_alu instid0(VALU_DEP_1) | instskip(NEXT) | instid1(VALU_DEP_2)
	v_sub_nc_u32_e32 v11, v14, v13
	v_sub_co_u32 v2, vcc_lo, v2, v12
	s_delay_alu instid0(VALU_DEP_1) | instskip(NEXT) | instid1(VALU_DEP_3)
	v_sub_co_ci_u32_e64 v96, null, v14, v13, vcc_lo
	v_subrev_co_ci_u32_e64 v11, null, s15, v11, vcc_lo
	s_delay_alu instid0(VALU_DEP_3) | instskip(SKIP_1) | instid1(VALU_DEP_3)
	v_sub_co_u32 v12, s13, v2, s14
	v_add_nc_u64_e32 v[14:15], 1, v[8:9]
	v_subrev_co_ci_u32_e64 v11, null, 0, v11, s13
	s_delay_alu instid0(VALU_DEP_3) | instskip(SKIP_1) | instid1(VALU_DEP_3)
	v_cmp_le_u32_e32 vcc_lo, s14, v12
	v_cndmask_b32_e64 v12, 0, -1, vcc_lo
	v_cmp_le_u32_e32 vcc_lo, s15, v11
	v_cndmask_b32_e64 v13, 0, -1, vcc_lo
	;; [unrolled: 2-line block ×4, first 2 shown]
	v_cmp_eq_u32_e32 vcc_lo, s15, v11
	v_cndmask_b32_e32 v11, v13, v12, vcc_lo
	v_cmp_eq_u32_e32 vcc_lo, s15, v96
	v_add_nc_u64_e32 v[12:13], 2, v[8:9]
	v_cndmask_b32_e32 v2, v97, v2, vcc_lo
	s_delay_alu instid0(VALU_DEP_4) | instskip(NEXT) | instid1(VALU_DEP_2)
	v_cmp_ne_u32_e32 vcc_lo, 0, v11
	v_cmp_ne_u32_e64 s13, 0, v2
	s_delay_alu instid0(VALU_DEP_4) | instskip(NEXT) | instid1(VALU_DEP_1)
	v_dual_cndmask_b32 v11, v15, v13 :: v_dual_cndmask_b32 v2, v14, v12
	v_dual_cndmask_b32 v9, v9, v11, s13 :: v_dual_cndmask_b32 v2, v8, v2, s13
	s_delay_alu instid0(VALU_DEP_1) | instskip(NEXT) | instid1(VALU_DEP_2)
	v_dual_mov_b32 v11, v10 :: v_dual_bitop2_b32 v9, v9, v10 bitop3:0x14
	v_xor_b32_e32 v8, v2, v10
	s_delay_alu instid0(VALU_DEP_1)
	v_sub_nc_u64_e32 v[10:11], v[8:9], v[10:11]
                                        ; implicit-def: $vgpr8_vgpr9
.LBB2_50:                               ;   in Loop: Header=BB2_47 Depth=1
	s_and_not1_saveexec_b32 s13, s41
	s_cbranch_execz .LBB2_52
; %bb.51:                               ;   in Loop: Header=BB2_47 Depth=1
	v_cvt_f32_u32_e32 v2, s16
	s_delay_alu instid0(VALU_DEP_1) | instskip(SKIP_1) | instid1(TRANS32_DEP_1)
	v_rcp_iflag_f32_e32 v2, v2
	v_nop
	v_mul_f32_e32 v2, 0x4f7ffffe, v2
	s_delay_alu instid0(VALU_DEP_1) | instskip(NEXT) | instid1(VALU_DEP_1)
	v_cvt_u32_f32_e32 v2, v2
	v_mul_lo_u32 v9, s58, v2
	s_delay_alu instid0(VALU_DEP_1) | instskip(NEXT) | instid1(VALU_DEP_1)
	v_mul_hi_u32 v9, v2, v9
	v_add_nc_u32_e32 v2, v2, v9
	s_delay_alu instid0(VALU_DEP_1) | instskip(NEXT) | instid1(VALU_DEP_1)
	v_mul_hi_u32 v2, v8, v2
	v_mul_lo_u32 v9, v2, s16
	s_delay_alu instid0(VALU_DEP_1) | instskip(NEXT) | instid1(VALU_DEP_1)
	v_dual_sub_nc_u32 v8, v8, v9 :: v_dual_add_nc_u32 v9, 1, v2
	v_subrev_nc_u32_e32 v10, s16, v8
	v_cmp_le_u32_e32 vcc_lo, s16, v8
	s_delay_alu instid0(VALU_DEP_2) | instskip(NEXT) | instid1(VALU_DEP_1)
	v_dual_cndmask_b32 v8, v8, v10, vcc_lo :: v_dual_cndmask_b32 v2, v2, v9, vcc_lo
	v_cmp_le_u32_e32 vcc_lo, s16, v8
	s_delay_alu instid0(VALU_DEP_2) | instskip(NEXT) | instid1(VALU_DEP_1)
	v_add_nc_u32_e32 v9, 1, v2
	v_cndmask_b32_e32 v2, v2, v9, vcc_lo
	s_delay_alu instid0(VALU_DEP_1)
	v_mov_b64_e32 v[10:11], v[2:3]
.LBB2_52:                               ;   in Loop: Header=BB2_47 Depth=1
	s_or_b32 exec_lo, exec_lo, s13
	s_delay_alu instid0(VALU_DEP_1) | instskip(NEXT) | instid1(VALU_DEP_1)
	v_add_nc_u64_e32 v[96:97], 7, v[10:11]
	v_and_b32_e32 v96, -8, v96
.LBB2_53:                               ;   in Loop: Header=BB2_47 Depth=1
	s_or_b32 exec_lo, exec_lo, s40
	s_delay_alu instid0(VALU_DEP_1) | instskip(SKIP_2) | instid1(VALU_DEP_3)
	v_mul_u64_e32 v[12:13], s[24:25], v[96:97]
	v_add_nc_u64_e32 v[102:103], v[50:51], v[16:17]
	v_mov_b32_e32 v10, 0
	v_sub_nc_u64_e32 v[8:9], v[100:101], v[12:13]
	s_delay_alu instid0(VALU_DEP_1) | instskip(NEXT) | instid1(VALU_DEP_1)
	v_min_i64 v[8:9], v[96:97], v[8:9]
	v_max_i32_e32 v40, 0, v8
	v_cmp_lt_i32_e32 vcc_lo, 0, v8
	s_delay_alu instid0(VALU_DEP_2) | instskip(SKIP_1) | instid1(VALU_DEP_1)
	v_add_nc_u32_e32 v2, 31, v40
	s_and_b32 s13, s57, vcc_lo
	v_lshrrev_b32_e32 v2, 1, v2
	s_delay_alu instid0(VALU_DEP_1) | instskip(NEXT) | instid1(VALU_DEP_1)
	v_and_b32_e32 v9, 0x3ffffff0, v2
	v_dual_mov_b32 v2, 0 :: v_dual_max_i32 v8, s45, v9
	s_and_saveexec_b32 s14, s13
	s_cbranch_execz .LBB2_197
; %bb.54:                               ;   in Loop: Header=BB2_47 Depth=1
	v_mov_b32_e32 v10, 0
	s_mov_b32 s27, 1
	s_mov_b32 s18, -1
	s_mov_b32 s15, 0
	s_branch .LBB2_57
.LBB2_55:                               ;   in Loop: Header=BB2_57 Depth=2
	s_wait_xcnt 0x0
	s_or_b32 exec_lo, exec_lo, s40
	v_add_nc_u64_e32 v[98:99], 2, v[98:99]
	global_wb scope:SCOPE_SYS
	s_wait_storecnt 0x0
	s_wait_loadcnt_dscnt 0x0
	flat_store_b64 v[22:23], v[98:99] scope:SCOPE_SYS
.LBB2_56:                               ;   in Loop: Header=BB2_57 Depth=2
	s_wait_xcnt 0x0
	s_or_b32 exec_lo, exec_lo, s13
	v_dual_add_nc_u32 v10, v8, v10 :: v_dual_mov_b32 v2, s27
	s_xor_b32 s13, s18, -1
	s_mov_b32 s18, 0
	s_mov_b32 s27, 2
	s_delay_alu instid0(VALU_DEP_1) | instskip(SKIP_1) | instid1(SALU_CYCLE_1)
	v_cmp_ge_i32_e32 vcc_lo, v10, v40
	s_or_b32 s13, s13, vcc_lo
	s_and_b32 s13, exec_lo, s13
	s_delay_alu instid0(SALU_CYCLE_1) | instskip(NEXT) | instid1(SALU_CYCLE_1)
	s_or_b32 s15, s13, s15
	s_and_not1_b32 exec_lo, exec_lo, s15
	s_cbranch_execz .LBB2_196
.LBB2_57:                               ;   Parent Loop BB2_47 Depth=1
                                        ; =>  This Loop Header: Depth=2
                                        ;       Child Loop BB2_65 Depth 3
                                        ;       Child Loop BB2_89 Depth 3
	;; [unrolled: 1-line block ×9, first 2 shown]
	s_and_saveexec_b32 s13, s0
	s_cbranch_execz .LBB2_59
; %bb.58:                               ;   in Loop: Header=BB2_57 Depth=2
	s_trap 2
	ds_load_b64 v[14:15], v0
	v_ashrrev_i32_e32 v11, 31, v10
	s_wait_dscnt 0x0
	v_lshl_add_u64 v[14:15], v[102:103], 1, v[14:15]
	s_delay_alu instid0(VALU_DEP_1) | instskip(NEXT) | instid1(VALU_DEP_1)
	v_lshl_add_u64 v[14:15], v[12:13], 1, v[14:15]
	v_lshl_add_u64 v[14:15], v[10:11], 1, v[14:15]
	ds_store_b64 v0, v[14:15]
	ds_store_b64 v0, v[38:39]
.LBB2_59:                               ;   in Loop: Header=BB2_57 Depth=2
	s_or_b32 exec_lo, exec_lo, s13
	v_sub_nc_u32_e32 v2, v40, v10
	v_and_b32_e32 v9, 8, v30
	s_mov_b32 s40, exec_lo
	s_delay_alu instid0(VALU_DEP_2) | instskip(NEXT) | instid1(VALU_DEP_2)
	v_min_i32_e32 v8, v8, v2
	v_cmpx_ne_u32_e32 0, v9
	s_cbranch_execz .LBB2_81
; %bb.60:                               ;   in Loop: Header=BB2_57 Depth=2
	s_wait_loadcnt_dscnt 0x1
	v_add_nc_u64_e32 v[112:113], 8, v[34:35]
	v_add_nc_u64_e32 v[14:15], 2, v[98:99]
	s_mov_b32 s41, exec_lo
	s_delay_alu instid0(VALU_DEP_1)
	v_cmpx_lt_u64_e64 v[112:113], v[14:15]
	s_cbranch_execz .LBB2_72
; %bb.61:                               ;   in Loop: Header=BB2_57 Depth=2
	v_and_b32_e32 v2, 64, v30
	s_mov_b32 s60, 0
	s_mov_b32 s72, 0
                                        ; implicit-def: $sgpr61
                                        ; implicit-def: $sgpr62
                                        ; implicit-def: $sgpr63
	s_delay_alu instid0(VALU_DEP_1)
	v_cmp_eq_u32_e32 vcc_lo, 0, v2
	s_branch .LBB2_65
.LBB2_62:                               ;   in Loop: Header=BB2_65 Depth=3
	s_wait_loadcnt_dscnt 0x0
	v_add_nc_u64_e32 v[112:113], 8, v[34:35]
	s_or_b32 s75, s75, exec_lo
	s_delay_alu instid0(VALU_DEP_1)
	v_cmp_ge_u64_e64 s13, v[112:113], v[14:15]
	s_or_not1_b32 s74, s13, exec_lo
.LBB2_63:                               ;   in Loop: Header=BB2_65 Depth=3
	s_or_b32 exec_lo, exec_lo, s77
	s_delay_alu instid0(SALU_CYCLE_1)
	s_and_not1_b32 s13, s63, exec_lo
	s_and_b32 s63, s75, exec_lo
	s_and_not1_b32 s62, s62, exec_lo
	s_and_b32 s74, s74, exec_lo
	s_or_b32 s63, s13, s63
	s_or_b32 s62, s62, s74
.LBB2_64:                               ;   in Loop: Header=BB2_65 Depth=3
	s_or_b32 exec_lo, exec_lo, s73
	s_delay_alu instid0(SALU_CYCLE_1) | instskip(NEXT) | instid1(SALU_CYCLE_1)
	s_and_b32 s13, exec_lo, s62
	s_or_b32 s60, s13, s60
	s_and_not1_b32 s13, s61, exec_lo
	s_and_b32 s61, s63, exec_lo
	s_delay_alu instid0(SALU_CYCLE_1)
	s_or_b32 s61, s13, s61
	s_and_not1_b32 exec_lo, exec_lo, s60
	s_cbranch_execz .LBB2_69
.LBB2_65:                               ;   Parent Loop BB2_47 Depth=1
                                        ;     Parent Loop BB2_57 Depth=2
                                        ; =>    This Inner Loop Header: Depth=3
	s_sleep 1
	s_wait_loadcnt_dscnt 0x0
	flat_load_b64 v[34:35], v[22:23] scope:SCOPE_SYS
	s_or_b32 s63, s63, exec_lo
	s_or_b32 s62, s62, exec_lo
                                        ; implicit-def: $vgpr2
	s_wait_xcnt 0x0
	s_and_saveexec_b32 s73, vcc_lo
	s_cbranch_execz .LBB2_64
; %bb.66:                               ;   in Loop: Header=BB2_65 Depth=3
	s_cmp_lt_i32 s72, 0x270f
	s_mov_b32 s74, -1
	s_cselect_b32 s76, -1, 0
	s_cmp_gt_i32 s72, 0x270e
	s_cbranch_scc0 .LBB2_68
; %bb.67:                               ;   in Loop: Header=BB2_65 Depth=3
	s_trap 2
	ds_load_b64 v[112:113], v0
	s_and_not1_b32 s72, s76, exec_lo
	s_mov_b32 s75, 0
	s_wait_storecnt 0x0
	s_wait_loadcnt_dscnt 0x0
	flat_load_b32 v2, v[112:113] scope:SCOPE_SYS
	s_wait_loadcnt_dscnt 0x0
	global_inv scope:SCOPE_SYS
	v_cmp_eq_u32_e64 s13, 0, v2
	s_and_b32 s13, s13, exec_lo
	s_delay_alu instid0(SALU_CYCLE_1)
	s_or_b32 s76, s72, s13
	s_mov_b32 s72, 0
	s_and_saveexec_b32 s77, s76
	s_cbranch_execz .LBB2_63
	s_branch .LBB2_62
.LBB2_68:                               ;   in Loop: Header=BB2_65 Depth=3
	s_add_co_i32 s72, s72, 1
	s_mov_b32 s75, -1
                                        ; implicit-def: $vgpr2
	s_and_saveexec_b32 s77, s76
	s_cbranch_execz .LBB2_63
	s_branch .LBB2_62
.LBB2_69:                               ;   in Loop: Header=BB2_57 Depth=2
	s_or_b32 exec_lo, exec_lo, s60
	s_xor_b32 s13, s61, -1
	s_delay_alu instid0(SALU_CYCLE_1) | instskip(NEXT) | instid1(SALU_CYCLE_1)
	s_and_saveexec_b32 s60, s13
	s_xor_b32 s13, exec_lo, s60
	s_cbranch_execz .LBB2_71
; %bb.70:                               ;   in Loop: Header=BB2_57 Depth=2
	v_or_b32_e32 v30, 64, v30
	s_wait_storecnt 0x0
	s_wait_loadcnt_dscnt 0x0
	ds_store_b32 v0, v2
	s_trap 2
.LBB2_71:                               ;   in Loop: Header=BB2_57 Depth=2
	s_or_b32 exec_lo, exec_lo, s13
.LBB2_72:                               ;   in Loop: Header=BB2_57 Depth=2
	s_delay_alu instid0(SALU_CYCLE_1) | instskip(SKIP_4) | instid1(VALU_DEP_1)
	s_or_b32 exec_lo, exec_lo, s41
	v_and_b32_e32 v2, 0x100, v30
	s_mov_b32 s41, 0
	s_mov_b32 s13, exec_lo
	;;#ASMSTART
	s_wakeup
	;;#ASMEND
                                        ; implicit-def: $vgpr112_vgpr113
	v_cmpx_ne_u32_e32 0, v2
	s_xor_b32 s13, exec_lo, s13
	s_cbranch_execz .LBB2_93
; %bb.73:                               ;   in Loop: Header=BB2_57 Depth=2
	v_dual_ashrrev_i32 v9, 31, v8 :: v_dual_bitop2_b32 v2, 7, v98 bitop3:0x40
	s_mov_b32 s41, -1
	s_mov_b32 s60, exec_lo
	s_delay_alu instid0(VALU_DEP_1) | instskip(NEXT) | instid1(VALU_DEP_2)
	v_mad_nc_u64_u32 v[98:99], v2, 24, v[6:7]
	v_lshlrev_b64_e32 v[112:113], 1, v[8:9]
	s_clause 0x1
	flat_load_b32 v11, v[98:99]
	flat_store_b64 v[98:99], v[112:113] offset:8
                                        ; implicit-def: $vgpr112_vgpr113
	s_wait_loadcnt_dscnt 0x1
	v_cmpx_eq_u32_e32 1, v11
	s_cbranch_execz .LBB2_75
; %bb.74:                               ;   in Loop: Header=BB2_57 Depth=2
	flat_load_b32 v98, v[98:99] offset:4 scope:SCOPE_SYS
	s_xor_b32 s41, exec_lo, -1
	s_wait_loadcnt_dscnt 0x0
	v_ashrrev_i32_e32 v99, 31, v98
	s_delay_alu instid0(VALU_DEP_1)
	v_lshrrev_b64 v[112:113], 1, v[98:99]
.LBB2_75:                               ;   in Loop: Header=BB2_57 Depth=2
	s_or_b32 exec_lo, exec_lo, s60
	s_delay_alu instid0(SALU_CYCLE_1)
	s_and_b32 s41, s41, exec_lo
                                        ; implicit-def: $vgpr98_vgpr99
	s_and_not1_saveexec_b32 s13, s13
	s_cbranch_execnz .LBB2_94
.LBB2_76:                               ;   in Loop: Header=BB2_57 Depth=2
	s_or_b32 exec_lo, exec_lo, s13
	s_and_saveexec_b32 s13, s41
.LBB2_77:                               ;   in Loop: Header=BB2_57 Depth=2
	v_mul_u64_e32 v[112:113], v[2:3], v[24:25]
.LBB2_78:                               ;   in Loop: Header=BB2_57 Depth=2
	s_or_b32 exec_lo, exec_lo, s13
	v_and_b32_e32 v2, 0x2000, v30
	s_delay_alu instid0(VALU_DEP_2)
	v_lshl_add_u64 v[98:99], v[112:113], 1, v[26:27]
	s_mov_b32 s13, exec_lo
	ds_store_b64 v0, v[98:99] offset:784
	v_cmpx_ne_u32_e32 0, v2
	s_cbranch_execz .LBB2_80
; %bb.79:                               ;   in Loop: Header=BB2_57 Depth=2
	ds_load_b64 v[98:99], v0 offset:872
	s_wait_dscnt 0x0
	v_add_nc_u64_e32 v[98:99], 1, v[98:99]
	ds_store_b64 v0, v[98:99] offset:872
.LBB2_80:                               ;   in Loop: Header=BB2_57 Depth=2
	s_or_b32 exec_lo, exec_lo, s13
	v_mov_b64_e32 v[98:99], v[14:15]
.LBB2_81:                               ;   in Loop: Header=BB2_57 Depth=2
	s_or_b32 exec_lo, exec_lo, s40
	s_and_saveexec_b32 s13, s2
	s_cbranch_execz .LBB2_102
; %bb.82:                               ;   in Loop: Header=BB2_57 Depth=2
	s_and_saveexec_b32 s40, s3
	s_delay_alu instid0(SALU_CYCLE_1)
	s_xor_b32 s40, exec_lo, s40
	s_cbranch_execz .LBB2_99
; %bb.83:                               ;   in Loop: Header=BB2_57 Depth=2
	s_and_saveexec_b32 s41, s6
	s_cbranch_execz .LBB2_98
; %bb.84:                               ;   in Loop: Header=BB2_57 Depth=2
	s_mov_b32 s61, exec_lo
	s_mov_b32 s60, exec_lo
	v_mbcnt_lo_u32_b32 v2, s61, 0
	global_wb scope:SCOPE_DEV
	s_wait_storecnt 0x0
	s_wait_loadcnt_dscnt 0x0
	global_inv scope:SCOPE_DEV
	v_cmpx_eq_u32_e32 0, v2
	s_cbranch_execz .LBB2_86
; %bb.85:                               ;   in Loop: Header=BB2_57 Depth=2
	s_bcnt1_i32_b32 s61, s61
	s_delay_alu instid0(SALU_CYCLE_1)
	v_mov_b32_e32 v2, s61
	s_wait_loadcnt 0x0
	ds_add_u64 v0, v[2:3]
	s_trap 2
.LBB2_86:                               ;   in Loop: Header=BB2_57 Depth=2
	s_or_b32 exec_lo, exec_lo, s60
	s_trap 2
	ds_load_b64 v[14:15], v0
	s_wait_dscnt 0x0
	v_add_nc_u64_e32 v[32:33], v[32:33], v[36:37]
	s_mov_b32 s60, exec_lo
	s_delay_alu instid0(VALU_DEP_1)
	v_cmpx_lt_u64_e64 v[14:15], v[32:33]
	s_cbranch_execz .LBB2_97
; %bb.87:                               ;   in Loop: Header=BB2_57 Depth=2
	s_mov_b32 s61, 0
	s_mov_b32 s72, 0
                                        ; implicit-def: $sgpr62
                                        ; implicit-def: $sgpr63
	s_branch .LBB2_89
.LBB2_88:                               ;   in Loop: Header=BB2_89 Depth=3
	s_or_b32 exec_lo, exec_lo, s74
	s_delay_alu instid0(SALU_CYCLE_1) | instskip(NEXT) | instid1(SALU_CYCLE_1)
	s_and_b32 s73, exec_lo, s75
	s_or_b32 s61, s73, s61
	s_and_not1_b32 s62, s62, exec_lo
	s_and_b32 s73, s63, exec_lo
	s_delay_alu instid0(SALU_CYCLE_1)
	s_or_b32 s62, s62, s73
	s_and_not1_b32 exec_lo, exec_lo, s61
	s_cbranch_execz .LBB2_95
.LBB2_89:                               ;   Parent Loop BB2_47 Depth=1
                                        ;     Parent Loop BB2_57 Depth=2
                                        ; =>    This Inner Loop Header: Depth=3
	s_add_co_i32 s72, s72, 1
	s_delay_alu instid0(SALU_CYCLE_1) | instskip(SKIP_1) | instid1(SALU_CYCLE_1)
	s_cmp_lg_u32 s72, 0x2710
	s_cselect_b32 s73, -1, 0
	s_and_b32 vcc_lo, exec_lo, s73
	s_cbranch_vccz .LBB2_91
; %bb.90:                               ;   in Loop: Header=BB2_89 Depth=3
	s_mov_b32 s75, -1
	s_or_b32 s63, s63, exec_lo
	s_and_saveexec_b32 s74, s73
	s_cbranch_execz .LBB2_88
	s_branch .LBB2_92
.LBB2_91:                               ;   in Loop: Header=BB2_89 Depth=3
	s_trap 2
	ds_load_b64 v[14:15], v0
	s_and_not1_b32 s73, s73, exec_lo
	s_mov_b32 s72, 0
	s_wait_loadcnt_dscnt 0x0
	flat_load_b32 v2, v[14:15] scope:SCOPE_SYS
	s_wait_loadcnt_dscnt 0x0
	global_inv scope:SCOPE_SYS
	v_cmp_eq_u32_e32 vcc_lo, 0, v2
	s_and_b32 s74, vcc_lo, exec_lo
	s_delay_alu instid0(SALU_CYCLE_1)
	s_or_b32 s73, s73, s74
	s_mov_b32 s75, -1
	s_or_b32 s63, s63, exec_lo
	s_and_saveexec_b32 s74, s73
	s_cbranch_execz .LBB2_88
.LBB2_92:                               ;   in Loop: Header=BB2_89 Depth=3
	s_sleep 1
	s_trap 2
	ds_load_b64 v[14:15], v0
	s_wait_dscnt 0x0
	s_and_not1_b32 s63, s63, exec_lo
	v_cmp_ge_u64_e32 vcc_lo, v[14:15], v[32:33]
	s_or_not1_b32 s75, vcc_lo, exec_lo
	s_branch .LBB2_88
.LBB2_93:                               ;   in Loop: Header=BB2_57 Depth=2
	s_and_not1_saveexec_b32 s13, s13
	s_cbranch_execz .LBB2_76
.LBB2_94:                               ;   in Loop: Header=BB2_57 Depth=2
	v_and_b32_e32 v2, 7, v98
	s_or_b32 s41, s41, exec_lo
	s_or_b32 exec_lo, exec_lo, s13
	s_and_saveexec_b32 s13, s41
	s_cbranch_execnz .LBB2_77
	s_branch .LBB2_78
.LBB2_95:                               ;   in Loop: Header=BB2_57 Depth=2
	s_or_b32 exec_lo, exec_lo, s61
	s_and_saveexec_b32 s61, s62
	s_delay_alu instid0(SALU_CYCLE_1)
	s_xor_b32 s61, exec_lo, s61
	s_cbranch_execz .LBB2_97
; %bb.96:                               ;   in Loop: Header=BB2_57 Depth=2
	ds_store_b32 v0, v61
	s_trap 2
.LBB2_97:                               ;   in Loop: Header=BB2_57 Depth=2
	s_or_b32 exec_lo, exec_lo, s60
	;;#ASMSTART
	s_wakeup
	;;#ASMEND
.LBB2_98:                               ;   in Loop: Header=BB2_57 Depth=2
	s_or_b32 exec_lo, exec_lo, s41
.LBB2_99:                               ;   in Loop: Header=BB2_57 Depth=2
	s_and_not1_saveexec_b32 s40, s40
	s_cbranch_execz .LBB2_101
; %bb.100:                              ;   in Loop: Header=BB2_57 Depth=2
	global_wb scope:SCOPE_DEV
	s_wait_storecnt 0x0
	s_wait_loadcnt_dscnt 0x0
	global_inv scope:SCOPE_DEV
	s_barrier_signal -1
	s_barrier_wait -1
.LBB2_101:                              ;   in Loop: Header=BB2_57 Depth=2
	s_or_b32 exec_lo, exec_lo, s40
.LBB2_102:                              ;   in Loop: Header=BB2_57 Depth=2
	s_delay_alu instid0(SALU_CYCLE_1) | instskip(SKIP_4) | instid1(VALU_DEP_1)
	s_or_b32 exec_lo, exec_lo, s13
	s_trap 2
	ds_load_b32 v9, v0
	v_and_b32_e32 v2, 0x4000, v30
	s_xor_b32 s13, s1, -1
	v_cmp_ne_u32_e32 vcc_lo, 0, v2
	s_and_b32 s40, s13, vcc_lo
	s_delay_alu instid0(SALU_CYCLE_1)
	s_and_saveexec_b32 s13, s40
	s_cbranch_execz .LBB2_121
; %bb.103:                              ;   in Loop: Header=BB2_57 Depth=2
	s_and_saveexec_b32 s40, s3
	s_delay_alu instid0(SALU_CYCLE_1)
	s_xor_b32 s40, exec_lo, s40
	s_cbranch_execz .LBB2_118
; %bb.104:                              ;   in Loop: Header=BB2_57 Depth=2
	s_and_saveexec_b32 s41, s6
	s_cbranch_execz .LBB2_117
; %bb.105:                              ;   in Loop: Header=BB2_57 Depth=2
	s_mov_b32 s61, exec_lo
	s_mov_b32 s60, exec_lo
	v_mbcnt_lo_u32_b32 v2, s61, 0
	global_wb scope:SCOPE_DEV
	s_wait_storecnt 0x0
	s_wait_loadcnt_dscnt 0x0
	global_inv scope:SCOPE_DEV
	v_cmpx_eq_u32_e32 0, v2
	s_cbranch_execz .LBB2_107
; %bb.106:                              ;   in Loop: Header=BB2_57 Depth=2
	s_bcnt1_i32_b32 s61, s61
	s_delay_alu instid0(SALU_CYCLE_1)
	v_mov_b32_e32 v2, s61
	s_wait_loadcnt 0x0
	ds_add_u64 v0, v[2:3]
	s_trap 2
.LBB2_107:                              ;   in Loop: Header=BB2_57 Depth=2
	s_or_b32 exec_lo, exec_lo, s60
	s_trap 2
	ds_load_b64 v[14:15], v0
	s_wait_dscnt 0x0
	v_add_nc_u64_e32 v[32:33], v[32:33], v[36:37]
	s_mov_b32 s60, exec_lo
	s_delay_alu instid0(VALU_DEP_1)
	v_cmpx_lt_u64_e64 v[14:15], v[32:33]
	s_cbranch_execz .LBB2_116
; %bb.108:                              ;   in Loop: Header=BB2_57 Depth=2
	s_mov_b32 s61, 0
	s_mov_b32 s72, 0
                                        ; implicit-def: $sgpr62
                                        ; implicit-def: $sgpr63
	s_branch .LBB2_110
.LBB2_109:                              ;   in Loop: Header=BB2_110 Depth=3
	s_or_b32 exec_lo, exec_lo, s74
	s_delay_alu instid0(SALU_CYCLE_1) | instskip(NEXT) | instid1(SALU_CYCLE_1)
	s_and_b32 s73, exec_lo, s75
	s_or_b32 s61, s73, s61
	s_and_not1_b32 s62, s62, exec_lo
	s_and_b32 s73, s63, exec_lo
	s_delay_alu instid0(SALU_CYCLE_1)
	s_or_b32 s62, s62, s73
	s_and_not1_b32 exec_lo, exec_lo, s61
	s_cbranch_execz .LBB2_114
.LBB2_110:                              ;   Parent Loop BB2_47 Depth=1
                                        ;     Parent Loop BB2_57 Depth=2
                                        ; =>    This Inner Loop Header: Depth=3
	s_add_co_i32 s72, s72, 1
	s_delay_alu instid0(SALU_CYCLE_1) | instskip(SKIP_1) | instid1(SALU_CYCLE_1)
	s_cmp_lg_u32 s72, 0x2710
	s_cselect_b32 s73, -1, 0
	s_and_b32 vcc_lo, exec_lo, s73
	s_cbranch_vccz .LBB2_112
; %bb.111:                              ;   in Loop: Header=BB2_110 Depth=3
	s_mov_b32 s75, -1
	s_or_b32 s63, s63, exec_lo
	s_and_saveexec_b32 s74, s73
	s_cbranch_execz .LBB2_109
	s_branch .LBB2_113
.LBB2_112:                              ;   in Loop: Header=BB2_110 Depth=3
	s_trap 2
	ds_load_b64 v[14:15], v0
	s_and_not1_b32 s73, s73, exec_lo
	s_mov_b32 s72, 0
	s_wait_loadcnt_dscnt 0x0
	flat_load_b32 v2, v[14:15] scope:SCOPE_SYS
	s_wait_loadcnt_dscnt 0x0
	global_inv scope:SCOPE_SYS
	v_cmp_eq_u32_e32 vcc_lo, 0, v2
	s_and_b32 s74, vcc_lo, exec_lo
	s_delay_alu instid0(SALU_CYCLE_1)
	s_or_b32 s73, s73, s74
	s_mov_b32 s75, -1
	s_or_b32 s63, s63, exec_lo
	s_and_saveexec_b32 s74, s73
	s_cbranch_execz .LBB2_109
.LBB2_113:                              ;   in Loop: Header=BB2_110 Depth=3
	s_sleep 1
	s_trap 2
	ds_load_b64 v[14:15], v0
	s_wait_dscnt 0x0
	s_and_not1_b32 s63, s63, exec_lo
	v_cmp_ge_u64_e32 vcc_lo, v[14:15], v[32:33]
	s_or_not1_b32 s75, vcc_lo, exec_lo
	s_branch .LBB2_109
.LBB2_114:                              ;   in Loop: Header=BB2_57 Depth=2
	s_or_b32 exec_lo, exec_lo, s61
	s_and_saveexec_b32 s61, s62
	s_delay_alu instid0(SALU_CYCLE_1)
	s_xor_b32 s61, exec_lo, s61
	s_cbranch_execz .LBB2_116
; %bb.115:                              ;   in Loop: Header=BB2_57 Depth=2
	ds_store_b32 v0, v61
	s_trap 2
.LBB2_116:                              ;   in Loop: Header=BB2_57 Depth=2
	s_or_b32 exec_lo, exec_lo, s60
	;;#ASMSTART
	s_wakeup
	;;#ASMEND
.LBB2_117:                              ;   in Loop: Header=BB2_57 Depth=2
	s_or_b32 exec_lo, exec_lo, s41
.LBB2_118:                              ;   in Loop: Header=BB2_57 Depth=2
	s_and_not1_saveexec_b32 s40, s40
	s_cbranch_execz .LBB2_120
; %bb.119:                              ;   in Loop: Header=BB2_57 Depth=2
	global_wb scope:SCOPE_DEV
	s_wait_storecnt 0x0
	s_wait_loadcnt_dscnt 0x0
	global_inv scope:SCOPE_DEV
	s_barrier_signal -1
	s_barrier_wait -1
.LBB2_120:                              ;   in Loop: Header=BB2_57 Depth=2
	s_or_b32 exec_lo, exec_lo, s40
.LBB2_121:                              ;   in Loop: Header=BB2_57 Depth=2
	s_delay_alu instid0(SALU_CYCLE_1)
	s_or_b32 exec_lo, exec_lo, s13
	s_trap 2
	ds_load_b64 v[14:15], v0
	s_wait_dscnt 0x0
	v_cmp_eq_u64_e32 vcc_lo, 0, v[14:15]
	s_cbranch_vccnz .LBB2_129
; %bb.122:                              ;   in Loop: Header=BB2_57 Depth=2
	s_trap 2
	ds_load_b64 v[112:113], v0
	s_wait_dscnt 0x0
	v_cmp_eq_u64_e32 vcc_lo, 0, v[112:113]
	s_cbranch_vccnz .LBB2_129
; %bb.123:                              ;   in Loop: Header=BB2_57 Depth=2
	s_mov_b32 s13, -1
	s_and_saveexec_b32 s40, s10
	s_cbranch_execz .LBB2_125
; %bb.124:                              ;   in Loop: Header=BB2_57 Depth=2
	ds_load_b32 v2, v0 offset:720
	s_wait_dscnt 0x0
	v_and_b32_e32 v2, 15, v2
	s_delay_alu instid0(VALU_DEP_1)
	v_cmp_eq_u32_e32 vcc_lo, 0, v2
	s_or_not1_b32 s13, vcc_lo, exec_lo
.LBB2_125:                              ;   in Loop: Header=BB2_57 Depth=2
	s_or_b32 exec_lo, exec_lo, s40
	s_and_saveexec_b32 s40, s11
	s_cbranch_execz .LBB2_127
; %bb.126:                              ;   in Loop: Header=BB2_57 Depth=2
	ds_load_b32 v2, v0 offset:784
	s_wait_dscnt 0x0
	v_and_b32_e32 v2, 15, v2
	s_delay_alu instid0(VALU_DEP_1) | instskip(SKIP_3) | instid1(SALU_CYCLE_1)
	v_cmp_eq_u32_e32 vcc_lo, 0, v2
	s_and_b32 s41, s13, vcc_lo
	s_and_not1_b32 s13, s13, exec_lo
	s_and_b32 s41, s41, exec_lo
	s_or_b32 s13, s13, s41
.LBB2_127:                              ;   in Loop: Header=BB2_57 Depth=2
	s_or_b32 exec_lo, exec_lo, s40
	v_cmp_eq_u32_e32 vcc_lo, 0, v9
	s_xor_b32 s13, s13, -1
	s_mov_b32 s41, -1
	v_cndmask_b32_e64 v11, 0, 1, s13
	v_cndmask_b32_e32 v2, 0, v8, vcc_lo
	s_delay_alu instid0(VALU_DEP_2) | instskip(NEXT) | instid1(VALU_DEP_2)
	v_cmp_ne_u32_e32 vcc_lo, 0, v11
	v_dual_mov_b32 v11, 0 :: v_dual_lshlrev_b32 v9, 1, v2
	s_cbranch_vccz .LBB2_130
; %bb.128:                              ;   in Loop: Header=BB2_57 Depth=2
	v_dual_mov_b32 v41, v0 :: v_dual_mov_b32 v114, v72
	s_and_saveexec_b32 s13, s41
	s_cbranch_execnz .LBB2_143
	s_branch .LBB2_151
.LBB2_129:                              ;   in Loop: Header=BB2_57 Depth=2
	s_mov_b32 s13, 0
	s_and_saveexec_b32 s40, s2
	s_cbranch_execnz .LBB2_152
	s_branch .LBB2_170
.LBB2_130:                              ;   in Loop: Header=BB2_57 Depth=2
	s_delay_alu instid0(VALU_DEP_1) | instskip(SKIP_1) | instid1(VALU_DEP_1)
	v_ashrrev_i32_e32 v11, 31, v9
	s_mov_b32 s13, exec_lo
	v_lshrrev_b32_e32 v11, 22, v11
	s_delay_alu instid0(VALU_DEP_1) | instskip(NEXT) | instid1(VALU_DEP_1)
	v_add_nc_u32_e32 v11, v9, v11
	v_ashrrev_i32_e32 v11, 10, v11
	s_delay_alu instid0(VALU_DEP_1) | instskip(NEXT) | instid1(VALU_DEP_1)
	v_sub_nc_u32_e32 v117, v11, v72
	v_cmpx_lt_i32_e32 0, v117
	s_cbranch_execz .LBB2_134
; %bb.131:                              ;   in Loop: Header=BB2_57 Depth=2
	v_mov_b64_e32 v[114:115], v[86:87]
	s_mov_b32 s40, 0
.LBB2_132:                              ;   Parent Loop BB2_47 Depth=1
                                        ;     Parent Loop BB2_57 Depth=2
                                        ; =>    This Inner Loop Header: Depth=3
	s_delay_alu instid0(VALU_DEP_1)
	v_add_nc_u64_e32 v[118:119], v[14:15], v[114:115]
	v_sub_nc_u32_e32 v117, v117, v36
	s_clause 0x1
	global_load_b128 v[42:45], v[118:119], off th:TH_LOAD_NT
	global_load_b128 v[56:59], v[118:119], off offset:512 th:TH_LOAD_NT
	s_wait_xcnt 0x0
	v_add_nc_u64_e32 v[118:119], v[112:113], v[114:115]
	v_cmp_gt_i32_e32 vcc_lo, 1, v117
	v_add_nc_u64_e32 v[114:115], v[114:115], v[54:55]
	s_wait_loadcnt 0x1
	global_store_b128 v[118:119], v[42:45], off th:TH_STORE_NT
	s_wait_loadcnt 0x0
	global_store_b128 v[118:119], v[56:59], off offset:512 th:TH_STORE_NT
	s_or_b32 s40, vcc_lo, s40
	s_wait_xcnt 0x0
	s_and_not1_b32 exec_lo, exec_lo, s40
	s_cbranch_execnz .LBB2_132
; %bb.133:                              ;   in Loop: Header=BB2_57 Depth=2
	s_or_b32 exec_lo, exec_lo, s40
.LBB2_134:                              ;   in Loop: Header=BB2_57 Depth=2
	s_delay_alu instid0(SALU_CYCLE_1) | instskip(SKIP_3) | instid1(VALU_DEP_1)
	s_or_b32 exec_lo, exec_lo, s13
	v_dual_mov_b32 v11, 0 :: v_dual_lshlrev_b32 v116, 10, v11
	s_mov_b32 s41, 0
	s_mov_b32 s40, exec_lo
                                        ; implicit-def: $vgpr41
                                        ; implicit-def: $vgpr114
	v_cmpx_ne_u32_e64 v9, v116
	s_cbranch_execz .LBB2_142
; %bb.135:                              ;   in Loop: Header=BB2_57 Depth=2
	v_dual_lshlrev_b32 v11, 5, v117 :: v_dual_sub_nc_u32 v115, v9, v116
	s_mov_b32 s41, exec_lo
	s_delay_alu instid0(VALU_DEP_1) | instskip(NEXT) | instid1(VALU_DEP_2)
	v_sub_nc_u32_e32 v11, v73, v11
	v_ashrrev_i32_e32 v117, 31, v115
	s_delay_alu instid0(VALU_DEP_1) | instskip(NEXT) | instid1(VALU_DEP_1)
	v_dual_ashrrev_i32 v114, 31, v11 :: v_dual_lshrrev_b32 v117, 23, v117
	v_lshrrev_b32_e32 v114, 27, v114
	s_delay_alu instid0(VALU_DEP_1) | instskip(NEXT) | instid1(VALU_DEP_1)
	v_add_nc_u32_e32 v114, v11, v114
	v_dual_add_nc_u32 v41, v115, v117 :: v_dual_ashrrev_i32 v42, 5, v114
	v_and_b32_e32 v118, 0xffffffe0, v114
	s_delay_alu instid0(VALU_DEP_2) | instskip(NEXT) | instid1(VALU_DEP_2)
	v_and_b32_e32 v117, 0xfffffe00, v41
	v_dual_ashrrev_i32 v41, 9, v41 :: v_dual_sub_nc_u32 v118, v11, v118
	s_delay_alu instid0(VALU_DEP_1) | instskip(NEXT) | instid1(VALU_DEP_1)
	v_dual_sub_nc_u32 v119, v115, v117 :: v_dual_lshlrev_b32 v11, 4, v118
	v_cmp_lt_i32_e32 vcc_lo, 15, v119
	s_delay_alu instid0(VALU_DEP_2) | instskip(NEXT) | instid1(VALU_DEP_4)
	v_lshl_add_u32 v114, v42, 9, v11
	v_add_co_ci_u32_e64 v41, null, 0, v41, vcc_lo
	s_delay_alu instid0(VALU_DEP_2) | instskip(NEXT) | instid1(VALU_DEP_2)
	v_sub_nc_u32_e32 v11, v115, v114
	v_sub_nc_u32_e32 v42, v41, v42
	s_delay_alu instid0(VALU_DEP_2)
	v_cmpx_lt_i32_e32 15, v11
	s_cbranch_execz .LBB2_139
; %bb.136:                              ;   in Loop: Header=BB2_57 Depth=2
	v_add_nc_u32_e32 v114, v114, v116
	s_mov_b32 s60, 0
	s_delay_alu instid0(VALU_DEP_1)
	v_ashrrev_i32_e32 v115, 31, v114
.LBB2_137:                              ;   Parent Loop BB2_47 Depth=1
                                        ;     Parent Loop BB2_57 Depth=2
                                        ; =>    This Inner Loop Header: Depth=3
	s_delay_alu instid0(VALU_DEP_1) | instskip(SKIP_4) | instid1(VALU_DEP_4)
	v_add_nc_u64_e32 v[44:45], v[14:15], v[114:115]
	v_sub_nc_u32_e32 v11, v11, v64
	v_add_nc_u64_e32 v[56:57], v[112:113], v[114:115]
	v_add_nc_u64_e32 v[114:115], v[114:115], v[64:65]
	v_sub_nc_u32_e32 v42, v42, v36
	v_cmp_gt_i32_e64 s13, 16, v11
	global_load_b128 v[44:47], v[44:45], off th:TH_LOAD_NT
	s_or_b32 s60, s13, s60
	s_wait_loadcnt 0x0
	global_store_b128 v[56:57], v[44:47], off th:TH_STORE_NT
	s_wait_xcnt 0x0
	s_and_not1_b32 exec_lo, exec_lo, s60
	s_cbranch_execnz .LBB2_137
; %bb.138:                              ;   in Loop: Header=BB2_57 Depth=2
	s_or_b32 exec_lo, exec_lo, s60
.LBB2_139:                              ;   in Loop: Header=BB2_57 Depth=2
	s_delay_alu instid0(SALU_CYCLE_1) | instskip(SKIP_3) | instid1(VALU_DEP_1)
	s_or_b32 exec_lo, exec_lo, s41
	v_dual_mov_b32 v11, 0 :: v_dual_bitop2_b32 v115, 14, v9 bitop3:0x40
	s_mov_b32 s41, 0
	s_mov_b32 s60, exec_lo
                                        ; implicit-def: $vgpr41
                                        ; implicit-def: $vgpr114
	v_cndmask_b32_e32 v9, v119, v115, vcc_lo
	s_delay_alu instid0(VALU_DEP_1)
	v_cmpx_ne_u32_e32 0, v9
	s_cbranch_execz .LBB2_141
; %bb.140:                              ;   in Loop: Header=BB2_57 Depth=2
	v_cmp_lt_i32_e64 s13, 0, v42
	s_mov_b32 s41, exec_lo
	v_dual_sub_nc_u32 v114, v119, v115 :: v_dual_cndmask_b32 v11, 0, v36, s13
	s_delay_alu instid0(VALU_DEP_1) | instskip(NEXT) | instid1(VALU_DEP_2)
	v_cndmask_b32_e32 v114, 0, v114, vcc_lo
	v_sub_nc_u32_e32 v11, v11, v42
	s_delay_alu instid0(VALU_DEP_1) | instskip(NEXT) | instid1(VALU_DEP_1)
	v_lshl_add_u32 v41, v11, 5, v118
	v_ashrrev_i32_e32 v11, 31, v41
	s_delay_alu instid0(VALU_DEP_1) | instskip(NEXT) | instid1(VALU_DEP_1)
	v_lshrrev_b32_e32 v11, 27, v11
	v_add_nc_u32_e32 v115, v41, v11
	v_add3_u32 v11, v117, v116, v114
	s_delay_alu instid0(VALU_DEP_2)
	v_ashrrev_i32_e32 v114, 5, v115
.LBB2_141:                              ;   in Loop: Header=BB2_57 Depth=2
	s_or_b32 exec_lo, exec_lo, s60
	s_delay_alu instid0(SALU_CYCLE_1)
	s_and_b32 s41, s41, exec_lo
.LBB2_142:                              ;   in Loop: Header=BB2_57 Depth=2
	s_or_b32 exec_lo, exec_lo, s40
	s_and_saveexec_b32 s13, s41
	s_cbranch_execz .LBB2_151
.LBB2_143:                              ;   in Loop: Header=BB2_57 Depth=2
	v_ashrrev_i32_e32 v115, 31, v9
	s_mov_b32 s40, exec_lo
	s_delay_alu instid0(VALU_DEP_1) | instskip(NEXT) | instid1(VALU_DEP_1)
	v_lshrrev_b32_e32 v115, 24, v115
	v_add_nc_u32_e32 v115, v9, v115
	s_delay_alu instid0(VALU_DEP_1) | instskip(NEXT) | instid1(VALU_DEP_1)
	v_dual_ashrrev_i32 v44, 8, v115 :: v_dual_ashrrev_i32 v115, 31, v41
	v_dual_sub_nc_u32 v42, v44, v114 :: v_dual_lshrrev_b32 v43, 27, v115
	s_delay_alu instid0(VALU_DEP_1)
	v_cmpx_lt_i32_e32 0, v42
	s_cbranch_execz .LBB2_147
; %bb.144:                              ;   in Loop: Header=BB2_57 Depth=2
	s_delay_alu instid0(VALU_DEP_2) | instskip(SKIP_3) | instid1(VALU_DEP_3)
	v_dual_add_nc_u32 v115, v41, v43 :: v_dual_lshlrev_b32 v114, 8, v114
	v_mov_b64_e32 v[116:117], v[112:113]
	v_mov_b64_e32 v[118:119], v[14:15]
	s_mov_b32 s41, 0
	v_and_b32_e32 v115, 0x7fffffe0, v115
	s_delay_alu instid0(VALU_DEP_1) | instskip(NEXT) | instid1(VALU_DEP_1)
	v_sub_nc_u32_e32 v115, v41, v115
	v_lshlrev_b32_e32 v115, 1, v115
	s_delay_alu instid0(VALU_DEP_1) | instskip(NEXT) | instid1(VALU_DEP_1)
	v_add3_u32 v114, v115, v11, v114
	v_ashrrev_i32_e32 v115, 31, v114
.LBB2_145:                              ;   Parent Loop BB2_47 Depth=1
                                        ;     Parent Loop BB2_57 Depth=2
                                        ; =>    This Inner Loop Header: Depth=3
	s_delay_alu instid0(VALU_DEP_1)
	v_add_nc_u64_e32 v[46:47], v[114:115], v[118:119]
	v_sub_nc_u32_e32 v42, v42, v36
	v_add_nc_u64_e32 v[118:119], v[118:119], v[66:67]
	s_clause 0x3
	flat_load_u16 v45, v[46:47] th:TH_LOAD_NT
	flat_load_u16 v56, v[46:47] offset:64 th:TH_LOAD_NT
	flat_load_u16 v57, v[46:47] offset:128 th:TH_LOAD_NT
	;; [unrolled: 1-line block ×3, first 2 shown]
	s_wait_xcnt 0x0
	v_add_nc_u64_e32 v[46:47], v[114:115], v[116:117]
	v_cmp_gt_i32_e32 vcc_lo, 1, v42
	v_add_nc_u64_e32 v[116:117], v[116:117], v[66:67]
	s_wait_loadcnt_dscnt 0x303
	flat_store_b16 v[46:47], v45 th:TH_STORE_NT
	s_wait_loadcnt_dscnt 0x203
	flat_store_b16 v[46:47], v56 offset:64 th:TH_STORE_NT
	s_wait_loadcnt_dscnt 0x103
	flat_store_b16 v[46:47], v57 offset:128 th:TH_STORE_NT
	;; [unrolled: 2-line block ×3, first 2 shown]
	s_or_b32 s41, vcc_lo, s41
	s_wait_xcnt 0x0
	s_and_not1_b32 exec_lo, exec_lo, s41
	s_cbranch_execnz .LBB2_145
; %bb.146:                              ;   in Loop: Header=BB2_57 Depth=2
	s_or_b32 exec_lo, exec_lo, s41
.LBB2_147:                              ;   in Loop: Header=BB2_57 Depth=2
	s_delay_alu instid0(SALU_CYCLE_1) | instskip(SKIP_1) | instid1(VALU_DEP_1)
	s_or_b32 exec_lo, exec_lo, s40
	v_lshlrev_b32_e32 v114, 8, v44
	v_cmp_ne_u32_e32 vcc_lo, v9, v114
	s_and_b32 exec_lo, exec_lo, vcc_lo
	s_cbranch_execz .LBB2_151
; %bb.148:                              ;   in Loop: Header=BB2_57 Depth=2
	v_dual_add_nc_u32 v115, v41, v43 :: v_dual_lshlrev_b32 v116, 5, v42
	s_delay_alu instid0(VALU_DEP_1) | instskip(NEXT) | instid1(VALU_DEP_1)
	v_and_b32_e32 v115, 0xffffffe0, v115
	v_sub_nc_u32_e32 v115, v41, v115
	s_delay_alu instid0(VALU_DEP_1) | instskip(NEXT) | instid1(VALU_DEP_1)
	v_sub_nc_u32_e32 v115, v115, v116
	v_ashrrev_i32_e32 v116, 31, v115
	s_delay_alu instid0(VALU_DEP_1) | instskip(NEXT) | instid1(VALU_DEP_1)
	v_lshrrev_b32_e32 v116, 27, v116
	v_add_nc_u32_e32 v116, v115, v116
	s_delay_alu instid0(VALU_DEP_1) | instskip(NEXT) | instid1(VALU_DEP_1)
	v_and_b32_e32 v117, 0x7fffffe0, v116
	v_dual_lshlrev_b32 v116, 1, v116 :: v_dual_sub_nc_u32 v115, v115, v117
	s_delay_alu instid0(VALU_DEP_1) | instskip(NEXT) | instid1(VALU_DEP_2)
	v_and_b32_e32 v116, 0xffffffc0, v116
	v_lshlrev_b32_e32 v115, 1, v115
	s_delay_alu instid0(VALU_DEP_1) | instskip(NEXT) | instid1(VALU_DEP_1)
	v_add3_u32 v114, v116, v115, v114
	v_sub_nc_u32_e32 v9, v9, v114
	s_delay_alu instid0(VALU_DEP_1)
	v_cmp_lt_i32_e32 vcc_lo, 1, v9
	s_and_b32 exec_lo, exec_lo, vcc_lo
	s_cbranch_execz .LBB2_151
; %bb.149:                              ;   in Loop: Header=BB2_57 Depth=2
	v_add_nc_u32_e32 v114, v114, v11
	s_mov_b32 s40, 0
	s_delay_alu instid0(VALU_DEP_1)
	v_ashrrev_i32_e32 v115, 31, v114
.LBB2_150:                              ;   Parent Loop BB2_47 Depth=1
                                        ;     Parent Loop BB2_57 Depth=2
                                        ; =>    This Inner Loop Header: Depth=3
	s_delay_alu instid0(VALU_DEP_1) | instskip(SKIP_1) | instid1(VALU_DEP_1)
	v_add_nc_u64_e32 v[116:117], v[14:15], v[114:115]
	v_sub_nc_u32_e32 v9, v9, v68
	v_cmp_gt_i32_e32 vcc_lo, 2, v9
	flat_load_u16 v11, v[116:117] th:TH_LOAD_NT
	s_wait_xcnt 0x0
	v_add_nc_u64_e32 v[116:117], v[112:113], v[114:115]
	v_add_nc_u64_e32 v[114:115], v[114:115], v[68:69]
	s_or_b32 s40, vcc_lo, s40
	s_wait_loadcnt_dscnt 0x0
	flat_store_b16 v[116:117], v11 th:TH_STORE_NT
	s_wait_xcnt 0x0
	s_and_not1_b32 exec_lo, exec_lo, s40
	s_cbranch_execnz .LBB2_150
.LBB2_151:                              ;   in Loop: Header=BB2_57 Depth=2
	s_or_b32 exec_lo, exec_lo, s13
	v_cmp_lt_i32_e64 s13, 0, v2
	s_and_saveexec_b32 s40, s2
	s_cbranch_execz .LBB2_170
.LBB2_152:                              ;   in Loop: Header=BB2_57 Depth=2
	s_and_saveexec_b32 s41, s3
	s_delay_alu instid0(SALU_CYCLE_1)
	s_xor_b32 s41, exec_lo, s41
	s_cbranch_execz .LBB2_167
; %bb.153:                              ;   in Loop: Header=BB2_57 Depth=2
	s_and_saveexec_b32 s60, s6
	s_cbranch_execz .LBB2_166
; %bb.154:                              ;   in Loop: Header=BB2_57 Depth=2
	s_mov_b32 s62, exec_lo
	s_mov_b32 s61, exec_lo
	v_mbcnt_lo_u32_b32 v2, s62, 0
	global_wb scope:SCOPE_DEV
	s_wait_storecnt 0x0
	s_wait_loadcnt_dscnt 0x0
	global_inv scope:SCOPE_DEV
	v_cmpx_eq_u32_e32 0, v2
	s_cbranch_execz .LBB2_156
; %bb.155:                              ;   in Loop: Header=BB2_57 Depth=2
	s_bcnt1_i32_b32 s62, s62
	s_delay_alu instid0(SALU_CYCLE_1)
	v_mov_b32_e32 v2, s62
	s_wait_loadcnt 0x0
	ds_add_u64 v0, v[2:3]
	s_trap 2
.LBB2_156:                              ;   in Loop: Header=BB2_57 Depth=2
	s_or_b32 exec_lo, exec_lo, s61
	s_trap 2
	ds_load_b64 v[14:15], v0
	s_wait_dscnt 0x0
	v_add_nc_u64_e32 v[32:33], v[32:33], v[36:37]
	s_mov_b32 s61, exec_lo
	s_delay_alu instid0(VALU_DEP_1)
	v_cmpx_lt_u64_e64 v[14:15], v[32:33]
	s_cbranch_execz .LBB2_165
; %bb.157:                              ;   in Loop: Header=BB2_57 Depth=2
	s_mov_b32 s62, 0
	s_mov_b32 s73, 0
                                        ; implicit-def: $sgpr63
                                        ; implicit-def: $sgpr72
	s_branch .LBB2_159
.LBB2_158:                              ;   in Loop: Header=BB2_159 Depth=3
	s_or_b32 exec_lo, exec_lo, s75
	s_delay_alu instid0(SALU_CYCLE_1) | instskip(NEXT) | instid1(SALU_CYCLE_1)
	s_and_b32 s74, exec_lo, s76
	s_or_b32 s62, s74, s62
	s_and_not1_b32 s63, s63, exec_lo
	s_and_b32 s74, s72, exec_lo
	s_delay_alu instid0(SALU_CYCLE_1)
	s_or_b32 s63, s63, s74
	s_and_not1_b32 exec_lo, exec_lo, s62
	s_cbranch_execz .LBB2_163
.LBB2_159:                              ;   Parent Loop BB2_47 Depth=1
                                        ;     Parent Loop BB2_57 Depth=2
                                        ; =>    This Inner Loop Header: Depth=3
	s_add_co_i32 s73, s73, 1
	s_delay_alu instid0(SALU_CYCLE_1) | instskip(SKIP_1) | instid1(SALU_CYCLE_1)
	s_cmp_lg_u32 s73, 0x2710
	s_cselect_b32 s74, -1, 0
	s_and_b32 vcc_lo, exec_lo, s74
	s_cbranch_vccz .LBB2_161
; %bb.160:                              ;   in Loop: Header=BB2_159 Depth=3
	s_mov_b32 s76, -1
	s_or_b32 s72, s72, exec_lo
	s_and_saveexec_b32 s75, s74
	s_cbranch_execz .LBB2_158
	s_branch .LBB2_162
.LBB2_161:                              ;   in Loop: Header=BB2_159 Depth=3
	s_trap 2
	ds_load_b64 v[14:15], v0
	s_and_not1_b32 s74, s74, exec_lo
	s_mov_b32 s73, 0
	s_wait_loadcnt_dscnt 0x0
	flat_load_b32 v2, v[14:15] scope:SCOPE_SYS
	s_wait_loadcnt_dscnt 0x0
	global_inv scope:SCOPE_SYS
	v_cmp_eq_u32_e32 vcc_lo, 0, v2
	s_and_b32 s75, vcc_lo, exec_lo
	s_delay_alu instid0(SALU_CYCLE_1)
	s_or_b32 s74, s74, s75
	s_mov_b32 s76, -1
	s_or_b32 s72, s72, exec_lo
	s_and_saveexec_b32 s75, s74
	s_cbranch_execz .LBB2_158
.LBB2_162:                              ;   in Loop: Header=BB2_159 Depth=3
	s_sleep 1
	s_trap 2
	ds_load_b64 v[14:15], v0
	s_wait_dscnt 0x0
	s_and_not1_b32 s72, s72, exec_lo
	v_cmp_ge_u64_e32 vcc_lo, v[14:15], v[32:33]
	s_or_not1_b32 s76, vcc_lo, exec_lo
	s_branch .LBB2_158
.LBB2_163:                              ;   in Loop: Header=BB2_57 Depth=2
	s_or_b32 exec_lo, exec_lo, s62
	s_and_saveexec_b32 s62, s63
	s_delay_alu instid0(SALU_CYCLE_1)
	s_xor_b32 s62, exec_lo, s62
	s_cbranch_execz .LBB2_165
; %bb.164:                              ;   in Loop: Header=BB2_57 Depth=2
	ds_store_b32 v0, v61
	s_trap 2
.LBB2_165:                              ;   in Loop: Header=BB2_57 Depth=2
	s_or_b32 exec_lo, exec_lo, s61
	;;#ASMSTART
	s_wakeup
	;;#ASMEND
.LBB2_166:                              ;   in Loop: Header=BB2_57 Depth=2
	s_or_b32 exec_lo, exec_lo, s60
.LBB2_167:                              ;   in Loop: Header=BB2_57 Depth=2
	s_and_not1_saveexec_b32 s41, s41
	s_cbranch_execz .LBB2_169
; %bb.168:                              ;   in Loop: Header=BB2_57 Depth=2
	global_wb scope:SCOPE_DEV
	s_wait_storecnt 0x0
	s_wait_loadcnt_dscnt 0x0
	global_inv scope:SCOPE_DEV
	s_barrier_signal -1
	s_barrier_wait -1
.LBB2_169:                              ;   in Loop: Header=BB2_57 Depth=2
	s_or_b32 exec_lo, exec_lo, s41
.LBB2_170:                              ;   in Loop: Header=BB2_57 Depth=2
	s_delay_alu instid0(SALU_CYCLE_1) | instskip(SKIP_2) | instid1(SALU_CYCLE_1)
	s_or_b32 exec_lo, exec_lo, s40
	v_and_b32_e32 v9, 16, v30
	s_and_saveexec_b32 s40, s7
	s_xor_b32 s40, exec_lo, s40
	s_cbranch_execz .LBB2_174
; %bb.171:                              ;   in Loop: Header=BB2_57 Depth=2
	v_and_b32_e32 v2, 16, v30
	v_and_b32_e32 v9, 16, v30
	s_delay_alu instid0(VALU_DEP_2) | instskip(SKIP_1) | instid1(SALU_CYCLE_1)
	v_cmp_ne_u32_e32 vcc_lo, 0, v2
	s_and_b32 s41, vcc_lo, s13
	s_and_saveexec_b32 s13, s41
	s_cbranch_execz .LBB2_173
; %bb.172:                              ;   in Loop: Header=BB2_57 Depth=2
	v_mov_b32_e32 v9, 1
	global_wb scope:SCOPE_SYS
	s_wait_storecnt 0x0
	s_wait_loadcnt_dscnt 0x0
	global_inv scope:SCOPE_SYS
.LBB2_173:                              ;   in Loop: Header=BB2_57 Depth=2
	s_or_b32 exec_lo, exec_lo, s13
.LBB2_174:                              ;   in Loop: Header=BB2_57 Depth=2
	s_and_not1_saveexec_b32 s13, s40
	s_cbranch_execz .LBB2_193
; %bb.175:                              ;   in Loop: Header=BB2_57 Depth=2
	s_and_saveexec_b32 s40, s3
	s_delay_alu instid0(SALU_CYCLE_1)
	s_xor_b32 s40, exec_lo, s40
	s_cbranch_execz .LBB2_190
; %bb.176:                              ;   in Loop: Header=BB2_57 Depth=2
	s_and_saveexec_b32 s41, s6
	s_cbranch_execz .LBB2_189
; %bb.177:                              ;   in Loop: Header=BB2_57 Depth=2
	s_mov_b32 s61, exec_lo
	s_mov_b32 s60, exec_lo
	v_mbcnt_lo_u32_b32 v2, s61, 0
	;;#ASMSTART
	s_waitcnt lgkmcnt(0) vmcnt(0)
	;;#ASMEND
	s_delay_alu instid0(VALU_DEP_1)
	v_cmpx_eq_u32_e32 0, v2
	s_cbranch_execz .LBB2_179
; %bb.178:                              ;   in Loop: Header=BB2_57 Depth=2
	s_bcnt1_i32_b32 s61, s61
	s_delay_alu instid0(SALU_CYCLE_1)
	v_mov_b32_e32 v2, s61
	s_wait_storecnt 0x0
	s_wait_loadcnt_dscnt 0x0
	ds_add_u64 v0, v[2:3]
	s_trap 2
.LBB2_179:                              ;   in Loop: Header=BB2_57 Depth=2
	s_or_b32 exec_lo, exec_lo, s60
	s_trap 2
	ds_load_b64 v[14:15], v0
	s_wait_dscnt 0x0
	v_add_nc_u64_e32 v[32:33], v[32:33], v[36:37]
	s_mov_b32 s60, exec_lo
	s_delay_alu instid0(VALU_DEP_1)
	v_cmpx_lt_u64_e64 v[14:15], v[32:33]
	s_cbranch_execz .LBB2_188
; %bb.180:                              ;   in Loop: Header=BB2_57 Depth=2
	s_mov_b32 s61, 0
	s_mov_b32 s72, 0
                                        ; implicit-def: $sgpr62
                                        ; implicit-def: $sgpr63
	s_branch .LBB2_182
.LBB2_181:                              ;   in Loop: Header=BB2_182 Depth=3
	s_or_b32 exec_lo, exec_lo, s74
	s_delay_alu instid0(SALU_CYCLE_1) | instskip(NEXT) | instid1(SALU_CYCLE_1)
	s_and_b32 s73, exec_lo, s75
	s_or_b32 s61, s73, s61
	s_and_not1_b32 s62, s62, exec_lo
	s_and_b32 s73, s63, exec_lo
	s_delay_alu instid0(SALU_CYCLE_1)
	s_or_b32 s62, s62, s73
	s_and_not1_b32 exec_lo, exec_lo, s61
	s_cbranch_execz .LBB2_186
.LBB2_182:                              ;   Parent Loop BB2_47 Depth=1
                                        ;     Parent Loop BB2_57 Depth=2
                                        ; =>    This Inner Loop Header: Depth=3
	s_add_co_i32 s72, s72, 1
	s_delay_alu instid0(SALU_CYCLE_1) | instskip(SKIP_1) | instid1(SALU_CYCLE_1)
	s_cmp_lg_u32 s72, 0x2710
	s_cselect_b32 s73, -1, 0
	s_and_b32 vcc_lo, exec_lo, s73
	s_cbranch_vccz .LBB2_184
; %bb.183:                              ;   in Loop: Header=BB2_182 Depth=3
	s_mov_b32 s75, -1
	s_or_b32 s63, s63, exec_lo
	s_and_saveexec_b32 s74, s73
	s_cbranch_execz .LBB2_181
	s_branch .LBB2_185
.LBB2_184:                              ;   in Loop: Header=BB2_182 Depth=3
	s_trap 2
	ds_load_b64 v[14:15], v0
	s_and_not1_b32 s73, s73, exec_lo
	s_mov_b32 s72, 0
	s_wait_storecnt 0x0
	s_wait_loadcnt_dscnt 0x0
	flat_load_b32 v2, v[14:15] scope:SCOPE_SYS
	s_wait_loadcnt_dscnt 0x0
	global_inv scope:SCOPE_SYS
	v_cmp_eq_u32_e32 vcc_lo, 0, v2
	s_and_b32 s74, vcc_lo, exec_lo
	s_delay_alu instid0(SALU_CYCLE_1)
	s_or_b32 s73, s73, s74
	s_mov_b32 s75, -1
	s_or_b32 s63, s63, exec_lo
	s_and_saveexec_b32 s74, s73
	s_cbranch_execz .LBB2_181
.LBB2_185:                              ;   in Loop: Header=BB2_182 Depth=3
	s_sleep 1
	s_trap 2
	ds_load_b64 v[14:15], v0
	s_wait_dscnt 0x0
	s_and_not1_b32 s63, s63, exec_lo
	v_cmp_ge_u64_e32 vcc_lo, v[14:15], v[32:33]
	s_or_not1_b32 s75, vcc_lo, exec_lo
	s_branch .LBB2_181
.LBB2_186:                              ;   in Loop: Header=BB2_57 Depth=2
	s_or_b32 exec_lo, exec_lo, s61
	s_and_saveexec_b32 s61, s62
	s_delay_alu instid0(SALU_CYCLE_1)
	s_xor_b32 s61, exec_lo, s61
	s_cbranch_execz .LBB2_188
; %bb.187:                              ;   in Loop: Header=BB2_57 Depth=2
	ds_store_b32 v0, v61
	s_trap 2
.LBB2_188:                              ;   in Loop: Header=BB2_57 Depth=2
	s_or_b32 exec_lo, exec_lo, s60
	;;#ASMSTART
	s_wakeup
	;;#ASMEND
.LBB2_189:                              ;   in Loop: Header=BB2_57 Depth=2
	s_or_b32 exec_lo, exec_lo, s41
.LBB2_190:                              ;   in Loop: Header=BB2_57 Depth=2
	s_and_not1_saveexec_b32 s40, s40
	s_cbranch_execz .LBB2_192
; %bb.191:                              ;   in Loop: Header=BB2_57 Depth=2
	;;#ASMSTART
	s_waitcnt lgkmcnt(0) vmcnt(0)
	;;#ASMEND
	s_barrier_signal -1
	s_barrier_wait -1
.LBB2_192:                              ;   in Loop: Header=BB2_57 Depth=2
	s_or_b32 exec_lo, exec_lo, s40
.LBB2_193:                              ;   in Loop: Header=BB2_57 Depth=2
	s_delay_alu instid0(SALU_CYCLE_1) | instskip(NEXT) | instid1(SALU_CYCLE_1)
	s_or_b32 exec_lo, exec_lo, s13
	s_mov_b32 s13, exec_lo
	v_cmpx_ne_u32_e32 0, v9
	s_cbranch_execz .LBB2_56
; %bb.194:                              ;   in Loop: Header=BB2_57 Depth=2
	s_and_saveexec_b32 s40, s5
	s_cbranch_execz .LBB2_55
; %bb.195:                              ;   in Loop: Header=BB2_57 Depth=2
	global_wb scope:SCOPE_SYS
	s_wait_storecnt 0x0
	s_wait_loadcnt_dscnt 0x0
	flat_store_b32 v[28:29], v61 scope:SCOPE_SYS
	s_branch .LBB2_55
.LBB2_196:                              ;   in Loop: Header=BB2_47 Depth=1
	s_or_b32 exec_lo, exec_lo, s15
.LBB2_197:                              ;   in Loop: Header=BB2_47 Depth=1
	s_delay_alu instid0(SALU_CYCLE_1) | instskip(NEXT) | instid1(SALU_CYCLE_1)
	s_or_b32 exec_lo, exec_lo, s14
	s_mov_b32 s14, exec_lo
	v_cmpx_gt_i32_e32 2, v2
	s_cbranch_execz .LBB2_271
; %bb.198:                              ;   in Loop: Header=BB2_47 Depth=1
	v_cmp_eq_u32_e64 s18, 0, v2
	s_mov_b32 s15, 0
	s_branch .LBB2_201
.LBB2_199:                              ;   in Loop: Header=BB2_201 Depth=2
	s_wait_xcnt 0x0
	s_or_b32 exec_lo, exec_lo, s18
	v_add_nc_u64_e32 v[98:99], 2, v[98:99]
	global_wb scope:SCOPE_SYS
	s_wait_storecnt 0x0
	s_wait_loadcnt_dscnt 0x0
	flat_store_b64 v[22:23], v[98:99] scope:SCOPE_SYS
.LBB2_200:                              ;   in Loop: Header=BB2_201 Depth=2
	s_wait_xcnt 0x0
	s_or_b32 exec_lo, exec_lo, s13
	v_add_nc_u32_e32 v10, v8, v10
	s_mov_b32 s18, 0
	s_and_not1_b32 exec_lo, exec_lo, s15
	s_cbranch_execz .LBB2_270
.LBB2_201:                              ;   Parent Loop BB2_47 Depth=1
                                        ; =>  This Loop Header: Depth=2
                                        ;       Child Loop BB2_207 Depth 3
                                        ;       Child Loop BB2_231 Depth 3
	;; [unrolled: 1-line block ×3, first 2 shown]
	s_delay_alu instid0(VALU_DEP_1) | instskip(SKIP_2) | instid1(VALU_DEP_2)
	v_sub_nc_u32_e32 v2, v40, v10
	v_and_b32_e32 v9, 8, v30
	s_mov_b32 s27, exec_lo
	v_min_i32_e32 v8, v8, v2
	s_delay_alu instid0(VALU_DEP_2)
	v_cmpx_ne_u32_e32 0, v9
	s_cbranch_execz .LBB2_223
; %bb.202:                              ;   in Loop: Header=BB2_201 Depth=2
	s_wait_loadcnt_dscnt 0x1
	v_add_nc_u64_e32 v[14:15], 8, v[34:35]
	v_add_nc_u64_e32 v[12:13], 2, v[98:99]
	s_mov_b32 s40, exec_lo
	s_delay_alu instid0(VALU_DEP_1)
	v_cmpx_lt_u64_e64 v[14:15], v[12:13]
	s_cbranch_execz .LBB2_214
; %bb.203:                              ;   in Loop: Header=BB2_201 Depth=2
	v_and_b32_e32 v2, 64, v30
	s_mov_b32 s41, 0
	s_mov_b32 s63, 0
                                        ; implicit-def: $sgpr60
                                        ; implicit-def: $sgpr61
                                        ; implicit-def: $sgpr62
	s_delay_alu instid0(VALU_DEP_1)
	v_cmp_eq_u32_e32 vcc_lo, 0, v2
	s_branch .LBB2_207
.LBB2_204:                              ;   in Loop: Header=BB2_207 Depth=3
	s_wait_loadcnt_dscnt 0x0
	v_add_nc_u64_e32 v[14:15], 8, v[34:35]
	s_or_b32 s74, s74, exec_lo
	s_delay_alu instid0(VALU_DEP_1)
	v_cmp_ge_u64_e64 s13, v[14:15], v[12:13]
	s_or_not1_b32 s73, s13, exec_lo
.LBB2_205:                              ;   in Loop: Header=BB2_207 Depth=3
	s_or_b32 exec_lo, exec_lo, s76
	s_delay_alu instid0(SALU_CYCLE_1)
	s_and_not1_b32 s13, s62, exec_lo
	s_and_b32 s62, s74, exec_lo
	s_and_not1_b32 s61, s61, exec_lo
	s_and_b32 s73, s73, exec_lo
	s_or_b32 s62, s13, s62
	s_or_b32 s61, s61, s73
.LBB2_206:                              ;   in Loop: Header=BB2_207 Depth=3
	s_or_b32 exec_lo, exec_lo, s72
	s_delay_alu instid0(SALU_CYCLE_1) | instskip(NEXT) | instid1(SALU_CYCLE_1)
	s_and_b32 s13, exec_lo, s61
	s_or_b32 s41, s13, s41
	s_and_not1_b32 s13, s60, exec_lo
	s_and_b32 s60, s62, exec_lo
	s_delay_alu instid0(SALU_CYCLE_1)
	s_or_b32 s60, s13, s60
	s_and_not1_b32 exec_lo, exec_lo, s41
	s_cbranch_execz .LBB2_211
.LBB2_207:                              ;   Parent Loop BB2_47 Depth=1
                                        ;     Parent Loop BB2_201 Depth=2
                                        ; =>    This Inner Loop Header: Depth=3
	s_sleep 1
	s_wait_loadcnt_dscnt 0x0
	flat_load_b64 v[34:35], v[22:23] scope:SCOPE_SYS
	s_or_b32 s62, s62, exec_lo
	s_or_b32 s61, s61, exec_lo
                                        ; implicit-def: $vgpr2
	s_wait_xcnt 0x0
	s_and_saveexec_b32 s72, vcc_lo
	s_cbranch_execz .LBB2_206
; %bb.208:                              ;   in Loop: Header=BB2_207 Depth=3
	s_cmp_lt_i32 s63, 0x270f
	s_mov_b32 s73, -1
	s_cselect_b32 s75, -1, 0
	s_cmp_gt_i32 s63, 0x270e
	s_cbranch_scc0 .LBB2_210
; %bb.209:                              ;   in Loop: Header=BB2_207 Depth=3
	s_trap 2
	ds_load_b64 v[14:15], v0
	s_and_not1_b32 s63, s75, exec_lo
	s_mov_b32 s74, 0
	s_wait_storecnt 0x0
	s_wait_loadcnt_dscnt 0x0
	flat_load_b32 v2, v[14:15] scope:SCOPE_SYS
	s_wait_loadcnt_dscnt 0x0
	global_inv scope:SCOPE_SYS
	v_cmp_eq_u32_e64 s13, 0, v2
	s_and_b32 s13, s13, exec_lo
	s_delay_alu instid0(SALU_CYCLE_1)
	s_or_b32 s75, s63, s13
	s_mov_b32 s63, 0
	s_and_saveexec_b32 s76, s75
	s_cbranch_execz .LBB2_205
	s_branch .LBB2_204
.LBB2_210:                              ;   in Loop: Header=BB2_207 Depth=3
	s_add_co_i32 s63, s63, 1
	s_mov_b32 s74, -1
                                        ; implicit-def: $vgpr2
	s_and_saveexec_b32 s76, s75
	s_cbranch_execz .LBB2_205
	s_branch .LBB2_204
.LBB2_211:                              ;   in Loop: Header=BB2_201 Depth=2
	s_or_b32 exec_lo, exec_lo, s41
	s_xor_b32 s13, s60, -1
	s_delay_alu instid0(SALU_CYCLE_1) | instskip(NEXT) | instid1(SALU_CYCLE_1)
	s_and_saveexec_b32 s41, s13
	s_xor_b32 s13, exec_lo, s41
	s_cbranch_execz .LBB2_213
; %bb.212:                              ;   in Loop: Header=BB2_201 Depth=2
	v_or_b32_e32 v30, 64, v30
	s_wait_storecnt 0x0
	s_wait_loadcnt_dscnt 0x0
	ds_store_b32 v0, v2
	s_trap 2
.LBB2_213:                              ;   in Loop: Header=BB2_201 Depth=2
	s_or_b32 exec_lo, exec_lo, s13
.LBB2_214:                              ;   in Loop: Header=BB2_201 Depth=2
	s_delay_alu instid0(SALU_CYCLE_1) | instskip(SKIP_4) | instid1(VALU_DEP_1)
	s_or_b32 exec_lo, exec_lo, s40
	v_and_b32_e32 v2, 0x100, v30
	s_mov_b32 s40, 0
	s_mov_b32 s13, exec_lo
	;;#ASMSTART
	s_wakeup
	;;#ASMEND
                                        ; implicit-def: $vgpr14_vgpr15
	v_cmpx_ne_u32_e32 0, v2
	s_xor_b32 s13, exec_lo, s13
	s_cbranch_execz .LBB2_235
; %bb.215:                              ;   in Loop: Header=BB2_201 Depth=2
	v_dual_ashrrev_i32 v9, 31, v8 :: v_dual_bitop2_b32 v2, 7, v98 bitop3:0x40
	s_mov_b32 s40, -1
	s_mov_b32 s41, exec_lo
	s_delay_alu instid0(VALU_DEP_1) | instskip(NEXT) | instid1(VALU_DEP_2)
	v_mad_nc_u64_u32 v[98:99], v2, 24, v[6:7]
	v_lshlrev_b64_e32 v[14:15], 1, v[8:9]
	s_clause 0x1
	flat_load_b32 v11, v[98:99]
	flat_store_b64 v[98:99], v[14:15] offset:8
                                        ; implicit-def: $vgpr14_vgpr15
	s_wait_loadcnt_dscnt 0x1
	v_cmpx_eq_u32_e32 1, v11
	s_cbranch_execz .LBB2_217
; %bb.216:                              ;   in Loop: Header=BB2_201 Depth=2
	flat_load_b32 v14, v[98:99] offset:4 scope:SCOPE_SYS
	s_xor_b32 s40, exec_lo, -1
	s_wait_loadcnt_dscnt 0x0
	v_ashrrev_i32_e32 v15, 31, v14
	s_delay_alu instid0(VALU_DEP_1)
	v_lshrrev_b64 v[14:15], 1, v[14:15]
.LBB2_217:                              ;   in Loop: Header=BB2_201 Depth=2
	s_wait_xcnt 0x0
	s_or_b32 exec_lo, exec_lo, s41
	s_delay_alu instid0(SALU_CYCLE_1)
	s_and_b32 s40, s40, exec_lo
                                        ; implicit-def: $vgpr98_vgpr99
	s_and_not1_saveexec_b32 s13, s13
	s_cbranch_execnz .LBB2_236
.LBB2_218:                              ;   in Loop: Header=BB2_201 Depth=2
	s_or_b32 exec_lo, exec_lo, s13
	s_and_saveexec_b32 s13, s40
.LBB2_219:                              ;   in Loop: Header=BB2_201 Depth=2
	v_mul_u64_e32 v[14:15], v[2:3], v[24:25]
.LBB2_220:                              ;   in Loop: Header=BB2_201 Depth=2
	s_or_b32 exec_lo, exec_lo, s13
	v_and_b32_e32 v2, 0x2000, v30
	s_delay_alu instid0(VALU_DEP_2)
	v_lshl_add_u64 v[14:15], v[14:15], 1, v[26:27]
	s_mov_b32 s13, exec_lo
	ds_store_b64 v0, v[14:15] offset:784
	v_cmpx_ne_u32_e32 0, v2
	s_cbranch_execz .LBB2_222
; %bb.221:                              ;   in Loop: Header=BB2_201 Depth=2
	ds_load_b64 v[14:15], v0 offset:872
	s_wait_dscnt 0x0
	v_add_nc_u64_e32 v[14:15], 1, v[14:15]
	ds_store_b64 v0, v[14:15] offset:872
.LBB2_222:                              ;   in Loop: Header=BB2_201 Depth=2
	s_or_b32 exec_lo, exec_lo, s13
	v_mov_b64_e32 v[98:99], v[12:13]
.LBB2_223:                              ;   in Loop: Header=BB2_201 Depth=2
	s_or_b32 exec_lo, exec_lo, s27
	s_xor_b32 s13, s18, -1
	s_delay_alu instid0(SALU_CYCLE_1) | instskip(NEXT) | instid1(SALU_CYCLE_1)
	s_and_b32 s13, exec_lo, s13
	s_or_b32 s15, s13, s15
	s_and_saveexec_b32 s13, s2
	s_cbranch_execz .LBB2_244
; %bb.224:                              ;   in Loop: Header=BB2_201 Depth=2
	s_and_saveexec_b32 s18, s3
	s_delay_alu instid0(SALU_CYCLE_1)
	s_xor_b32 s18, exec_lo, s18
	s_cbranch_execz .LBB2_241
; %bb.225:                              ;   in Loop: Header=BB2_201 Depth=2
	s_and_saveexec_b32 s27, s6
	s_cbranch_execz .LBB2_240
; %bb.226:                              ;   in Loop: Header=BB2_201 Depth=2
	s_mov_b32 s41, exec_lo
	s_mov_b32 s40, exec_lo
	v_mbcnt_lo_u32_b32 v2, s41, 0
	global_wb scope:SCOPE_DEV
	s_wait_storecnt 0x0
	s_wait_loadcnt_dscnt 0x0
	global_inv scope:SCOPE_DEV
	v_cmpx_eq_u32_e32 0, v2
	s_cbranch_execz .LBB2_228
; %bb.227:                              ;   in Loop: Header=BB2_201 Depth=2
	s_bcnt1_i32_b32 s41, s41
	s_delay_alu instid0(SALU_CYCLE_1)
	v_mov_b32_e32 v2, s41
	s_wait_loadcnt 0x0
	ds_add_u64 v0, v[2:3]
	s_trap 2
.LBB2_228:                              ;   in Loop: Header=BB2_201 Depth=2
	s_or_b32 exec_lo, exec_lo, s40
	s_trap 2
	ds_load_b64 v[12:13], v0
	s_wait_dscnt 0x0
	v_add_nc_u64_e32 v[32:33], v[32:33], v[36:37]
	s_mov_b32 s40, exec_lo
	s_delay_alu instid0(VALU_DEP_1)
	v_cmpx_lt_u64_e64 v[12:13], v[32:33]
	s_cbranch_execz .LBB2_239
; %bb.229:                              ;   in Loop: Header=BB2_201 Depth=2
	s_mov_b32 s41, 0
	s_mov_b32 s62, 0
                                        ; implicit-def: $sgpr60
                                        ; implicit-def: $sgpr61
	s_branch .LBB2_231
.LBB2_230:                              ;   in Loop: Header=BB2_231 Depth=3
	s_or_b32 exec_lo, exec_lo, s72
	s_delay_alu instid0(SALU_CYCLE_1) | instskip(NEXT) | instid1(SALU_CYCLE_1)
	s_and_b32 s63, exec_lo, s73
	s_or_b32 s41, s63, s41
	s_and_not1_b32 s60, s60, exec_lo
	s_and_b32 s63, s61, exec_lo
	s_delay_alu instid0(SALU_CYCLE_1)
	s_or_b32 s60, s60, s63
	s_and_not1_b32 exec_lo, exec_lo, s41
	s_cbranch_execz .LBB2_237
.LBB2_231:                              ;   Parent Loop BB2_47 Depth=1
                                        ;     Parent Loop BB2_201 Depth=2
                                        ; =>    This Inner Loop Header: Depth=3
	s_add_co_i32 s62, s62, 1
	s_delay_alu instid0(SALU_CYCLE_1) | instskip(SKIP_1) | instid1(SALU_CYCLE_1)
	s_cmp_lg_u32 s62, 0x2710
	s_cselect_b32 s63, -1, 0
	s_and_b32 vcc_lo, exec_lo, s63
	s_cbranch_vccz .LBB2_233
; %bb.232:                              ;   in Loop: Header=BB2_231 Depth=3
	s_mov_b32 s73, -1
	s_or_b32 s61, s61, exec_lo
	s_and_saveexec_b32 s72, s63
	s_cbranch_execz .LBB2_230
	s_branch .LBB2_234
.LBB2_233:                              ;   in Loop: Header=BB2_231 Depth=3
	s_trap 2
	ds_load_b64 v[12:13], v0
	s_and_not1_b32 s63, s63, exec_lo
	s_mov_b32 s62, 0
	s_wait_loadcnt_dscnt 0x0
	flat_load_b32 v2, v[12:13] scope:SCOPE_SYS
	s_wait_loadcnt_dscnt 0x0
	global_inv scope:SCOPE_SYS
	v_cmp_eq_u32_e32 vcc_lo, 0, v2
	s_and_b32 s72, vcc_lo, exec_lo
	s_delay_alu instid0(SALU_CYCLE_1)
	s_or_b32 s63, s63, s72
	s_mov_b32 s73, -1
	s_or_b32 s61, s61, exec_lo
	s_and_saveexec_b32 s72, s63
	s_cbranch_execz .LBB2_230
.LBB2_234:                              ;   in Loop: Header=BB2_231 Depth=3
	s_sleep 1
	s_trap 2
	ds_load_b64 v[12:13], v0
	s_wait_dscnt 0x0
	s_and_not1_b32 s61, s61, exec_lo
	v_cmp_ge_u64_e32 vcc_lo, v[12:13], v[32:33]
	s_or_not1_b32 s73, vcc_lo, exec_lo
	s_branch .LBB2_230
.LBB2_235:                              ;   in Loop: Header=BB2_201 Depth=2
	s_and_not1_saveexec_b32 s13, s13
	s_cbranch_execz .LBB2_218
.LBB2_236:                              ;   in Loop: Header=BB2_201 Depth=2
	v_and_b32_e32 v2, 7, v98
	s_or_b32 s40, s40, exec_lo
	s_or_b32 exec_lo, exec_lo, s13
	s_and_saveexec_b32 s13, s40
	s_cbranch_execnz .LBB2_219
	s_branch .LBB2_220
.LBB2_237:                              ;   in Loop: Header=BB2_201 Depth=2
	s_or_b32 exec_lo, exec_lo, s41
	s_and_saveexec_b32 s41, s60
	s_delay_alu instid0(SALU_CYCLE_1)
	s_xor_b32 s41, exec_lo, s41
	s_cbranch_execz .LBB2_239
; %bb.238:                              ;   in Loop: Header=BB2_201 Depth=2
	ds_store_b32 v0, v61
	s_trap 2
.LBB2_239:                              ;   in Loop: Header=BB2_201 Depth=2
	s_or_b32 exec_lo, exec_lo, s40
	;;#ASMSTART
	s_wakeup
	;;#ASMEND
.LBB2_240:                              ;   in Loop: Header=BB2_201 Depth=2
	s_or_b32 exec_lo, exec_lo, s27
.LBB2_241:                              ;   in Loop: Header=BB2_201 Depth=2
	s_and_not1_saveexec_b32 s18, s18
	s_cbranch_execz .LBB2_243
; %bb.242:                              ;   in Loop: Header=BB2_201 Depth=2
	global_wb scope:SCOPE_DEV
	s_wait_storecnt 0x0
	s_wait_loadcnt_dscnt 0x0
	global_inv scope:SCOPE_DEV
	s_barrier_signal -1
	s_barrier_wait -1
.LBB2_243:                              ;   in Loop: Header=BB2_201 Depth=2
	s_or_b32 exec_lo, exec_lo, s18
.LBB2_244:                              ;   in Loop: Header=BB2_201 Depth=2
	s_delay_alu instid0(SALU_CYCLE_1) | instskip(SKIP_2) | instid1(SALU_CYCLE_1)
	s_or_b32 exec_lo, exec_lo, s13
	v_and_b32_e32 v9, 16, v30
	s_and_saveexec_b32 s13, s7
	s_xor_b32 s18, exec_lo, s13
	s_cbranch_execz .LBB2_248
; %bb.245:                              ;   in Loop: Header=BB2_201 Depth=2
	s_trap 2
	ds_load_b32 v2, v0
	v_cmp_lt_i32_e32 vcc_lo, 0, v8
	v_and_b32_e32 v9, 16, v30
	s_wait_dscnt 0x0
	v_readfirstlane_b32 s13, v2
	v_and_b32_e32 v2, 16, v30
	s_cmp_eq_u32 s13, 0
	s_delay_alu instid0(VALU_DEP_1) | instskip(SKIP_1) | instid1(SALU_CYCLE_1)
	v_cmp_ne_u32_e64 s13, 0, v2
	s_cselect_b32 s27, -1, 0
	s_and_b32 s27, vcc_lo, s27
	s_delay_alu instid0(SALU_CYCLE_1) | instskip(NEXT) | instid1(SALU_CYCLE_1)
	s_and_b32 s27, s13, s27
	s_and_saveexec_b32 s13, s27
	s_cbranch_execz .LBB2_247
; %bb.246:                              ;   in Loop: Header=BB2_201 Depth=2
	v_mov_b32_e32 v9, 1
	global_wb scope:SCOPE_SYS
	s_wait_loadcnt 0x0
	s_wait_storecnt 0x0
	global_inv scope:SCOPE_SYS
.LBB2_247:                              ;   in Loop: Header=BB2_201 Depth=2
	s_or_b32 exec_lo, exec_lo, s13
.LBB2_248:                              ;   in Loop: Header=BB2_201 Depth=2
	s_and_not1_saveexec_b32 s13, s18
	s_cbranch_execz .LBB2_267
; %bb.249:                              ;   in Loop: Header=BB2_201 Depth=2
	s_and_saveexec_b32 s18, s3
	s_delay_alu instid0(SALU_CYCLE_1)
	s_xor_b32 s18, exec_lo, s18
	s_cbranch_execz .LBB2_264
; %bb.250:                              ;   in Loop: Header=BB2_201 Depth=2
	s_and_saveexec_b32 s27, s6
	s_cbranch_execz .LBB2_263
; %bb.251:                              ;   in Loop: Header=BB2_201 Depth=2
	s_mov_b32 s41, exec_lo
	s_mov_b32 s40, exec_lo
	v_mbcnt_lo_u32_b32 v2, s41, 0
	;;#ASMSTART
	s_waitcnt lgkmcnt(0) vmcnt(0)
	;;#ASMEND
	s_delay_alu instid0(VALU_DEP_1)
	v_cmpx_eq_u32_e32 0, v2
	s_cbranch_execz .LBB2_253
; %bb.252:                              ;   in Loop: Header=BB2_201 Depth=2
	s_bcnt1_i32_b32 s41, s41
	s_delay_alu instid0(SALU_CYCLE_1)
	v_mov_b32_e32 v2, s41
	s_wait_storecnt 0x0
	s_wait_loadcnt_dscnt 0x0
	ds_add_u64 v0, v[2:3]
	s_trap 2
.LBB2_253:                              ;   in Loop: Header=BB2_201 Depth=2
	s_or_b32 exec_lo, exec_lo, s40
	s_trap 2
	ds_load_b64 v[12:13], v0
	s_wait_dscnt 0x0
	v_add_nc_u64_e32 v[32:33], v[32:33], v[36:37]
	s_mov_b32 s40, exec_lo
	s_delay_alu instid0(VALU_DEP_1)
	v_cmpx_lt_u64_e64 v[12:13], v[32:33]
	s_cbranch_execz .LBB2_262
; %bb.254:                              ;   in Loop: Header=BB2_201 Depth=2
	s_mov_b32 s41, 0
	s_mov_b32 s62, 0
                                        ; implicit-def: $sgpr60
                                        ; implicit-def: $sgpr61
	s_branch .LBB2_256
.LBB2_255:                              ;   in Loop: Header=BB2_256 Depth=3
	s_or_b32 exec_lo, exec_lo, s72
	s_delay_alu instid0(SALU_CYCLE_1) | instskip(NEXT) | instid1(SALU_CYCLE_1)
	s_and_b32 s63, exec_lo, s73
	s_or_b32 s41, s63, s41
	s_and_not1_b32 s60, s60, exec_lo
	s_and_b32 s63, s61, exec_lo
	s_delay_alu instid0(SALU_CYCLE_1)
	s_or_b32 s60, s60, s63
	s_and_not1_b32 exec_lo, exec_lo, s41
	s_cbranch_execz .LBB2_260
.LBB2_256:                              ;   Parent Loop BB2_47 Depth=1
                                        ;     Parent Loop BB2_201 Depth=2
                                        ; =>    This Inner Loop Header: Depth=3
	s_add_co_i32 s62, s62, 1
	s_delay_alu instid0(SALU_CYCLE_1) | instskip(SKIP_1) | instid1(SALU_CYCLE_1)
	s_cmp_lg_u32 s62, 0x2710
	s_cselect_b32 s63, -1, 0
	s_and_b32 vcc_lo, exec_lo, s63
	s_cbranch_vccz .LBB2_258
; %bb.257:                              ;   in Loop: Header=BB2_256 Depth=3
	s_mov_b32 s73, -1
	s_or_b32 s61, s61, exec_lo
	s_and_saveexec_b32 s72, s63
	s_cbranch_execz .LBB2_255
	s_branch .LBB2_259
.LBB2_258:                              ;   in Loop: Header=BB2_256 Depth=3
	s_trap 2
	ds_load_b64 v[12:13], v0
	s_and_not1_b32 s63, s63, exec_lo
	s_mov_b32 s62, 0
	s_wait_storecnt 0x0
	s_wait_loadcnt_dscnt 0x0
	flat_load_b32 v2, v[12:13] scope:SCOPE_SYS
	s_wait_loadcnt_dscnt 0x0
	global_inv scope:SCOPE_SYS
	v_cmp_eq_u32_e32 vcc_lo, 0, v2
	s_and_b32 s72, vcc_lo, exec_lo
	s_delay_alu instid0(SALU_CYCLE_1)
	s_or_b32 s63, s63, s72
	s_mov_b32 s73, -1
	s_or_b32 s61, s61, exec_lo
	s_and_saveexec_b32 s72, s63
	s_cbranch_execz .LBB2_255
.LBB2_259:                              ;   in Loop: Header=BB2_256 Depth=3
	s_sleep 1
	s_trap 2
	ds_load_b64 v[12:13], v0
	s_wait_dscnt 0x0
	s_and_not1_b32 s61, s61, exec_lo
	v_cmp_ge_u64_e32 vcc_lo, v[12:13], v[32:33]
	s_or_not1_b32 s73, vcc_lo, exec_lo
	s_branch .LBB2_255
.LBB2_260:                              ;   in Loop: Header=BB2_201 Depth=2
	s_or_b32 exec_lo, exec_lo, s41
	s_and_saveexec_b32 s41, s60
	s_delay_alu instid0(SALU_CYCLE_1)
	s_xor_b32 s41, exec_lo, s41
	s_cbranch_execz .LBB2_262
; %bb.261:                              ;   in Loop: Header=BB2_201 Depth=2
	ds_store_b32 v0, v61
	s_trap 2
.LBB2_262:                              ;   in Loop: Header=BB2_201 Depth=2
	s_or_b32 exec_lo, exec_lo, s40
	;;#ASMSTART
	s_wakeup
	;;#ASMEND
.LBB2_263:                              ;   in Loop: Header=BB2_201 Depth=2
	s_or_b32 exec_lo, exec_lo, s27
.LBB2_264:                              ;   in Loop: Header=BB2_201 Depth=2
	s_and_not1_saveexec_b32 s18, s18
	s_cbranch_execz .LBB2_266
; %bb.265:                              ;   in Loop: Header=BB2_201 Depth=2
	;;#ASMSTART
	s_waitcnt lgkmcnt(0) vmcnt(0)
	;;#ASMEND
	s_barrier_signal -1
	s_barrier_wait -1
.LBB2_266:                              ;   in Loop: Header=BB2_201 Depth=2
	s_or_b32 exec_lo, exec_lo, s18
.LBB2_267:                              ;   in Loop: Header=BB2_201 Depth=2
	s_delay_alu instid0(SALU_CYCLE_1) | instskip(NEXT) | instid1(SALU_CYCLE_1)
	s_or_b32 exec_lo, exec_lo, s13
	s_mov_b32 s13, exec_lo
	v_cmpx_ne_u32_e32 0, v9
	s_cbranch_execz .LBB2_200
; %bb.268:                              ;   in Loop: Header=BB2_201 Depth=2
	s_and_saveexec_b32 s18, s5
	s_cbranch_execz .LBB2_199
; %bb.269:                              ;   in Loop: Header=BB2_201 Depth=2
	global_wb scope:SCOPE_SYS
	s_wait_storecnt 0x0
	s_wait_loadcnt_dscnt 0x0
	flat_store_b32 v[28:29], v61 scope:SCOPE_SYS
	s_branch .LBB2_199
.LBB2_270:                              ;   in Loop: Header=BB2_47 Depth=1
	s_or_b32 exec_lo, exec_lo, s15
.LBB2_271:                              ;   in Loop: Header=BB2_47 Depth=1
	s_delay_alu instid0(SALU_CYCLE_1) | instskip(NEXT) | instid1(SALU_CYCLE_1)
	s_or_b32 exec_lo, exec_lo, s14
	s_and_not1_b32 vcc_lo, exec_lo, s46
	s_cbranch_vccnz .LBB2_580
; %bb.272:                              ;   in Loop: Header=BB2_47 Depth=1
	s_mov_b32 s14, 2
	s_branch .LBB2_275
.LBB2_273:                              ;   in Loop: Header=BB2_275 Depth=2
	s_or_b32 exec_lo, exec_lo, s18
.LBB2_274:                              ;   in Loop: Header=BB2_275 Depth=2
	s_delay_alu instid0(SALU_CYCLE_1) | instskip(SKIP_1) | instid1(SALU_CYCLE_1)
	s_or_b32 exec_lo, exec_lo, s15
	s_add_co_i32 s14, s14, 1
	s_cmp_eq_u32 s14, s16
	s_cbranch_scc1 .LBB2_580
.LBB2_275:                              ;   Parent Loop BB2_47 Depth=1
                                        ; =>  This Loop Header: Depth=2
                                        ;       Child Loop BB2_278 Depth 3
                                        ;         Child Loop BB2_286 Depth 4
                                        ;         Child Loop BB2_314 Depth 4
	;; [unrolled: 1-line block ×9, first 2 shown]
                                        ;       Child Loop BB2_508 Depth 3
                                        ;         Child Loop BB2_514 Depth 4
                                        ;         Child Loop BB2_542 Depth 4
	;; [unrolled: 1-line block ×3, first 2 shown]
	s_sub_co_i32 s13, s44, s14
	s_mov_b32 s18, 0
	s_cmp_ge_i32 s13, s16
	v_mov_b32_e32 v114, 0
	s_cselect_b32 s15, s16, 0
	s_delay_alu instid0(SALU_CYCLE_1) | instskip(NEXT) | instid1(SALU_CYCLE_1)
	s_sub_co_i32 s40, s13, s15
	s_ashr_i32 s41, s40, 31
	s_delay_alu instid0(SALU_CYCLE_1) | instskip(NEXT) | instid1(VALU_DEP_1)
	v_mul_u64_e32 v[116:117], s[40:41], v[96:97]
	v_sub_nc_u64_e32 v[8:9], v[100:101], v[116:117]
	s_delay_alu instid0(VALU_DEP_1) | instskip(NEXT) | instid1(VALU_DEP_1)
	v_min_i64 v[8:9], v[96:97], v[8:9]
	v_max_i32_e32 v56, 0, v8
	v_cmp_lt_i32_e32 vcc_lo, 0, v8
	s_delay_alu instid0(VALU_DEP_2) | instskip(SKIP_1) | instid1(VALU_DEP_1)
	v_add_nc_u32_e32 v2, 31, v56
	s_and_b32 s13, s57, vcc_lo
	v_lshrrev_b32_e32 v2, 1, v2
	s_delay_alu instid0(VALU_DEP_1) | instskip(NEXT) | instid1(VALU_DEP_1)
	v_and_b32_e32 v9, 0x3ffffff0, v2
	v_dual_mov_b32 v2, 0 :: v_dual_max_i32 v112, s45, v9
	s_and_saveexec_b32 s15, s13
	s_cbranch_execz .LBB2_505
; %bb.276:                              ;   in Loop: Header=BB2_275 Depth=2
	v_mov_b32_e32 v114, 0
	s_mov_b32 s40, 1
	s_mov_b32 s27, -1
	s_branch .LBB2_278
.LBB2_277:                              ;   in Loop: Header=BB2_278 Depth=3
	s_wait_xcnt 0x0
	s_or_b32 exec_lo, exec_lo, s13
	v_dual_add_nc_u32 v114, v112, v114 :: v_dual_mov_b32 v2, s40
	s_xor_b32 s13, s27, -1
	s_mov_b32 s27, 0
	s_mov_b32 s40, 2
	s_delay_alu instid0(VALU_DEP_1) | instskip(SKIP_1) | instid1(SALU_CYCLE_1)
	v_cmp_ge_i32_e32 vcc_lo, v114, v56
	s_or_b32 s13, s13, vcc_lo
	s_and_b32 s13, exec_lo, s13
	s_delay_alu instid0(SALU_CYCLE_1) | instskip(NEXT) | instid1(SALU_CYCLE_1)
	s_or_b32 s18, s13, s18
	s_and_not1_b32 exec_lo, exec_lo, s18
	s_cbranch_execz .LBB2_504
.LBB2_278:                              ;   Parent Loop BB2_47 Depth=1
                                        ;     Parent Loop BB2_275 Depth=2
                                        ; =>    This Loop Header: Depth=3
                                        ;         Child Loop BB2_286 Depth 4
                                        ;         Child Loop BB2_314 Depth 4
	;; [unrolled: 1-line block ×9, first 2 shown]
	s_and_saveexec_b32 s13, s0
	s_cbranch_execz .LBB2_280
; %bb.279:                              ;   in Loop: Header=BB2_278 Depth=3
	s_trap 2
	ds_load_b64 v[8:9], v0
	v_ashrrev_i32_e32 v115, 31, v114
	s_wait_dscnt 0x0
	v_lshl_add_u64 v[8:9], v[102:103], 1, v[8:9]
	s_delay_alu instid0(VALU_DEP_1) | instskip(NEXT) | instid1(VALU_DEP_1)
	v_lshl_add_u64 v[8:9], v[116:117], 1, v[8:9]
	v_lshl_add_u64 v[8:9], v[114:115], 1, v[8:9]
	ds_store_b64 v0, v[8:9]
	ds_store_b64 v0, v[38:39]
.LBB2_280:                              ;   in Loop: Header=BB2_278 Depth=3
	s_or_b32 exec_lo, exec_lo, s13
	v_sub_nc_u32_e32 v2, v56, v114
	v_and_b32_e32 v8, 12, v30
	s_mov_b32 s41, exec_lo
	s_delay_alu instid0(VALU_DEP_2) | instskip(NEXT) | instid1(VALU_DEP_2)
	v_min_i32_e32 v112, v112, v2
	v_cmpx_ne_u32_e32 0, v8
	s_cbranch_execz .LBB2_306
; %bb.281:                              ;   in Loop: Header=BB2_278 Depth=3
	v_and_b32_e32 v2, 8, v30
	v_add_nc_u64_e32 v[8:9], 2, v[98:99]
	s_mov_b32 s60, exec_lo
	s_wait_loadcnt_dscnt 0x1
	s_delay_alu instid0(VALU_DEP_2) | instskip(NEXT) | instid1(VALU_DEP_1)
	v_add_nc_u64_e32 v[10:11], v[34:35], v[2:3]
	v_cmpx_lt_u64_e64 v[10:11], v[8:9]
	s_cbranch_execz .LBB2_293
; %bb.282:                              ;   in Loop: Header=BB2_278 Depth=3
	v_and_b32_e32 v10, 64, v30
	s_mov_b32 s61, 0
	s_mov_b32 s73, 0
                                        ; implicit-def: $sgpr62
                                        ; implicit-def: $sgpr63
                                        ; implicit-def: $sgpr72
	s_delay_alu instid0(VALU_DEP_1)
	v_cmp_eq_u32_e32 vcc_lo, 0, v10
	s_branch .LBB2_286
.LBB2_283:                              ;   in Loop: Header=BB2_286 Depth=4
	s_wait_loadcnt_dscnt 0x0
	v_add_nc_u64_e32 v[12:13], v[34:35], v[2:3]
	s_or_b32 s76, s76, exec_lo
	s_delay_alu instid0(VALU_DEP_1)
	v_cmp_ge_u64_e64 s13, v[12:13], v[8:9]
	s_or_not1_b32 s75, s13, exec_lo
.LBB2_284:                              ;   in Loop: Header=BB2_286 Depth=4
	s_or_b32 exec_lo, exec_lo, s78
	s_delay_alu instid0(SALU_CYCLE_1)
	s_and_not1_b32 s13, s72, exec_lo
	s_and_b32 s72, s76, exec_lo
	s_and_not1_b32 s63, s63, exec_lo
	s_and_b32 s75, s75, exec_lo
	s_or_b32 s72, s13, s72
	s_or_b32 s63, s63, s75
.LBB2_285:                              ;   in Loop: Header=BB2_286 Depth=4
	s_or_b32 exec_lo, exec_lo, s74
	s_delay_alu instid0(SALU_CYCLE_1) | instskip(NEXT) | instid1(SALU_CYCLE_1)
	s_and_b32 s13, exec_lo, s63
	s_or_b32 s61, s13, s61
	s_and_not1_b32 s13, s62, exec_lo
	s_and_b32 s62, s72, exec_lo
	s_delay_alu instid0(SALU_CYCLE_1)
	s_or_b32 s62, s13, s62
	s_and_not1_b32 exec_lo, exec_lo, s61
	s_cbranch_execz .LBB2_290
.LBB2_286:                              ;   Parent Loop BB2_47 Depth=1
                                        ;     Parent Loop BB2_275 Depth=2
                                        ;       Parent Loop BB2_278 Depth=3
                                        ; =>      This Inner Loop Header: Depth=4
	s_sleep 1
	s_wait_loadcnt_dscnt 0x0
	flat_load_b64 v[34:35], v[22:23] scope:SCOPE_SYS
	s_or_b32 s72, s72, exec_lo
	s_or_b32 s63, s63, exec_lo
                                        ; implicit-def: $vgpr10
	s_wait_xcnt 0x0
	s_and_saveexec_b32 s74, vcc_lo
	s_cbranch_execz .LBB2_285
; %bb.287:                              ;   in Loop: Header=BB2_286 Depth=4
	s_cmp_lt_i32 s73, 0x270f
	s_mov_b32 s75, -1
	s_cselect_b32 s77, -1, 0
	s_cmp_gt_i32 s73, 0x270e
	s_cbranch_scc0 .LBB2_289
; %bb.288:                              ;   in Loop: Header=BB2_286 Depth=4
	s_trap 2
	ds_load_b64 v[10:11], v0
	s_and_not1_b32 s73, s77, exec_lo
	s_mov_b32 s76, 0
	s_wait_storecnt 0x0
	s_wait_loadcnt_dscnt 0x0
	flat_load_b32 v10, v[10:11] scope:SCOPE_SYS
	s_wait_loadcnt_dscnt 0x0
	global_inv scope:SCOPE_SYS
	v_cmp_eq_u32_e64 s13, 0, v10
	s_and_b32 s13, s13, exec_lo
	s_delay_alu instid0(SALU_CYCLE_1)
	s_or_b32 s77, s73, s13
	s_mov_b32 s73, 0
	s_and_saveexec_b32 s78, s77
	s_cbranch_execz .LBB2_284
	s_branch .LBB2_283
.LBB2_289:                              ;   in Loop: Header=BB2_286 Depth=4
	s_add_co_i32 s73, s73, 1
	s_mov_b32 s76, -1
                                        ; implicit-def: $vgpr10
	s_and_saveexec_b32 s78, s77
	s_cbranch_execz .LBB2_284
	s_branch .LBB2_283
.LBB2_290:                              ;   in Loop: Header=BB2_278 Depth=3
	s_or_b32 exec_lo, exec_lo, s61
	s_xor_b32 s13, s62, -1
	s_delay_alu instid0(SALU_CYCLE_1) | instskip(NEXT) | instid1(SALU_CYCLE_1)
	s_and_saveexec_b32 s61, s13
	s_xor_b32 s13, exec_lo, s61
	s_cbranch_execz .LBB2_292
; %bb.291:                              ;   in Loop: Header=BB2_278 Depth=3
	v_or_b32_e32 v30, 64, v30
	s_wait_storecnt 0x0
	s_wait_loadcnt_dscnt 0x0
	ds_store_b32 v0, v10
	s_trap 2
.LBB2_292:                              ;   in Loop: Header=BB2_278 Depth=3
	s_or_b32 exec_lo, exec_lo, s13
.LBB2_293:                              ;   in Loop: Header=BB2_278 Depth=3
	s_delay_alu instid0(SALU_CYCLE_1) | instskip(SKIP_2) | instid1(VALU_DEP_1)
	s_or_b32 exec_lo, exec_lo, s60
	v_and_b32_e32 v10, 0x108, v30
	;;#ASMSTART
	s_wakeup
	;;#ASMEND
	v_cmp_ne_u32_e32 vcc_lo, 0x108, v10
                                        ; implicit-def: $vgpr10_vgpr11
	s_and_saveexec_b32 s13, vcc_lo
	s_delay_alu instid0(SALU_CYCLE_1)
	s_xor_b32 s13, exec_lo, s13
; %bb.294:                              ;   in Loop: Header=BB2_278 Depth=3
	v_dual_mov_b32 v11, v3 :: v_dual_bitop2_b32 v10, 7, v98 bitop3:0x40
                                        ; implicit-def: $vgpr98_vgpr99
; %bb.295:                              ;   in Loop: Header=BB2_278 Depth=3
	s_and_not1_saveexec_b32 s13, s13
	s_cbranch_execz .LBB2_297
; %bb.296:                              ;   in Loop: Header=BB2_278 Depth=3
	v_dual_ashrrev_i32 v113, 31, v112 :: v_dual_bitop2_b32 v10, 7, v98 bitop3:0x40
	v_mov_b32_e32 v11, v3
	s_delay_alu instid0(VALU_DEP_2) | instskip(NEXT) | instid1(VALU_DEP_3)
	v_mad_nc_u64_u32 v[12:13], v10, 24, v[6:7]
	v_lshlrev_b64_e32 v[14:15], 1, v[112:113]
	flat_store_b64 v[12:13], v[14:15] offset:8
.LBB2_297:                              ;   in Loop: Header=BB2_278 Depth=3
	s_wait_xcnt 0x0
	s_or_b32 exec_lo, exec_lo, s13
	v_and_b32_e32 v12, 0x100, v30
	s_mov_b32 s13, -1
	s_delay_alu instid0(VALU_DEP_1)
	v_cmp_ne_u32_e32 vcc_lo, 0, v12
                                        ; implicit-def: $vgpr12_vgpr13
	s_and_saveexec_b32 s60, vcc_lo
	s_cbranch_execz .LBB2_301
; %bb.298:                              ;   in Loop: Header=BB2_278 Depth=3
	v_mad_nc_u64_u32 v[14:15], v10, 24, v[6:7]
	s_delay_alu instid0(VALU_DEP_1)
	v_mad_u32 v15, v11, 24, v15
	flat_load_b32 v12, v[14:15]
	s_wait_loadcnt_dscnt 0x0
	v_cmp_eq_u32_e64 s13, 1, v12
	v_cmp_ne_u32_e32 vcc_lo, 1, v12
                                        ; implicit-def: $vgpr12_vgpr13
	s_wait_xcnt 0x0
	s_and_saveexec_b32 s61, s13
	s_cbranch_execz .LBB2_300
; %bb.299:                              ;   in Loop: Header=BB2_278 Depth=3
	flat_load_b32 v12, v[14:15] offset:4 scope:SCOPE_SYS
	s_wait_loadcnt_dscnt 0x0
	v_ashrrev_i32_e32 v13, 31, v12
	s_delay_alu instid0(VALU_DEP_1)
	v_lshrrev_b64 v[12:13], 1, v[12:13]
.LBB2_300:                              ;   in Loop: Header=BB2_278 Depth=3
	s_wait_xcnt 0x0
	s_or_b32 exec_lo, exec_lo, s61
	s_delay_alu instid0(SALU_CYCLE_1)
	s_or_not1_b32 s13, vcc_lo, exec_lo
.LBB2_301:                              ;   in Loop: Header=BB2_278 Depth=3
	s_or_b32 exec_lo, exec_lo, s60
	s_and_saveexec_b32 s60, s13
; %bb.302:                              ;   in Loop: Header=BB2_278 Depth=3
	v_mul_u64_e32 v[12:13], v[10:11], v[24:25]
; %bb.303:                              ;   in Loop: Header=BB2_278 Depth=3
	s_or_b32 exec_lo, exec_lo, s60
	v_cmp_eq_u32_e32 vcc_lo, 0, v2
	v_and_b32_e32 v14, 0x2000, v30
	s_delay_alu instid0(VALU_DEP_3) | instskip(SKIP_2) | instid1(VALU_DEP_1)
	v_lshl_add_u64 v[10:11], v[12:13], 1, v[26:27]
	s_mov_b32 s13, exec_lo
	v_cndmask_b32_e32 v2, 0xc8, v62, vcc_lo
	v_add_nc_u32_e32 v2, v0, v2
	ds_store_b64 v2, v[10:11] offset:584
	v_cmpx_ne_u32_e32 0, v14
	s_cbranch_execz .LBB2_305
; %bb.304:                              ;   in Loop: Header=BB2_278 Depth=3
	ds_load_b64 v[10:11], v0 offset:872
	s_wait_dscnt 0x0
	v_add_nc_u64_e32 v[10:11], 1, v[10:11]
	ds_store_b64 v0, v[10:11] offset:872
.LBB2_305:                              ;   in Loop: Header=BB2_278 Depth=3
	s_or_b32 exec_lo, exec_lo, s13
	v_mov_b64_e32 v[98:99], v[8:9]
.LBB2_306:                              ;   in Loop: Header=BB2_278 Depth=3
	s_or_b32 exec_lo, exec_lo, s41
	s_and_saveexec_b32 s13, s2
	s_cbranch_execz .LBB2_325
; %bb.307:                              ;   in Loop: Header=BB2_278 Depth=3
	s_and_saveexec_b32 s41, s3
	s_delay_alu instid0(SALU_CYCLE_1)
	s_xor_b32 s41, exec_lo, s41
	s_cbranch_execz .LBB2_322
; %bb.308:                              ;   in Loop: Header=BB2_278 Depth=3
	s_and_saveexec_b32 s60, s6
	s_cbranch_execz .LBB2_321
; %bb.309:                              ;   in Loop: Header=BB2_278 Depth=3
	s_mov_b32 s62, exec_lo
	s_mov_b32 s61, exec_lo
	v_mbcnt_lo_u32_b32 v2, s62, 0
	global_wb scope:SCOPE_DEV
	s_wait_storecnt 0x0
	s_wait_loadcnt_dscnt 0x0
	global_inv scope:SCOPE_DEV
	v_cmpx_eq_u32_e32 0, v2
	s_cbranch_execz .LBB2_311
; %bb.310:                              ;   in Loop: Header=BB2_278 Depth=3
	s_bcnt1_i32_b32 s62, s62
	s_delay_alu instid0(SALU_CYCLE_1)
	v_mov_b32_e32 v2, s62
	s_wait_loadcnt 0x0
	ds_add_u64 v0, v[2:3]
	s_trap 2
.LBB2_311:                              ;   in Loop: Header=BB2_278 Depth=3
	s_or_b32 exec_lo, exec_lo, s61
	s_trap 2
	ds_load_b64 v[8:9], v0
	s_wait_dscnt 0x0
	v_add_nc_u64_e32 v[32:33], v[32:33], v[36:37]
	s_mov_b32 s61, exec_lo
	s_delay_alu instid0(VALU_DEP_1)
	v_cmpx_lt_u64_e64 v[8:9], v[32:33]
	s_cbranch_execz .LBB2_320
; %bb.312:                              ;   in Loop: Header=BB2_278 Depth=3
	s_mov_b32 s62, 0
	s_mov_b32 s73, 0
                                        ; implicit-def: $sgpr63
                                        ; implicit-def: $sgpr72
	s_branch .LBB2_314
.LBB2_313:                              ;   in Loop: Header=BB2_314 Depth=4
	s_or_b32 exec_lo, exec_lo, s75
	s_delay_alu instid0(SALU_CYCLE_1) | instskip(NEXT) | instid1(SALU_CYCLE_1)
	s_and_b32 s74, exec_lo, s76
	s_or_b32 s62, s74, s62
	s_and_not1_b32 s63, s63, exec_lo
	s_and_b32 s74, s72, exec_lo
	s_delay_alu instid0(SALU_CYCLE_1)
	s_or_b32 s63, s63, s74
	s_and_not1_b32 exec_lo, exec_lo, s62
	s_cbranch_execz .LBB2_318
.LBB2_314:                              ;   Parent Loop BB2_47 Depth=1
                                        ;     Parent Loop BB2_275 Depth=2
                                        ;       Parent Loop BB2_278 Depth=3
                                        ; =>      This Inner Loop Header: Depth=4
	s_add_co_i32 s73, s73, 1
	s_delay_alu instid0(SALU_CYCLE_1) | instskip(SKIP_1) | instid1(SALU_CYCLE_1)
	s_cmp_lg_u32 s73, 0x2710
	s_cselect_b32 s74, -1, 0
	s_and_b32 vcc_lo, exec_lo, s74
	s_cbranch_vccz .LBB2_316
; %bb.315:                              ;   in Loop: Header=BB2_314 Depth=4
	s_mov_b32 s76, -1
	s_or_b32 s72, s72, exec_lo
	s_and_saveexec_b32 s75, s74
	s_cbranch_execz .LBB2_313
	s_branch .LBB2_317
.LBB2_316:                              ;   in Loop: Header=BB2_314 Depth=4
	s_trap 2
	ds_load_b64 v[8:9], v0
	s_and_not1_b32 s74, s74, exec_lo
	s_mov_b32 s73, 0
	s_wait_loadcnt_dscnt 0x0
	flat_load_b32 v2, v[8:9] scope:SCOPE_SYS
	s_wait_loadcnt_dscnt 0x0
	global_inv scope:SCOPE_SYS
	v_cmp_eq_u32_e32 vcc_lo, 0, v2
	s_and_b32 s75, vcc_lo, exec_lo
	s_delay_alu instid0(SALU_CYCLE_1)
	s_or_b32 s74, s74, s75
	s_mov_b32 s76, -1
	s_or_b32 s72, s72, exec_lo
	s_and_saveexec_b32 s75, s74
	s_cbranch_execz .LBB2_313
.LBB2_317:                              ;   in Loop: Header=BB2_314 Depth=4
	s_sleep 1
	s_trap 2
	ds_load_b64 v[8:9], v0
	s_wait_dscnt 0x0
	s_and_not1_b32 s72, s72, exec_lo
	v_cmp_ge_u64_e32 vcc_lo, v[8:9], v[32:33]
	s_or_not1_b32 s76, vcc_lo, exec_lo
	s_branch .LBB2_313
.LBB2_318:                              ;   in Loop: Header=BB2_278 Depth=3
	s_or_b32 exec_lo, exec_lo, s62
	s_and_saveexec_b32 s62, s63
	s_delay_alu instid0(SALU_CYCLE_1)
	s_xor_b32 s62, exec_lo, s62
	s_cbranch_execz .LBB2_320
; %bb.319:                              ;   in Loop: Header=BB2_278 Depth=3
	ds_store_b32 v0, v61
	s_trap 2
.LBB2_320:                              ;   in Loop: Header=BB2_278 Depth=3
	s_or_b32 exec_lo, exec_lo, s61
	;;#ASMSTART
	s_wakeup
	;;#ASMEND
.LBB2_321:                              ;   in Loop: Header=BB2_278 Depth=3
	s_or_b32 exec_lo, exec_lo, s60
.LBB2_322:                              ;   in Loop: Header=BB2_278 Depth=3
	s_and_not1_saveexec_b32 s41, s41
	s_cbranch_execz .LBB2_324
; %bb.323:                              ;   in Loop: Header=BB2_278 Depth=3
	global_wb scope:SCOPE_DEV
	s_wait_storecnt 0x0
	s_wait_loadcnt_dscnt 0x0
	global_inv scope:SCOPE_DEV
	s_barrier_signal -1
	s_barrier_wait -1
.LBB2_324:                              ;   in Loop: Header=BB2_278 Depth=3
	s_or_b32 exec_lo, exec_lo, s41
.LBB2_325:                              ;   in Loop: Header=BB2_278 Depth=3
	s_delay_alu instid0(SALU_CYCLE_1) | instskip(SKIP_4) | instid1(VALU_DEP_1)
	s_or_b32 exec_lo, exec_lo, s13
	s_trap 2
	ds_load_b32 v8, v0
	v_and_b32_e32 v2, 0x4000, v30
	s_xor_b32 s13, s1, -1
	v_cmp_ne_u32_e32 vcc_lo, 0, v2
	s_and_b32 s41, s13, vcc_lo
	s_delay_alu instid0(SALU_CYCLE_1)
	s_and_saveexec_b32 s13, s41
	s_cbranch_execz .LBB2_344
; %bb.326:                              ;   in Loop: Header=BB2_278 Depth=3
	s_and_saveexec_b32 s41, s3
	s_delay_alu instid0(SALU_CYCLE_1)
	s_xor_b32 s41, exec_lo, s41
	s_cbranch_execz .LBB2_341
; %bb.327:                              ;   in Loop: Header=BB2_278 Depth=3
	s_and_saveexec_b32 s60, s6
	s_cbranch_execz .LBB2_340
; %bb.328:                              ;   in Loop: Header=BB2_278 Depth=3
	s_mov_b32 s62, exec_lo
	s_mov_b32 s61, exec_lo
	v_mbcnt_lo_u32_b32 v2, s62, 0
	global_wb scope:SCOPE_DEV
	s_wait_storecnt 0x0
	s_wait_loadcnt_dscnt 0x0
	global_inv scope:SCOPE_DEV
	v_cmpx_eq_u32_e32 0, v2
	s_cbranch_execz .LBB2_330
; %bb.329:                              ;   in Loop: Header=BB2_278 Depth=3
	s_bcnt1_i32_b32 s62, s62
	s_delay_alu instid0(SALU_CYCLE_1)
	v_mov_b32_e32 v2, s62
	s_wait_loadcnt 0x0
	ds_add_u64 v0, v[2:3]
	s_trap 2
.LBB2_330:                              ;   in Loop: Header=BB2_278 Depth=3
	s_or_b32 exec_lo, exec_lo, s61
	s_trap 2
	ds_load_b64 v[10:11], v0
	s_wait_dscnt 0x0
	v_add_nc_u64_e32 v[32:33], v[32:33], v[36:37]
	s_mov_b32 s61, exec_lo
	s_delay_alu instid0(VALU_DEP_1)
	v_cmpx_lt_u64_e64 v[10:11], v[32:33]
	s_cbranch_execz .LBB2_339
; %bb.331:                              ;   in Loop: Header=BB2_278 Depth=3
	s_mov_b32 s62, 0
	s_mov_b32 s73, 0
                                        ; implicit-def: $sgpr63
                                        ; implicit-def: $sgpr72
	s_branch .LBB2_333
.LBB2_332:                              ;   in Loop: Header=BB2_333 Depth=4
	s_or_b32 exec_lo, exec_lo, s75
	s_delay_alu instid0(SALU_CYCLE_1) | instskip(NEXT) | instid1(SALU_CYCLE_1)
	s_and_b32 s74, exec_lo, s76
	s_or_b32 s62, s74, s62
	s_and_not1_b32 s63, s63, exec_lo
	s_and_b32 s74, s72, exec_lo
	s_delay_alu instid0(SALU_CYCLE_1)
	s_or_b32 s63, s63, s74
	s_and_not1_b32 exec_lo, exec_lo, s62
	s_cbranch_execz .LBB2_337
.LBB2_333:                              ;   Parent Loop BB2_47 Depth=1
                                        ;     Parent Loop BB2_275 Depth=2
                                        ;       Parent Loop BB2_278 Depth=3
                                        ; =>      This Inner Loop Header: Depth=4
	s_add_co_i32 s73, s73, 1
	s_delay_alu instid0(SALU_CYCLE_1) | instskip(SKIP_1) | instid1(SALU_CYCLE_1)
	s_cmp_lg_u32 s73, 0x2710
	s_cselect_b32 s74, -1, 0
	s_and_b32 vcc_lo, exec_lo, s74
	s_cbranch_vccz .LBB2_335
; %bb.334:                              ;   in Loop: Header=BB2_333 Depth=4
	s_mov_b32 s76, -1
	s_or_b32 s72, s72, exec_lo
	s_and_saveexec_b32 s75, s74
	s_cbranch_execz .LBB2_332
	s_branch .LBB2_336
.LBB2_335:                              ;   in Loop: Header=BB2_333 Depth=4
	s_trap 2
	ds_load_b64 v[10:11], v0
	s_and_not1_b32 s74, s74, exec_lo
	s_mov_b32 s73, 0
	s_wait_loadcnt_dscnt 0x0
	flat_load_b32 v2, v[10:11] scope:SCOPE_SYS
	s_wait_loadcnt_dscnt 0x0
	global_inv scope:SCOPE_SYS
	v_cmp_eq_u32_e32 vcc_lo, 0, v2
	s_and_b32 s75, vcc_lo, exec_lo
	s_delay_alu instid0(SALU_CYCLE_1)
	s_or_b32 s74, s74, s75
	s_mov_b32 s76, -1
	s_or_b32 s72, s72, exec_lo
	s_and_saveexec_b32 s75, s74
	s_cbranch_execz .LBB2_332
.LBB2_336:                              ;   in Loop: Header=BB2_333 Depth=4
	s_sleep 1
	s_trap 2
	ds_load_b64 v[10:11], v0
	s_wait_dscnt 0x0
	s_and_not1_b32 s72, s72, exec_lo
	v_cmp_ge_u64_e32 vcc_lo, v[10:11], v[32:33]
	s_or_not1_b32 s76, vcc_lo, exec_lo
	s_branch .LBB2_332
.LBB2_337:                              ;   in Loop: Header=BB2_278 Depth=3
	s_or_b32 exec_lo, exec_lo, s62
	s_and_saveexec_b32 s62, s63
	s_delay_alu instid0(SALU_CYCLE_1)
	s_xor_b32 s62, exec_lo, s62
	s_cbranch_execz .LBB2_339
; %bb.338:                              ;   in Loop: Header=BB2_278 Depth=3
	ds_store_b32 v0, v61
	s_trap 2
.LBB2_339:                              ;   in Loop: Header=BB2_278 Depth=3
	s_or_b32 exec_lo, exec_lo, s61
	;;#ASMSTART
	s_wakeup
	;;#ASMEND
.LBB2_340:                              ;   in Loop: Header=BB2_278 Depth=3
	s_or_b32 exec_lo, exec_lo, s60
.LBB2_341:                              ;   in Loop: Header=BB2_278 Depth=3
	s_and_not1_saveexec_b32 s41, s41
	s_cbranch_execz .LBB2_343
; %bb.342:                              ;   in Loop: Header=BB2_278 Depth=3
	global_wb scope:SCOPE_DEV
	s_wait_storecnt 0x0
	s_wait_loadcnt_dscnt 0x0
	global_inv scope:SCOPE_DEV
	s_barrier_signal -1
	s_barrier_wait -1
.LBB2_343:                              ;   in Loop: Header=BB2_278 Depth=3
	s_or_b32 exec_lo, exec_lo, s41
.LBB2_344:                              ;   in Loop: Header=BB2_278 Depth=3
	s_delay_alu instid0(SALU_CYCLE_1)
	s_or_b32 exec_lo, exec_lo, s13
	s_trap 2
	ds_load_b64 v[118:119], v0
	s_wait_dscnt 0x0
	v_cmp_eq_u64_e32 vcc_lo, 0, v[118:119]
	s_cbranch_vccnz .LBB2_352
; %bb.345:                              ;   in Loop: Header=BB2_278 Depth=3
	s_trap 2
	ds_load_b64 v[40:41], v0
	s_wait_dscnt 0x0
	v_cmp_eq_u64_e32 vcc_lo, 0, v[40:41]
	s_cbranch_vccnz .LBB2_352
; %bb.346:                              ;   in Loop: Header=BB2_278 Depth=3
	s_mov_b32 s13, -1
	s_and_saveexec_b32 s41, s12
	s_cbranch_execz .LBB2_348
; %bb.347:                              ;   in Loop: Header=BB2_278 Depth=3
	ds_load_b32 v2, v0 offset:720
	s_wait_dscnt 0x0
	v_and_b32_e32 v2, 15, v2
	s_delay_alu instid0(VALU_DEP_1)
	v_cmp_eq_u32_e32 vcc_lo, 0, v2
	s_or_not1_b32 s13, vcc_lo, exec_lo
.LBB2_348:                              ;   in Loop: Header=BB2_278 Depth=3
	s_or_b32 exec_lo, exec_lo, s41
	s_and_saveexec_b32 s41, s11
	s_cbranch_execz .LBB2_350
; %bb.349:                              ;   in Loop: Header=BB2_278 Depth=3
	ds_load_b32 v2, v0 offset:784
	s_wait_dscnt 0x0
	v_and_b32_e32 v2, 15, v2
	s_delay_alu instid0(VALU_DEP_1) | instskip(SKIP_3) | instid1(SALU_CYCLE_1)
	v_cmp_eq_u32_e32 vcc_lo, 0, v2
	s_and_b32 s60, s13, vcc_lo
	s_and_not1_b32 s13, s13, exec_lo
	s_and_b32 s60, s60, exec_lo
	s_or_b32 s13, s13, s60
.LBB2_350:                              ;   in Loop: Header=BB2_278 Depth=3
	s_or_b32 exec_lo, exec_lo, s41
	v_cmp_eq_u32_e32 vcc_lo, 0, v8
	s_xor_b32 s13, s13, -1
	s_mov_b32 s60, -1
	v_cndmask_b32_e64 v9, 0, 1, s13
	v_dual_mov_b32 v14, 0 :: v_dual_cndmask_b32 v2, 0, v112, vcc_lo
	s_delay_alu instid0(VALU_DEP_2) | instskip(NEXT) | instid1(VALU_DEP_2)
	v_cmp_ne_u32_e32 vcc_lo, 0, v9
	v_lshlrev_b32_e32 v113, 1, v2
	s_cbranch_vccz .LBB2_353
; %bb.351:                              ;   in Loop: Header=BB2_278 Depth=3
	v_dual_mov_b32 v15, v0 :: v_dual_mov_b32 v8, v72
	s_and_saveexec_b32 s13, s60
	s_cbranch_execnz .LBB2_430
	s_branch .LBB2_458
.LBB2_352:                              ;   in Loop: Header=BB2_278 Depth=3
	s_mov_b32 s13, 0
	s_and_saveexec_b32 s41, s2
	s_cbranch_execnz .LBB2_459
	s_branch .LBB2_477
.LBB2_353:                              ;   in Loop: Header=BB2_278 Depth=3
	s_delay_alu instid0(VALU_DEP_1) | instskip(SKIP_1) | instid1(VALU_DEP_1)
	v_dual_ashrrev_i32 v8, 31, v113 :: v_dual_sub_nc_u32 v115, v113, v48
	s_mov_b32 s41, exec_lo
	v_lshrrev_b32_e32 v8, 23, v8
	s_delay_alu instid0(VALU_DEP_1) | instskip(NEXT) | instid1(VALU_DEP_1)
	v_add_nc_u32_e32 v8, v113, v8
	v_and_b32_e32 v57, 0xfffffe00, v8
	s_delay_alu instid0(VALU_DEP_1) | instskip(NEXT) | instid1(VALU_DEP_1)
	v_dual_ashrrev_i32 v8, 9, v8 :: v_dual_sub_nc_u32 v58, v113, v57
	v_cmp_lt_i32_e32 vcc_lo, 15, v58
	s_delay_alu instid0(VALU_DEP_2)
	v_add_co_ci_u32_e64 v59, null, v8, v74, vcc_lo
	v_cmpx_lt_i32_e32 15, v115
	s_cbranch_execz .LBB2_389
; %bb.354:                              ;   in Loop: Header=BB2_278 Depth=3
	s_trap 2
	ds_load_b64 v[8:9], v0
	v_add_nc_u64_e32 v[42:43], v[118:119], v[48:49]
	v_add_nc_u64_e32 v[46:47], v[40:41], v[48:49]
	s_mov_b32 s60, 0
	s_wait_dscnt 0x0
	v_add_nc_u64_e32 v[44:45], v[8:9], v[48:49]
	s_branch .LBB2_356
.LBB2_355:                              ;   in Loop: Header=BB2_356 Depth=4
	s_or_b32 exec_lo, exec_lo, s61
	v_dual_lshrrev_b32 v12, 16, v12 :: v_dual_lshrrev_b32 v15, 16, v75
	v_dual_lshrrev_b32 v13, 16, v13 :: v_dual_lshrrev_b32 v14, 16, v14
	v_sub_nc_u32_e32 v115, v115, v64
	s_delay_alu instid0(VALU_DEP_3) | instskip(NEXT) | instid1(VALU_DEP_4)
	v_and_or_b32 v9, 0xffff0000, v9, v12
	v_and_or_b32 v8, 0xffff0000, v8, v15
	s_delay_alu instid0(VALU_DEP_4)
	v_and_or_b32 v10, 0xffff0000, v10, v13
	v_and_or_b32 v11, 0xffff0000, v11, v14
	v_add_nc_u64_e32 v[42:43], v[42:43], v[64:65]
	v_add_nc_u64_e32 v[44:45], v[44:45], v[64:65]
	v_cmp_gt_i32_e64 s13, 16, v115
	v_sub_nc_u32_e32 v59, v59, v36
	global_store_b128 v[46:47], v[8:11], off th:TH_STORE_NT
	s_wait_xcnt 0x0
	v_add_nc_u64_e32 v[46:47], v[46:47], v[64:65]
	s_or_b32 s60, s13, s60
	s_delay_alu instid0(SALU_CYCLE_1)
	s_and_not1_b32 exec_lo, exec_lo, s60
	s_cbranch_execz .LBB2_388
.LBB2_356:                              ;   Parent Loop BB2_47 Depth=1
                                        ;     Parent Loop BB2_275 Depth=2
                                        ;       Parent Loop BB2_278 Depth=3
                                        ; =>      This Inner Loop Header: Depth=4
	global_load_b128 v[8:11], v[44:45], off th:TH_LOAD_NT
	global_load_b128 v[12:15], v[42:43], off th:TH_LOAD_NT
	s_wait_loadcnt 0x1
	v_lshlrev_b32_e32 v75, 16, v8
	s_wait_loadcnt 0x0
	v_lshlrev_b32_e32 v76, 16, v12
	s_delay_alu instid0(VALU_DEP_1) | instskip(NEXT) | instid1(VALU_DEP_1)
	v_mul_f32_e32 v76, v76, v75
	v_and_b32_e32 v75, 0x7f800000, v76
	s_delay_alu instid0(VALU_DEP_1) | instskip(SKIP_2) | instid1(SALU_CYCLE_1)
	v_cmp_ne_u32_e64 s13, 0x7f800000, v75
                                        ; implicit-def: $vgpr75
	s_wait_xcnt 0x0
	s_and_saveexec_b32 s61, s13
	s_xor_b32 s13, exec_lo, s61
; %bb.357:                              ;   in Loop: Header=BB2_356 Depth=4
	v_bfe_u32 v75, v76, 16, 1
	s_delay_alu instid0(VALU_DEP_1)
	v_add3_u32 v75, v76, v75, 0x7fff
                                        ; implicit-def: $vgpr76
; %bb.358:                              ;   in Loop: Header=BB2_356 Depth=4
	s_and_not1_saveexec_b32 s61, s13
; %bb.359:                              ;   in Loop: Header=BB2_356 Depth=4
	v_and_b32_e32 v75, 0xffff, v76
	v_or_b32_e32 v77, 0x10000, v76
	s_delay_alu instid0(VALU_DEP_2) | instskip(NEXT) | instid1(VALU_DEP_1)
	v_cmp_eq_u32_e64 s13, 0, v75
	v_cndmask_b32_e64 v75, v77, v76, s13
; %bb.360:                              ;   in Loop: Header=BB2_356 Depth=4
	s_or_b32 exec_lo, exec_lo, s61
	v_and_b32_e32 v8, 0xffff0000, v8
	v_and_b32_e32 v12, 0xffff0000, v12
	s_delay_alu instid0(VALU_DEP_1) | instskip(NEXT) | instid1(VALU_DEP_1)
	v_mul_f32_e32 v12, v12, v8
	v_and_b32_e32 v8, 0x7f800000, v12
	s_delay_alu instid0(VALU_DEP_1) | instskip(SKIP_1) | instid1(SALU_CYCLE_1)
	v_cmp_ne_u32_e64 s13, 0x7f800000, v8
                                        ; implicit-def: $vgpr8
	s_and_saveexec_b32 s61, s13
	s_xor_b32 s13, exec_lo, s61
; %bb.361:                              ;   in Loop: Header=BB2_356 Depth=4
	v_bfe_u32 v8, v12, 16, 1
	s_delay_alu instid0(VALU_DEP_1)
	v_add3_u32 v8, v12, v8, 0x7fff
                                        ; implicit-def: $vgpr12
; %bb.362:                              ;   in Loop: Header=BB2_356 Depth=4
	s_and_not1_saveexec_b32 s61, s13
; %bb.363:                              ;   in Loop: Header=BB2_356 Depth=4
	v_and_b32_e32 v8, 0xffff, v12
	v_or_b32_e32 v76, 0x10000, v12
	s_delay_alu instid0(VALU_DEP_2) | instskip(NEXT) | instid1(VALU_DEP_1)
	v_cmp_eq_u32_e64 s13, 0, v8
	v_cndmask_b32_e64 v8, v76, v12, s13
; %bb.364:                              ;   in Loop: Header=BB2_356 Depth=4
	s_or_b32 exec_lo, exec_lo, s61
	v_lshlrev_b32_e32 v12, 16, v9
	v_lshlrev_b32_e32 v76, 16, v13
	s_delay_alu instid0(VALU_DEP_1) | instskip(NEXT) | instid1(VALU_DEP_1)
	v_mul_f32_e32 v76, v76, v12
	v_and_b32_e32 v12, 0x7f800000, v76
	s_delay_alu instid0(VALU_DEP_1) | instskip(SKIP_1) | instid1(SALU_CYCLE_1)
	v_cmp_ne_u32_e64 s13, 0x7f800000, v12
                                        ; implicit-def: $vgpr12
	s_and_saveexec_b32 s61, s13
	s_xor_b32 s13, exec_lo, s61
; %bb.365:                              ;   in Loop: Header=BB2_356 Depth=4
	v_bfe_u32 v12, v76, 16, 1
	s_delay_alu instid0(VALU_DEP_1)
	v_add3_u32 v12, v76, v12, 0x7fff
                                        ; implicit-def: $vgpr76
; %bb.366:                              ;   in Loop: Header=BB2_356 Depth=4
	s_and_not1_saveexec_b32 s61, s13
; %bb.367:                              ;   in Loop: Header=BB2_356 Depth=4
	v_and_b32_e32 v12, 0xffff, v76
	v_or_b32_e32 v77, 0x10000, v76
	s_delay_alu instid0(VALU_DEP_2) | instskip(NEXT) | instid1(VALU_DEP_1)
	v_cmp_eq_u32_e64 s13, 0, v12
	v_cndmask_b32_e64 v12, v77, v76, s13
; %bb.368:                              ;   in Loop: Header=BB2_356 Depth=4
	s_or_b32 exec_lo, exec_lo, s61
	v_and_b32_e32 v13, 0xffff0000, v13
	v_and_b32_e32 v9, 0xffff0000, v9
	s_delay_alu instid0(VALU_DEP_1) | instskip(NEXT) | instid1(VALU_DEP_1)
	v_mul_f32_e32 v13, v13, v9
	v_and_b32_e32 v9, 0x7f800000, v13
	s_delay_alu instid0(VALU_DEP_1) | instskip(SKIP_1) | instid1(SALU_CYCLE_1)
	v_cmp_ne_u32_e64 s13, 0x7f800000, v9
                                        ; implicit-def: $vgpr9
	s_and_saveexec_b32 s61, s13
	s_xor_b32 s13, exec_lo, s61
; %bb.369:                              ;   in Loop: Header=BB2_356 Depth=4
	v_bfe_u32 v9, v13, 16, 1
	s_delay_alu instid0(VALU_DEP_1)
	v_add3_u32 v9, v13, v9, 0x7fff
                                        ; implicit-def: $vgpr13
; %bb.370:                              ;   in Loop: Header=BB2_356 Depth=4
	s_and_not1_saveexec_b32 s61, s13
; %bb.371:                              ;   in Loop: Header=BB2_356 Depth=4
	v_and_b32_e32 v9, 0xffff, v13
	v_or_b32_e32 v76, 0x10000, v13
	s_delay_alu instid0(VALU_DEP_2) | instskip(NEXT) | instid1(VALU_DEP_1)
	v_cmp_eq_u32_e64 s13, 0, v9
	v_cndmask_b32_e64 v9, v76, v13, s13
; %bb.372:                              ;   in Loop: Header=BB2_356 Depth=4
	s_or_b32 exec_lo, exec_lo, s61
	v_lshlrev_b32_e32 v13, 16, v10
	v_lshlrev_b32_e32 v76, 16, v14
	s_delay_alu instid0(VALU_DEP_1) | instskip(NEXT) | instid1(VALU_DEP_1)
	v_mul_f32_e32 v76, v76, v13
	v_and_b32_e32 v13, 0x7f800000, v76
	s_delay_alu instid0(VALU_DEP_1) | instskip(SKIP_1) | instid1(SALU_CYCLE_1)
	v_cmp_ne_u32_e64 s13, 0x7f800000, v13
                                        ; implicit-def: $vgpr13
	s_and_saveexec_b32 s61, s13
	s_xor_b32 s13, exec_lo, s61
; %bb.373:                              ;   in Loop: Header=BB2_356 Depth=4
	v_bfe_u32 v13, v76, 16, 1
	s_delay_alu instid0(VALU_DEP_1)
	v_add3_u32 v13, v76, v13, 0x7fff
                                        ; implicit-def: $vgpr76
; %bb.374:                              ;   in Loop: Header=BB2_356 Depth=4
	s_and_not1_saveexec_b32 s61, s13
; %bb.375:                              ;   in Loop: Header=BB2_356 Depth=4
	v_and_b32_e32 v13, 0xffff, v76
	v_or_b32_e32 v77, 0x10000, v76
	s_delay_alu instid0(VALU_DEP_2) | instskip(NEXT) | instid1(VALU_DEP_1)
	v_cmp_eq_u32_e64 s13, 0, v13
	v_cndmask_b32_e64 v13, v77, v76, s13
; %bb.376:                              ;   in Loop: Header=BB2_356 Depth=4
	s_or_b32 exec_lo, exec_lo, s61
	v_and_b32_e32 v14, 0xffff0000, v14
	v_and_b32_e32 v10, 0xffff0000, v10
	s_delay_alu instid0(VALU_DEP_1) | instskip(NEXT) | instid1(VALU_DEP_1)
	v_mul_f32_e32 v14, v14, v10
	v_and_b32_e32 v10, 0x7f800000, v14
	s_delay_alu instid0(VALU_DEP_1) | instskip(SKIP_1) | instid1(SALU_CYCLE_1)
	v_cmp_ne_u32_e64 s13, 0x7f800000, v10
                                        ; implicit-def: $vgpr10
	s_and_saveexec_b32 s61, s13
	s_xor_b32 s13, exec_lo, s61
; %bb.377:                              ;   in Loop: Header=BB2_356 Depth=4
	v_bfe_u32 v10, v14, 16, 1
	s_delay_alu instid0(VALU_DEP_1)
	v_add3_u32 v10, v14, v10, 0x7fff
                                        ; implicit-def: $vgpr14
; %bb.378:                              ;   in Loop: Header=BB2_356 Depth=4
	s_and_not1_saveexec_b32 s61, s13
; %bb.379:                              ;   in Loop: Header=BB2_356 Depth=4
	v_and_b32_e32 v10, 0xffff, v14
	v_or_b32_e32 v76, 0x10000, v14
	s_delay_alu instid0(VALU_DEP_2) | instskip(NEXT) | instid1(VALU_DEP_1)
	v_cmp_eq_u32_e64 s13, 0, v10
	v_cndmask_b32_e64 v10, v76, v14, s13
; %bb.380:                              ;   in Loop: Header=BB2_356 Depth=4
	s_or_b32 exec_lo, exec_lo, s61
	v_lshlrev_b32_e32 v14, 16, v11
	v_lshlrev_b32_e32 v76, 16, v15
	s_delay_alu instid0(VALU_DEP_1) | instskip(NEXT) | instid1(VALU_DEP_1)
	v_mul_f32_e32 v76, v76, v14
	v_and_b32_e32 v14, 0x7f800000, v76
	s_delay_alu instid0(VALU_DEP_1) | instskip(SKIP_1) | instid1(SALU_CYCLE_1)
	v_cmp_ne_u32_e64 s13, 0x7f800000, v14
                                        ; implicit-def: $vgpr14
	s_and_saveexec_b32 s61, s13
	s_xor_b32 s13, exec_lo, s61
; %bb.381:                              ;   in Loop: Header=BB2_356 Depth=4
	v_bfe_u32 v14, v76, 16, 1
	s_delay_alu instid0(VALU_DEP_1)
	v_add3_u32 v14, v76, v14, 0x7fff
                                        ; implicit-def: $vgpr76
; %bb.382:                              ;   in Loop: Header=BB2_356 Depth=4
	s_and_not1_saveexec_b32 s61, s13
; %bb.383:                              ;   in Loop: Header=BB2_356 Depth=4
	v_and_b32_e32 v14, 0xffff, v76
	v_or_b32_e32 v77, 0x10000, v76
	s_delay_alu instid0(VALU_DEP_2) | instskip(NEXT) | instid1(VALU_DEP_1)
	v_cmp_eq_u32_e64 s13, 0, v14
	v_cndmask_b32_e64 v14, v77, v76, s13
; %bb.384:                              ;   in Loop: Header=BB2_356 Depth=4
	s_or_b32 exec_lo, exec_lo, s61
	v_and_b32_e32 v15, 0xffff0000, v15
	v_and_b32_e32 v11, 0xffff0000, v11
	s_delay_alu instid0(VALU_DEP_1) | instskip(NEXT) | instid1(VALU_DEP_1)
	v_mul_f32_e32 v15, v15, v11
	v_and_b32_e32 v11, 0x7f800000, v15
	s_delay_alu instid0(VALU_DEP_1) | instskip(SKIP_1) | instid1(SALU_CYCLE_1)
	v_cmp_ne_u32_e64 s13, 0x7f800000, v11
                                        ; implicit-def: $vgpr11
	s_and_saveexec_b32 s61, s13
	s_xor_b32 s13, exec_lo, s61
; %bb.385:                              ;   in Loop: Header=BB2_356 Depth=4
	v_bfe_u32 v11, v15, 16, 1
	s_delay_alu instid0(VALU_DEP_1)
	v_add3_u32 v11, v15, v11, 0x7fff
                                        ; implicit-def: $vgpr15
; %bb.386:                              ;   in Loop: Header=BB2_356 Depth=4
	s_and_not1_saveexec_b32 s61, s13
	s_cbranch_execz .LBB2_355
; %bb.387:                              ;   in Loop: Header=BB2_356 Depth=4
	v_and_b32_e32 v11, 0xffff, v15
	v_or_b32_e32 v76, 0x10000, v15
	s_delay_alu instid0(VALU_DEP_2) | instskip(NEXT) | instid1(VALU_DEP_1)
	v_cmp_eq_u32_e64 s13, 0, v11
	v_cndmask_b32_e64 v11, v76, v15, s13
	s_branch .LBB2_355
.LBB2_388:                              ;   in Loop: Header=BB2_278 Depth=3
	s_or_b32 exec_lo, exec_lo, s60
.LBB2_389:                              ;   in Loop: Header=BB2_278 Depth=3
	s_delay_alu instid0(SALU_CYCLE_1) | instskip(SKIP_3) | instid1(VALU_DEP_1)
	s_or_b32 exec_lo, exec_lo, s41
	v_dual_mov_b32 v14, 0 :: v_dual_bitop2_b32 v9, 14, v113 bitop3:0x40
	s_mov_b32 s60, 0
	s_mov_b32 s41, exec_lo
                                        ; implicit-def: $vgpr113
                                        ; implicit-def: $vgpr15
                                        ; implicit-def: $vgpr8
	v_cndmask_b32_e32 v115, v58, v9, vcc_lo
	s_delay_alu instid0(VALU_DEP_1)
	v_cmpx_ne_u32_e32 0, v115
	s_cbranch_execz .LBB2_429
; %bb.390:                              ;   in Loop: Header=BB2_278 Depth=3
	v_cmp_lt_i32_e64 s13, 0, v59
	s_mov_b32 s60, exec_lo
	v_dual_ashrrev_i32 v11, 31, v115 :: v_dual_sub_nc_u32 v9, v58, v9
	s_delay_alu instid0(VALU_DEP_1) | instskip(NEXT) | instid1(VALU_DEP_1)
	v_dual_cndmask_b32 v8, 0, v36, s13 :: v_dual_lshrrev_b32 v11, 23, v11
	v_dual_cndmask_b32 v9, 0, v9 :: v_dual_sub_nc_u32 v8, v8, v59
	s_delay_alu instid0(VALU_DEP_1) | instskip(NEXT) | instid1(VALU_DEP_1)
	v_lshl_add_u32 v8, v8, 5, v73
	v_ashrrev_i32_e32 v10, 31, v8
	s_delay_alu instid0(VALU_DEP_1) | instskip(NEXT) | instid1(VALU_DEP_1)
	v_lshrrev_b32_e32 v10, 27, v10
	v_add_nc_u32_e32 v10, v8, v10
	s_delay_alu instid0(VALU_DEP_1) | instskip(SKIP_1) | instid1(VALU_DEP_2)
	v_and_b32_e32 v12, 0xffffffe0, v10
	v_dual_add_nc_u32 v11, v115, v11 :: v_dual_ashrrev_i32 v10, 5, v10
	v_sub_nc_u32_e32 v75, v8, v12
	s_delay_alu instid0(VALU_DEP_2) | instskip(NEXT) | instid1(VALU_DEP_2)
	v_and_b32_e32 v59, 0xfffffe00, v11
	v_lshlrev_b32_e32 v8, 4, v75
	s_delay_alu instid0(VALU_DEP_2) | instskip(NEXT) | instid1(VALU_DEP_2)
	v_sub_nc_u32_e32 v58, v115, v59
	v_lshl_add_u32 v8, v10, 9, v8
	v_ashrrev_i32_e32 v11, 9, v11
	s_delay_alu instid0(VALU_DEP_3) | instskip(NEXT) | instid1(VALU_DEP_3)
	v_cmp_lt_i32_e32 vcc_lo, 15, v58
	v_sub_nc_u32_e32 v113, v115, v8
	s_delay_alu instid0(VALU_DEP_3) | instskip(NEXT) | instid1(VALU_DEP_1)
	v_add_co_ci_u32_e64 v11, null, 0, v11, vcc_lo
	v_dual_add_nc_u32 v57, v9, v57 :: v_dual_sub_nc_u32 v76, v11, v10
	s_delay_alu instid0(VALU_DEP_3)
	v_cmpx_lt_i32_e32 15, v113
	s_cbranch_execz .LBB2_426
; %bb.391:                              ;   in Loop: Header=BB2_278 Depth=3
	s_trap 2
	ds_load_b64 v[10:11], v0
	v_add_nc_u32_e32 v8, v8, v57
	s_mov_b32 s61, 0
	s_delay_alu instid0(VALU_DEP_1) | instskip(NEXT) | instid1(VALU_DEP_1)
	v_ashrrev_i32_e32 v9, 31, v8
	v_add_nc_u64_e32 v[42:43], v[8:9], v[118:119]
	v_add_nc_u64_e32 v[46:47], v[8:9], v[40:41]
	s_wait_dscnt 0x0
	v_add_nc_u64_e32 v[44:45], v[10:11], v[8:9]
	s_branch .LBB2_393
.LBB2_392:                              ;   in Loop: Header=BB2_393 Depth=4
	s_or_b32 exec_lo, exec_lo, s62
	v_dual_lshrrev_b32 v12, 16, v12 :: v_dual_lshrrev_b32 v15, 16, v77
	v_dual_lshrrev_b32 v13, 16, v13 :: v_dual_lshrrev_b32 v14, 16, v14
	v_sub_nc_u32_e32 v113, v113, v64
	s_delay_alu instid0(VALU_DEP_3) | instskip(NEXT) | instid1(VALU_DEP_4)
	v_and_or_b32 v9, 0xffff0000, v9, v12
	v_and_or_b32 v8, 0xffff0000, v8, v15
	s_delay_alu instid0(VALU_DEP_4)
	v_and_or_b32 v10, 0xffff0000, v10, v13
	v_and_or_b32 v11, 0xffff0000, v11, v14
	v_add_nc_u64_e32 v[42:43], v[42:43], v[64:65]
	v_add_nc_u64_e32 v[44:45], v[44:45], v[64:65]
	v_cmp_gt_i32_e64 s13, 16, v113
	v_sub_nc_u32_e32 v76, v76, v36
	global_store_b128 v[46:47], v[8:11], off th:TH_STORE_NT
	s_wait_xcnt 0x0
	v_add_nc_u64_e32 v[46:47], v[46:47], v[64:65]
	s_or_b32 s61, s13, s61
	s_delay_alu instid0(SALU_CYCLE_1)
	s_and_not1_b32 exec_lo, exec_lo, s61
	s_cbranch_execz .LBB2_425
.LBB2_393:                              ;   Parent Loop BB2_47 Depth=1
                                        ;     Parent Loop BB2_275 Depth=2
                                        ;       Parent Loop BB2_278 Depth=3
                                        ; =>      This Inner Loop Header: Depth=4
	global_load_b128 v[8:11], v[44:45], off th:TH_LOAD_NT
	global_load_b128 v[12:15], v[42:43], off th:TH_LOAD_NT
	s_wait_loadcnt 0x1
	v_lshlrev_b32_e32 v77, 16, v8
	s_wait_loadcnt 0x0
	v_lshlrev_b32_e32 v78, 16, v12
	s_delay_alu instid0(VALU_DEP_1) | instskip(NEXT) | instid1(VALU_DEP_1)
	v_mul_f32_e32 v78, v78, v77
	v_and_b32_e32 v77, 0x7f800000, v78
	s_delay_alu instid0(VALU_DEP_1) | instskip(SKIP_2) | instid1(SALU_CYCLE_1)
	v_cmp_ne_u32_e64 s13, 0x7f800000, v77
                                        ; implicit-def: $vgpr77
	s_wait_xcnt 0x0
	s_and_saveexec_b32 s62, s13
	s_xor_b32 s13, exec_lo, s62
; %bb.394:                              ;   in Loop: Header=BB2_393 Depth=4
	v_bfe_u32 v77, v78, 16, 1
	s_delay_alu instid0(VALU_DEP_1)
	v_add3_u32 v77, v78, v77, 0x7fff
                                        ; implicit-def: $vgpr78
; %bb.395:                              ;   in Loop: Header=BB2_393 Depth=4
	s_and_not1_saveexec_b32 s62, s13
; %bb.396:                              ;   in Loop: Header=BB2_393 Depth=4
	v_and_b32_e32 v77, 0xffff, v78
	v_or_b32_e32 v79, 0x10000, v78
	s_delay_alu instid0(VALU_DEP_2) | instskip(NEXT) | instid1(VALU_DEP_1)
	v_cmp_eq_u32_e64 s13, 0, v77
	v_cndmask_b32_e64 v77, v79, v78, s13
; %bb.397:                              ;   in Loop: Header=BB2_393 Depth=4
	s_or_b32 exec_lo, exec_lo, s62
	v_and_b32_e32 v8, 0xffff0000, v8
	v_and_b32_e32 v12, 0xffff0000, v12
	s_delay_alu instid0(VALU_DEP_1) | instskip(NEXT) | instid1(VALU_DEP_1)
	v_mul_f32_e32 v12, v12, v8
	v_and_b32_e32 v8, 0x7f800000, v12
	s_delay_alu instid0(VALU_DEP_1) | instskip(SKIP_1) | instid1(SALU_CYCLE_1)
	v_cmp_ne_u32_e64 s13, 0x7f800000, v8
                                        ; implicit-def: $vgpr8
	s_and_saveexec_b32 s62, s13
	s_xor_b32 s13, exec_lo, s62
; %bb.398:                              ;   in Loop: Header=BB2_393 Depth=4
	v_bfe_u32 v8, v12, 16, 1
	s_delay_alu instid0(VALU_DEP_1)
	v_add3_u32 v8, v12, v8, 0x7fff
                                        ; implicit-def: $vgpr12
; %bb.399:                              ;   in Loop: Header=BB2_393 Depth=4
	s_and_not1_saveexec_b32 s62, s13
; %bb.400:                              ;   in Loop: Header=BB2_393 Depth=4
	v_and_b32_e32 v8, 0xffff, v12
	v_or_b32_e32 v78, 0x10000, v12
	s_delay_alu instid0(VALU_DEP_2) | instskip(NEXT) | instid1(VALU_DEP_1)
	v_cmp_eq_u32_e64 s13, 0, v8
	v_cndmask_b32_e64 v8, v78, v12, s13
; %bb.401:                              ;   in Loop: Header=BB2_393 Depth=4
	s_or_b32 exec_lo, exec_lo, s62
	v_lshlrev_b32_e32 v12, 16, v9
	v_lshlrev_b32_e32 v78, 16, v13
	s_delay_alu instid0(VALU_DEP_1) | instskip(NEXT) | instid1(VALU_DEP_1)
	v_mul_f32_e32 v78, v78, v12
	v_and_b32_e32 v12, 0x7f800000, v78
	s_delay_alu instid0(VALU_DEP_1) | instskip(SKIP_1) | instid1(SALU_CYCLE_1)
	v_cmp_ne_u32_e64 s13, 0x7f800000, v12
                                        ; implicit-def: $vgpr12
	s_and_saveexec_b32 s62, s13
	s_xor_b32 s13, exec_lo, s62
; %bb.402:                              ;   in Loop: Header=BB2_393 Depth=4
	v_bfe_u32 v12, v78, 16, 1
	s_delay_alu instid0(VALU_DEP_1)
	v_add3_u32 v12, v78, v12, 0x7fff
                                        ; implicit-def: $vgpr78
; %bb.403:                              ;   in Loop: Header=BB2_393 Depth=4
	s_and_not1_saveexec_b32 s62, s13
; %bb.404:                              ;   in Loop: Header=BB2_393 Depth=4
	v_and_b32_e32 v12, 0xffff, v78
	v_or_b32_e32 v79, 0x10000, v78
	s_delay_alu instid0(VALU_DEP_2) | instskip(NEXT) | instid1(VALU_DEP_1)
	v_cmp_eq_u32_e64 s13, 0, v12
	v_cndmask_b32_e64 v12, v79, v78, s13
; %bb.405:                              ;   in Loop: Header=BB2_393 Depth=4
	s_or_b32 exec_lo, exec_lo, s62
	v_and_b32_e32 v13, 0xffff0000, v13
	v_and_b32_e32 v9, 0xffff0000, v9
	s_delay_alu instid0(VALU_DEP_1) | instskip(NEXT) | instid1(VALU_DEP_1)
	v_mul_f32_e32 v13, v13, v9
	v_and_b32_e32 v9, 0x7f800000, v13
	s_delay_alu instid0(VALU_DEP_1) | instskip(SKIP_1) | instid1(SALU_CYCLE_1)
	v_cmp_ne_u32_e64 s13, 0x7f800000, v9
                                        ; implicit-def: $vgpr9
	s_and_saveexec_b32 s62, s13
	s_xor_b32 s13, exec_lo, s62
; %bb.406:                              ;   in Loop: Header=BB2_393 Depth=4
	v_bfe_u32 v9, v13, 16, 1
	s_delay_alu instid0(VALU_DEP_1)
	v_add3_u32 v9, v13, v9, 0x7fff
                                        ; implicit-def: $vgpr13
; %bb.407:                              ;   in Loop: Header=BB2_393 Depth=4
	s_and_not1_saveexec_b32 s62, s13
; %bb.408:                              ;   in Loop: Header=BB2_393 Depth=4
	v_and_b32_e32 v9, 0xffff, v13
	v_or_b32_e32 v78, 0x10000, v13
	s_delay_alu instid0(VALU_DEP_2) | instskip(NEXT) | instid1(VALU_DEP_1)
	v_cmp_eq_u32_e64 s13, 0, v9
	v_cndmask_b32_e64 v9, v78, v13, s13
; %bb.409:                              ;   in Loop: Header=BB2_393 Depth=4
	s_or_b32 exec_lo, exec_lo, s62
	v_lshlrev_b32_e32 v13, 16, v10
	v_lshlrev_b32_e32 v78, 16, v14
	s_delay_alu instid0(VALU_DEP_1) | instskip(NEXT) | instid1(VALU_DEP_1)
	v_mul_f32_e32 v78, v78, v13
	v_and_b32_e32 v13, 0x7f800000, v78
	s_delay_alu instid0(VALU_DEP_1) | instskip(SKIP_1) | instid1(SALU_CYCLE_1)
	v_cmp_ne_u32_e64 s13, 0x7f800000, v13
                                        ; implicit-def: $vgpr13
	s_and_saveexec_b32 s62, s13
	s_xor_b32 s13, exec_lo, s62
; %bb.410:                              ;   in Loop: Header=BB2_393 Depth=4
	v_bfe_u32 v13, v78, 16, 1
	s_delay_alu instid0(VALU_DEP_1)
	v_add3_u32 v13, v78, v13, 0x7fff
                                        ; implicit-def: $vgpr78
; %bb.411:                              ;   in Loop: Header=BB2_393 Depth=4
	s_and_not1_saveexec_b32 s62, s13
; %bb.412:                              ;   in Loop: Header=BB2_393 Depth=4
	v_and_b32_e32 v13, 0xffff, v78
	v_or_b32_e32 v79, 0x10000, v78
	s_delay_alu instid0(VALU_DEP_2) | instskip(NEXT) | instid1(VALU_DEP_1)
	v_cmp_eq_u32_e64 s13, 0, v13
	v_cndmask_b32_e64 v13, v79, v78, s13
; %bb.413:                              ;   in Loop: Header=BB2_393 Depth=4
	s_or_b32 exec_lo, exec_lo, s62
	v_and_b32_e32 v14, 0xffff0000, v14
	v_and_b32_e32 v10, 0xffff0000, v10
	s_delay_alu instid0(VALU_DEP_1) | instskip(NEXT) | instid1(VALU_DEP_1)
	v_mul_f32_e32 v14, v14, v10
	v_and_b32_e32 v10, 0x7f800000, v14
	s_delay_alu instid0(VALU_DEP_1) | instskip(SKIP_1) | instid1(SALU_CYCLE_1)
	v_cmp_ne_u32_e64 s13, 0x7f800000, v10
                                        ; implicit-def: $vgpr10
	s_and_saveexec_b32 s62, s13
	s_xor_b32 s13, exec_lo, s62
; %bb.414:                              ;   in Loop: Header=BB2_393 Depth=4
	v_bfe_u32 v10, v14, 16, 1
	s_delay_alu instid0(VALU_DEP_1)
	v_add3_u32 v10, v14, v10, 0x7fff
                                        ; implicit-def: $vgpr14
; %bb.415:                              ;   in Loop: Header=BB2_393 Depth=4
	s_and_not1_saveexec_b32 s62, s13
; %bb.416:                              ;   in Loop: Header=BB2_393 Depth=4
	v_and_b32_e32 v10, 0xffff, v14
	v_or_b32_e32 v78, 0x10000, v14
	s_delay_alu instid0(VALU_DEP_2) | instskip(NEXT) | instid1(VALU_DEP_1)
	v_cmp_eq_u32_e64 s13, 0, v10
	v_cndmask_b32_e64 v10, v78, v14, s13
; %bb.417:                              ;   in Loop: Header=BB2_393 Depth=4
	s_or_b32 exec_lo, exec_lo, s62
	v_lshlrev_b32_e32 v14, 16, v11
	v_lshlrev_b32_e32 v78, 16, v15
	s_delay_alu instid0(VALU_DEP_1) | instskip(NEXT) | instid1(VALU_DEP_1)
	v_mul_f32_e32 v78, v78, v14
	v_and_b32_e32 v14, 0x7f800000, v78
	s_delay_alu instid0(VALU_DEP_1) | instskip(SKIP_1) | instid1(SALU_CYCLE_1)
	v_cmp_ne_u32_e64 s13, 0x7f800000, v14
                                        ; implicit-def: $vgpr14
	s_and_saveexec_b32 s62, s13
	s_xor_b32 s13, exec_lo, s62
; %bb.418:                              ;   in Loop: Header=BB2_393 Depth=4
	v_bfe_u32 v14, v78, 16, 1
	s_delay_alu instid0(VALU_DEP_1)
	v_add3_u32 v14, v78, v14, 0x7fff
                                        ; implicit-def: $vgpr78
; %bb.419:                              ;   in Loop: Header=BB2_393 Depth=4
	s_and_not1_saveexec_b32 s62, s13
; %bb.420:                              ;   in Loop: Header=BB2_393 Depth=4
	v_and_b32_e32 v14, 0xffff, v78
	v_or_b32_e32 v79, 0x10000, v78
	s_delay_alu instid0(VALU_DEP_2) | instskip(NEXT) | instid1(VALU_DEP_1)
	v_cmp_eq_u32_e64 s13, 0, v14
	v_cndmask_b32_e64 v14, v79, v78, s13
; %bb.421:                              ;   in Loop: Header=BB2_393 Depth=4
	s_or_b32 exec_lo, exec_lo, s62
	v_and_b32_e32 v15, 0xffff0000, v15
	v_and_b32_e32 v11, 0xffff0000, v11
	s_delay_alu instid0(VALU_DEP_1) | instskip(NEXT) | instid1(VALU_DEP_1)
	v_mul_f32_e32 v15, v15, v11
	v_and_b32_e32 v11, 0x7f800000, v15
	s_delay_alu instid0(VALU_DEP_1) | instskip(SKIP_1) | instid1(SALU_CYCLE_1)
	v_cmp_ne_u32_e64 s13, 0x7f800000, v11
                                        ; implicit-def: $vgpr11
	s_and_saveexec_b32 s62, s13
	s_xor_b32 s13, exec_lo, s62
; %bb.422:                              ;   in Loop: Header=BB2_393 Depth=4
	v_bfe_u32 v11, v15, 16, 1
	s_delay_alu instid0(VALU_DEP_1)
	v_add3_u32 v11, v15, v11, 0x7fff
                                        ; implicit-def: $vgpr15
; %bb.423:                              ;   in Loop: Header=BB2_393 Depth=4
	s_and_not1_saveexec_b32 s62, s13
	s_cbranch_execz .LBB2_392
; %bb.424:                              ;   in Loop: Header=BB2_393 Depth=4
	v_and_b32_e32 v11, 0xffff, v15
	v_or_b32_e32 v78, 0x10000, v15
	s_delay_alu instid0(VALU_DEP_2) | instskip(NEXT) | instid1(VALU_DEP_1)
	v_cmp_eq_u32_e64 s13, 0, v11
	v_cndmask_b32_e64 v11, v78, v15, s13
	s_branch .LBB2_392
.LBB2_425:                              ;   in Loop: Header=BB2_278 Depth=3
	s_or_b32 exec_lo, exec_lo, s61
.LBB2_426:                              ;   in Loop: Header=BB2_278 Depth=3
	s_delay_alu instid0(SALU_CYCLE_1) | instskip(SKIP_3) | instid1(VALU_DEP_1)
	s_or_b32 exec_lo, exec_lo, s60
	v_dual_mov_b32 v14, 0 :: v_dual_bitop2_b32 v9, 14, v115 bitop3:0x40
	s_mov_b32 s60, 0
	s_mov_b32 s61, exec_lo
                                        ; implicit-def: $vgpr15
                                        ; implicit-def: $vgpr8
	v_cndmask_b32_e32 v113, v58, v9, vcc_lo
	s_delay_alu instid0(VALU_DEP_1)
	v_cmpx_ne_u32_e32 0, v113
	s_cbranch_execz .LBB2_428
; %bb.427:                              ;   in Loop: Header=BB2_278 Depth=3
	v_cmp_lt_i32_e64 s13, 0, v76
	s_mov_b32 s60, exec_lo
	v_dual_sub_nc_u32 v9, v58, v9 :: v_dual_cndmask_b32 v8, 0, v36, s13
	s_delay_alu instid0(VALU_DEP_1) | instskip(NEXT) | instid1(VALU_DEP_1)
	v_dual_cndmask_b32 v9, 0, v9 :: v_dual_sub_nc_u32 v8, v8, v76
	v_add3_u32 v14, v59, v57, v9
	s_delay_alu instid0(VALU_DEP_2) | instskip(NEXT) | instid1(VALU_DEP_1)
	v_lshl_add_u32 v15, v8, 5, v75
	v_ashrrev_i32_e32 v8, 31, v15
	s_delay_alu instid0(VALU_DEP_1) | instskip(NEXT) | instid1(VALU_DEP_1)
	v_lshrrev_b32_e32 v8, 27, v8
	v_add_nc_u32_e32 v8, v15, v8
	s_delay_alu instid0(VALU_DEP_1)
	v_ashrrev_i32_e32 v8, 5, v8
.LBB2_428:                              ;   in Loop: Header=BB2_278 Depth=3
	s_or_b32 exec_lo, exec_lo, s61
	s_delay_alu instid0(SALU_CYCLE_1)
	s_and_b32 s60, s60, exec_lo
.LBB2_429:                              ;   in Loop: Header=BB2_278 Depth=3
	s_or_b32 exec_lo, exec_lo, s41
	s_and_saveexec_b32 s13, s60
	s_cbranch_execz .LBB2_458
.LBB2_430:                              ;   in Loop: Header=BB2_278 Depth=3
	v_ashrrev_i32_e32 v9, 31, v113
	s_mov_b32 s41, exec_lo
	s_delay_alu instid0(VALU_DEP_1) | instskip(NEXT) | instid1(VALU_DEP_1)
	v_lshrrev_b32_e32 v9, 24, v9
	v_add_nc_u32_e32 v9, v113, v9
	s_delay_alu instid0(VALU_DEP_1) | instskip(NEXT) | instid1(VALU_DEP_1)
	v_dual_ashrrev_i32 v43, 8, v9 :: v_dual_ashrrev_i32 v9, 31, v15
	v_dual_sub_nc_u32 v115, v43, v8 :: v_dual_lshrrev_b32 v42, 27, v9
	s_delay_alu instid0(VALU_DEP_1)
	v_cmpx_lt_i32_e32 0, v115
	s_cbranch_execz .LBB2_450
; %bb.431:                              ;   in Loop: Header=BB2_278 Depth=3
	s_delay_alu instid0(VALU_DEP_2) | instskip(SKIP_4) | instid1(VALU_DEP_1)
	v_dual_add_nc_u32 v9, v15, v42 :: v_dual_lshlrev_b32 v8, 8, v8
	s_trap 2
	ds_load_b64 v[10:11], v0
	s_mov_b32 s60, 0
	v_and_b32_e32 v9, 0x7fffffe0, v9
	v_sub_nc_u32_e32 v9, v15, v9
	s_delay_alu instid0(VALU_DEP_1) | instskip(NEXT) | instid1(VALU_DEP_1)
	v_lshlrev_b32_e32 v9, 1, v9
	v_add3_u32 v12, v9, v14, v8
	s_delay_alu instid0(VALU_DEP_1) | instskip(NEXT) | instid1(VALU_DEP_1)
	v_ashrrev_i32_e32 v13, 31, v12
	v_add_nc_u64_e32 v[8:9], v[12:13], v[118:119]
	s_wait_dscnt 0x0
	v_add_nc_u64_e32 v[10:11], v[10:11], v[12:13]
	v_add_nc_u64_e32 v[12:13], v[12:13], v[40:41]
	s_branch .LBB2_433
.LBB2_432:                              ;   in Loop: Header=BB2_433 Depth=4
	s_or_b32 exec_lo, exec_lo, s61
	v_sub_nc_u32_e32 v115, v115, v36
	s_clause 0x3
	flat_store_d16_hi_b16 v[12:13], v44 th:TH_STORE_NT
	flat_store_d16_hi_b16 v[12:13], v47 offset:64 th:TH_STORE_NT
	flat_store_d16_hi_b16 v[12:13], v57 offset:128 th:TH_STORE_NT
	;; [unrolled: 1-line block ×3, first 2 shown]
	v_add_nc_u64_e32 v[8:9], v[8:9], v[66:67]
	v_add_nc_u64_e32 v[10:11], v[10:11], v[66:67]
	s_wait_xcnt 0x0
	v_add_nc_u64_e32 v[12:13], v[12:13], v[66:67]
	v_cmp_gt_i32_e32 vcc_lo, 1, v115
	s_or_b32 s60, vcc_lo, s60
	s_delay_alu instid0(SALU_CYCLE_1)
	s_and_not1_b32 exec_lo, exec_lo, s60
	s_cbranch_execz .LBB2_449
.LBB2_433:                              ;   Parent Loop BB2_47 Depth=1
                                        ;     Parent Loop BB2_275 Depth=2
                                        ;       Parent Loop BB2_278 Depth=3
                                        ; =>      This Inner Loop Header: Depth=4
	s_clause 0x2
	flat_load_u16 v57, v[8:9] offset:128 th:TH_LOAD_NT
	flat_load_u16 v45, v[8:9] offset:192 th:TH_LOAD_NT
	flat_load_u16 v44, v[8:9] th:TH_LOAD_NT
	s_clause 0x2
	flat_load_u16 v58, v[10:11] offset:128 th:TH_LOAD_NT
	flat_load_u16 v46, v[10:11] offset:192 th:TH_LOAD_NT
	flat_load_u16 v75, v[10:11] th:TH_LOAD_NT
	flat_load_u16 v47, v[8:9] offset:64 th:TH_LOAD_NT
	flat_load_u16 v59, v[10:11] offset:64 th:TH_LOAD_NT
	s_wait_loadcnt_dscnt 0x202
	v_dual_lshlrev_b32 v44, 16, v44 :: v_dual_lshlrev_b32 v75, 16, v75
	s_delay_alu instid0(VALU_DEP_1) | instskip(NEXT) | instid1(VALU_DEP_1)
	v_mul_f32_e32 v75, v75, v44
	v_and_b32_e32 v44, 0x7f800000, v75
	s_delay_alu instid0(VALU_DEP_1) | instskip(SKIP_2) | instid1(SALU_CYCLE_1)
	v_cmp_ne_u32_e32 vcc_lo, 0x7f800000, v44
                                        ; implicit-def: $vgpr44
	s_wait_xcnt 0x0
	s_and_saveexec_b32 s61, vcc_lo
	s_xor_b32 s61, exec_lo, s61
; %bb.434:                              ;   in Loop: Header=BB2_433 Depth=4
	v_bfe_u32 v44, v75, 16, 1
	s_delay_alu instid0(VALU_DEP_1)
	v_add3_u32 v44, v75, v44, 0x7fff
                                        ; implicit-def: $vgpr75
; %bb.435:                              ;   in Loop: Header=BB2_433 Depth=4
	s_and_not1_saveexec_b32 s61, s61
; %bb.436:                              ;   in Loop: Header=BB2_433 Depth=4
	v_and_b32_e32 v44, 0xffff, v75
	v_or_b32_e32 v76, 0x10000, v75
	s_delay_alu instid0(VALU_DEP_2) | instskip(NEXT) | instid1(VALU_DEP_2)
	v_cmp_eq_u32_e32 vcc_lo, 0, v44
	v_cndmask_b32_e32 v44, v76, v75, vcc_lo
; %bb.437:                              ;   in Loop: Header=BB2_433 Depth=4
	s_or_b32 exec_lo, exec_lo, s61
	s_wait_loadcnt_dscnt 0x101
	v_lshlrev_b32_e32 v47, 16, v47
	s_wait_loadcnt_dscnt 0x0
	v_lshlrev_b32_e32 v59, 16, v59
	s_delay_alu instid0(VALU_DEP_1) | instskip(NEXT) | instid1(VALU_DEP_1)
	v_mul_f32_e32 v59, v59, v47
	v_and_b32_e32 v47, 0x7f800000, v59
	s_delay_alu instid0(VALU_DEP_1) | instskip(SKIP_1) | instid1(SALU_CYCLE_1)
	v_cmp_ne_u32_e32 vcc_lo, 0x7f800000, v47
                                        ; implicit-def: $vgpr47
	s_and_saveexec_b32 s61, vcc_lo
	s_xor_b32 s61, exec_lo, s61
; %bb.438:                              ;   in Loop: Header=BB2_433 Depth=4
	v_bfe_u32 v47, v59, 16, 1
	s_delay_alu instid0(VALU_DEP_1)
	v_add3_u32 v47, v59, v47, 0x7fff
                                        ; implicit-def: $vgpr59
; %bb.439:                              ;   in Loop: Header=BB2_433 Depth=4
	s_and_not1_saveexec_b32 s61, s61
; %bb.440:                              ;   in Loop: Header=BB2_433 Depth=4
	v_and_b32_e32 v47, 0xffff, v59
	v_or_b32_e32 v75, 0x10000, v59
	s_delay_alu instid0(VALU_DEP_2) | instskip(NEXT) | instid1(VALU_DEP_2)
	v_cmp_eq_u32_e32 vcc_lo, 0, v47
	v_cndmask_b32_e32 v47, v75, v59, vcc_lo
; %bb.441:                              ;   in Loop: Header=BB2_433 Depth=4
	s_or_b32 exec_lo, exec_lo, s61
	v_dual_lshlrev_b32 v57, 16, v57 :: v_dual_lshlrev_b32 v58, 16, v58
	s_delay_alu instid0(VALU_DEP_1) | instskip(NEXT) | instid1(VALU_DEP_1)
	v_mul_f32_e32 v58, v58, v57
	v_and_b32_e32 v57, 0x7f800000, v58
	s_delay_alu instid0(VALU_DEP_1) | instskip(SKIP_1) | instid1(SALU_CYCLE_1)
	v_cmp_ne_u32_e32 vcc_lo, 0x7f800000, v57
                                        ; implicit-def: $vgpr57
	s_and_saveexec_b32 s61, vcc_lo
	s_xor_b32 s61, exec_lo, s61
; %bb.442:                              ;   in Loop: Header=BB2_433 Depth=4
	v_bfe_u32 v57, v58, 16, 1
	s_delay_alu instid0(VALU_DEP_1)
	v_add3_u32 v57, v58, v57, 0x7fff
                                        ; implicit-def: $vgpr58
; %bb.443:                              ;   in Loop: Header=BB2_433 Depth=4
	s_and_not1_saveexec_b32 s61, s61
; %bb.444:                              ;   in Loop: Header=BB2_433 Depth=4
	v_and_b32_e32 v57, 0xffff, v58
	v_or_b32_e32 v59, 0x10000, v58
	s_delay_alu instid0(VALU_DEP_2) | instskip(NEXT) | instid1(VALU_DEP_2)
	v_cmp_eq_u32_e32 vcc_lo, 0, v57
	v_cndmask_b32_e32 v57, v59, v58, vcc_lo
; %bb.445:                              ;   in Loop: Header=BB2_433 Depth=4
	s_or_b32 exec_lo, exec_lo, s61
	v_dual_lshlrev_b32 v45, 16, v45 :: v_dual_lshlrev_b32 v46, 16, v46
	s_delay_alu instid0(VALU_DEP_1) | instskip(NEXT) | instid1(VALU_DEP_1)
	v_mul_f32_e32 v46, v46, v45
	v_and_b32_e32 v45, 0x7f800000, v46
	s_delay_alu instid0(VALU_DEP_1) | instskip(SKIP_1) | instid1(SALU_CYCLE_1)
	v_cmp_ne_u32_e32 vcc_lo, 0x7f800000, v45
                                        ; implicit-def: $vgpr45
	s_and_saveexec_b32 s61, vcc_lo
	s_xor_b32 s61, exec_lo, s61
; %bb.446:                              ;   in Loop: Header=BB2_433 Depth=4
	v_bfe_u32 v45, v46, 16, 1
	s_delay_alu instid0(VALU_DEP_1)
	v_add3_u32 v45, v46, v45, 0x7fff
                                        ; implicit-def: $vgpr46
; %bb.447:                              ;   in Loop: Header=BB2_433 Depth=4
	s_and_not1_saveexec_b32 s61, s61
	s_cbranch_execz .LBB2_432
; %bb.448:                              ;   in Loop: Header=BB2_433 Depth=4
	v_and_b32_e32 v45, 0xffff, v46
	v_or_b32_e32 v58, 0x10000, v46
	s_delay_alu instid0(VALU_DEP_2) | instskip(NEXT) | instid1(VALU_DEP_2)
	v_cmp_eq_u32_e32 vcc_lo, 0, v45
	v_cndmask_b32_e32 v45, v58, v46, vcc_lo
	s_branch .LBB2_432
.LBB2_449:                              ;   in Loop: Header=BB2_278 Depth=3
	s_or_b32 exec_lo, exec_lo, s60
.LBB2_450:                              ;   in Loop: Header=BB2_278 Depth=3
	s_delay_alu instid0(SALU_CYCLE_1) | instskip(SKIP_1) | instid1(VALU_DEP_1)
	s_or_b32 exec_lo, exec_lo, s41
	v_lshlrev_b32_e32 v8, 8, v43
	v_cmp_ne_u32_e32 vcc_lo, v113, v8
	s_and_b32 exec_lo, exec_lo, vcc_lo
	s_cbranch_execz .LBB2_458
; %bb.451:                              ;   in Loop: Header=BB2_278 Depth=3
	v_dual_add_nc_u32 v9, v15, v42 :: v_dual_lshlrev_b32 v10, 5, v115
	s_delay_alu instid0(VALU_DEP_1) | instskip(NEXT) | instid1(VALU_DEP_1)
	v_and_b32_e32 v9, 0xffffffe0, v9
	v_sub_nc_u32_e32 v9, v15, v9
	s_delay_alu instid0(VALU_DEP_1) | instskip(NEXT) | instid1(VALU_DEP_1)
	v_sub_nc_u32_e32 v9, v9, v10
	v_ashrrev_i32_e32 v10, 31, v9
	s_delay_alu instid0(VALU_DEP_1) | instskip(NEXT) | instid1(VALU_DEP_1)
	v_lshrrev_b32_e32 v10, 27, v10
	v_add_nc_u32_e32 v10, v9, v10
	s_delay_alu instid0(VALU_DEP_1) | instskip(NEXT) | instid1(VALU_DEP_1)
	v_and_b32_e32 v11, 0x7fffffe0, v10
	v_dual_lshlrev_b32 v10, 1, v10 :: v_dual_sub_nc_u32 v9, v9, v11
	s_delay_alu instid0(VALU_DEP_1) | instskip(NEXT) | instid1(VALU_DEP_2)
	v_and_b32_e32 v10, 0xffffffc0, v10
	v_lshlrev_b32_e32 v9, 1, v9
	s_delay_alu instid0(VALU_DEP_1) | instskip(NEXT) | instid1(VALU_DEP_1)
	v_add3_u32 v8, v10, v9, v8
	v_sub_nc_u32_e32 v15, v113, v8
	s_delay_alu instid0(VALU_DEP_1)
	v_cmp_lt_i32_e32 vcc_lo, 1, v15
	s_and_b32 exec_lo, exec_lo, vcc_lo
	s_cbranch_execz .LBB2_458
; %bb.452:                              ;   in Loop: Header=BB2_278 Depth=3
	s_trap 2
	ds_load_b64 v[10:11], v0
	v_add_nc_u32_e32 v12, v8, v14
	s_mov_b32 s41, 0
	s_delay_alu instid0(VALU_DEP_1) | instskip(NEXT) | instid1(VALU_DEP_1)
	v_ashrrev_i32_e32 v13, 31, v12
	v_add_nc_u64_e32 v[8:9], v[12:13], v[118:119]
	s_wait_dscnt 0x0
	v_add_nc_u64_e32 v[10:11], v[10:11], v[12:13]
	v_add_nc_u64_e32 v[12:13], v[12:13], v[40:41]
	s_branch .LBB2_454
.LBB2_453:                              ;   in Loop: Header=BB2_454 Depth=4
	s_or_b32 exec_lo, exec_lo, s60
	v_sub_nc_u32_e32 v15, v15, v68
	flat_store_d16_hi_b16 v[12:13], v14 th:TH_STORE_NT
	v_add_nc_u64_e32 v[8:9], v[8:9], v[68:69]
	v_add_nc_u64_e32 v[10:11], v[10:11], v[68:69]
	s_wait_xcnt 0x0
	v_add_nc_u64_e32 v[12:13], v[12:13], v[68:69]
	v_cmp_gt_i32_e32 vcc_lo, 2, v15
	s_or_b32 s41, vcc_lo, s41
	s_delay_alu instid0(SALU_CYCLE_1)
	s_and_not1_b32 exec_lo, exec_lo, s41
	s_cbranch_execz .LBB2_458
.LBB2_454:                              ;   Parent Loop BB2_47 Depth=1
                                        ;     Parent Loop BB2_275 Depth=2
                                        ;       Parent Loop BB2_278 Depth=3
                                        ; =>      This Inner Loop Header: Depth=4
	flat_load_u16 v14, v[8:9] th:TH_LOAD_NT
	flat_load_u16 v113, v[10:11] th:TH_LOAD_NT
	s_wait_loadcnt_dscnt 0x0
	v_dual_lshlrev_b32 v14, 16, v14 :: v_dual_lshlrev_b32 v113, 16, v113
	s_delay_alu instid0(VALU_DEP_1) | instskip(NEXT) | instid1(VALU_DEP_1)
	v_mul_f32_e32 v113, v113, v14
	v_and_b32_e32 v14, 0x7f800000, v113
	s_delay_alu instid0(VALU_DEP_1) | instskip(SKIP_2) | instid1(SALU_CYCLE_1)
	v_cmp_ne_u32_e32 vcc_lo, 0x7f800000, v14
                                        ; implicit-def: $vgpr14
	s_wait_xcnt 0x0
	s_and_saveexec_b32 s60, vcc_lo
	s_xor_b32 s60, exec_lo, s60
; %bb.455:                              ;   in Loop: Header=BB2_454 Depth=4
	v_bfe_u32 v14, v113, 16, 1
	s_delay_alu instid0(VALU_DEP_1)
	v_add3_u32 v14, v113, v14, 0x7fff
                                        ; implicit-def: $vgpr113
; %bb.456:                              ;   in Loop: Header=BB2_454 Depth=4
	s_and_not1_saveexec_b32 s60, s60
	s_cbranch_execz .LBB2_453
; %bb.457:                              ;   in Loop: Header=BB2_454 Depth=4
	v_and_b32_e32 v14, 0xffff, v113
	v_or_b32_e32 v115, 0x10000, v113
	s_delay_alu instid0(VALU_DEP_2) | instskip(NEXT) | instid1(VALU_DEP_2)
	v_cmp_eq_u32_e32 vcc_lo, 0, v14
	v_cndmask_b32_e32 v14, v115, v113, vcc_lo
	s_branch .LBB2_453
.LBB2_458:                              ;   in Loop: Header=BB2_278 Depth=3
	s_or_b32 exec_lo, exec_lo, s13
	v_cmp_lt_i32_e64 s13, 0, v2
	s_and_saveexec_b32 s41, s2
	s_cbranch_execz .LBB2_477
.LBB2_459:                              ;   in Loop: Header=BB2_278 Depth=3
	s_and_saveexec_b32 s60, s3
	s_delay_alu instid0(SALU_CYCLE_1)
	s_xor_b32 s60, exec_lo, s60
	s_cbranch_execz .LBB2_474
; %bb.460:                              ;   in Loop: Header=BB2_278 Depth=3
	s_and_saveexec_b32 s61, s6
	s_cbranch_execz .LBB2_473
; %bb.461:                              ;   in Loop: Header=BB2_278 Depth=3
	s_mov_b32 s63, exec_lo
	s_mov_b32 s62, exec_lo
	v_mbcnt_lo_u32_b32 v2, s63, 0
	global_wb scope:SCOPE_DEV
	s_wait_storecnt 0x0
	s_wait_loadcnt_dscnt 0x0
	global_inv scope:SCOPE_DEV
	v_cmpx_eq_u32_e32 0, v2
	s_cbranch_execz .LBB2_463
; %bb.462:                              ;   in Loop: Header=BB2_278 Depth=3
	s_bcnt1_i32_b32 s63, s63
	s_delay_alu instid0(SALU_CYCLE_1)
	v_mov_b32_e32 v2, s63
	s_wait_loadcnt 0x0
	ds_add_u64 v0, v[2:3]
	s_trap 2
.LBB2_463:                              ;   in Loop: Header=BB2_278 Depth=3
	s_or_b32 exec_lo, exec_lo, s62
	s_trap 2
	ds_load_b64 v[8:9], v0
	s_wait_dscnt 0x0
	v_add_nc_u64_e32 v[32:33], v[32:33], v[36:37]
	s_mov_b32 s62, exec_lo
	s_delay_alu instid0(VALU_DEP_1)
	v_cmpx_lt_u64_e64 v[8:9], v[32:33]
	s_cbranch_execz .LBB2_472
; %bb.464:                              ;   in Loop: Header=BB2_278 Depth=3
	s_mov_b32 s63, 0
	s_mov_b32 s74, 0
                                        ; implicit-def: $sgpr72
                                        ; implicit-def: $sgpr73
	s_branch .LBB2_466
.LBB2_465:                              ;   in Loop: Header=BB2_466 Depth=4
	s_or_b32 exec_lo, exec_lo, s76
	s_delay_alu instid0(SALU_CYCLE_1) | instskip(NEXT) | instid1(SALU_CYCLE_1)
	s_and_b32 s75, exec_lo, s77
	s_or_b32 s63, s75, s63
	s_and_not1_b32 s72, s72, exec_lo
	s_and_b32 s75, s73, exec_lo
	s_delay_alu instid0(SALU_CYCLE_1)
	s_or_b32 s72, s72, s75
	s_and_not1_b32 exec_lo, exec_lo, s63
	s_cbranch_execz .LBB2_470
.LBB2_466:                              ;   Parent Loop BB2_47 Depth=1
                                        ;     Parent Loop BB2_275 Depth=2
                                        ;       Parent Loop BB2_278 Depth=3
                                        ; =>      This Inner Loop Header: Depth=4
	s_add_co_i32 s74, s74, 1
	s_delay_alu instid0(SALU_CYCLE_1) | instskip(SKIP_1) | instid1(SALU_CYCLE_1)
	s_cmp_lg_u32 s74, 0x2710
	s_cselect_b32 s75, -1, 0
	s_and_b32 vcc_lo, exec_lo, s75
	s_cbranch_vccz .LBB2_468
; %bb.467:                              ;   in Loop: Header=BB2_466 Depth=4
	s_mov_b32 s77, -1
	s_or_b32 s73, s73, exec_lo
	s_and_saveexec_b32 s76, s75
	s_cbranch_execz .LBB2_465
	s_branch .LBB2_469
.LBB2_468:                              ;   in Loop: Header=BB2_466 Depth=4
	s_trap 2
	ds_load_b64 v[8:9], v0
	s_and_not1_b32 s75, s75, exec_lo
	s_mov_b32 s74, 0
	s_wait_loadcnt_dscnt 0x0
	flat_load_b32 v2, v[8:9] scope:SCOPE_SYS
	s_wait_loadcnt_dscnt 0x0
	global_inv scope:SCOPE_SYS
	v_cmp_eq_u32_e32 vcc_lo, 0, v2
	s_and_b32 s76, vcc_lo, exec_lo
	s_delay_alu instid0(SALU_CYCLE_1)
	s_or_b32 s75, s75, s76
	s_mov_b32 s77, -1
	s_or_b32 s73, s73, exec_lo
	s_and_saveexec_b32 s76, s75
	s_cbranch_execz .LBB2_465
.LBB2_469:                              ;   in Loop: Header=BB2_466 Depth=4
	s_sleep 1
	s_trap 2
	ds_load_b64 v[8:9], v0
	s_wait_dscnt 0x0
	s_and_not1_b32 s73, s73, exec_lo
	v_cmp_ge_u64_e32 vcc_lo, v[8:9], v[32:33]
	s_or_not1_b32 s77, vcc_lo, exec_lo
	s_branch .LBB2_465
.LBB2_470:                              ;   in Loop: Header=BB2_278 Depth=3
	s_or_b32 exec_lo, exec_lo, s63
	s_and_saveexec_b32 s63, s72
	s_delay_alu instid0(SALU_CYCLE_1)
	s_xor_b32 s63, exec_lo, s63
	s_cbranch_execz .LBB2_472
; %bb.471:                              ;   in Loop: Header=BB2_278 Depth=3
	ds_store_b32 v0, v61
	s_trap 2
.LBB2_472:                              ;   in Loop: Header=BB2_278 Depth=3
	s_or_b32 exec_lo, exec_lo, s62
	;;#ASMSTART
	s_wakeup
	;;#ASMEND
.LBB2_473:                              ;   in Loop: Header=BB2_278 Depth=3
	s_or_b32 exec_lo, exec_lo, s61
.LBB2_474:                              ;   in Loop: Header=BB2_278 Depth=3
	s_and_not1_saveexec_b32 s60, s60
	s_cbranch_execz .LBB2_476
; %bb.475:                              ;   in Loop: Header=BB2_278 Depth=3
	global_wb scope:SCOPE_DEV
	s_wait_storecnt 0x0
	s_wait_loadcnt_dscnt 0x0
	global_inv scope:SCOPE_DEV
	s_barrier_signal -1
	s_barrier_wait -1
.LBB2_476:                              ;   in Loop: Header=BB2_278 Depth=3
	s_or_b32 exec_lo, exec_lo, s60
.LBB2_477:                              ;   in Loop: Header=BB2_278 Depth=3
	s_delay_alu instid0(SALU_CYCLE_1) | instskip(SKIP_2) | instid1(SALU_CYCLE_1)
	s_or_b32 exec_lo, exec_lo, s41
	v_and_b32_e32 v8, 16, v30
	s_and_saveexec_b32 s41, s7
	s_xor_b32 s41, exec_lo, s41
	s_cbranch_execz .LBB2_481
; %bb.478:                              ;   in Loop: Header=BB2_278 Depth=3
	v_and_b32_e32 v2, 16, v30
	v_and_b32_e32 v8, 16, v30
	s_delay_alu instid0(VALU_DEP_2) | instskip(SKIP_1) | instid1(SALU_CYCLE_1)
	v_cmp_ne_u32_e32 vcc_lo, 0, v2
	s_and_b32 s60, vcc_lo, s13
	s_and_saveexec_b32 s13, s60
	s_cbranch_execz .LBB2_480
; %bb.479:                              ;   in Loop: Header=BB2_278 Depth=3
	v_mov_b32_e32 v8, 1
	global_wb scope:SCOPE_SYS
	s_wait_storecnt 0x0
	s_wait_loadcnt_dscnt 0x0
	global_inv scope:SCOPE_SYS
.LBB2_480:                              ;   in Loop: Header=BB2_278 Depth=3
	s_or_b32 exec_lo, exec_lo, s13
.LBB2_481:                              ;   in Loop: Header=BB2_278 Depth=3
	s_and_not1_saveexec_b32 s13, s41
	s_cbranch_execz .LBB2_500
; %bb.482:                              ;   in Loop: Header=BB2_278 Depth=3
	s_and_saveexec_b32 s41, s3
	s_delay_alu instid0(SALU_CYCLE_1)
	s_xor_b32 s41, exec_lo, s41
	s_cbranch_execz .LBB2_497
; %bb.483:                              ;   in Loop: Header=BB2_278 Depth=3
	s_and_saveexec_b32 s60, s6
	s_cbranch_execz .LBB2_496
; %bb.484:                              ;   in Loop: Header=BB2_278 Depth=3
	s_mov_b32 s62, exec_lo
	s_mov_b32 s61, exec_lo
	v_mbcnt_lo_u32_b32 v2, s62, 0
	;;#ASMSTART
	s_waitcnt lgkmcnt(0) vmcnt(0)
	;;#ASMEND
	s_delay_alu instid0(VALU_DEP_1)
	v_cmpx_eq_u32_e32 0, v2
	s_cbranch_execz .LBB2_486
; %bb.485:                              ;   in Loop: Header=BB2_278 Depth=3
	s_bcnt1_i32_b32 s62, s62
	s_delay_alu instid0(SALU_CYCLE_1)
	v_mov_b32_e32 v2, s62
	s_wait_storecnt 0x0
	s_wait_loadcnt_dscnt 0x0
	ds_add_u64 v0, v[2:3]
	s_trap 2
.LBB2_486:                              ;   in Loop: Header=BB2_278 Depth=3
	s_or_b32 exec_lo, exec_lo, s61
	s_trap 2
	ds_load_b64 v[10:11], v0
	s_wait_dscnt 0x0
	v_add_nc_u64_e32 v[32:33], v[32:33], v[36:37]
	s_mov_b32 s61, exec_lo
	s_delay_alu instid0(VALU_DEP_1)
	v_cmpx_lt_u64_e64 v[10:11], v[32:33]
	s_cbranch_execz .LBB2_495
; %bb.487:                              ;   in Loop: Header=BB2_278 Depth=3
	s_mov_b32 s62, 0
	s_mov_b32 s73, 0
                                        ; implicit-def: $sgpr63
                                        ; implicit-def: $sgpr72
	s_branch .LBB2_489
.LBB2_488:                              ;   in Loop: Header=BB2_489 Depth=4
	s_or_b32 exec_lo, exec_lo, s75
	s_delay_alu instid0(SALU_CYCLE_1) | instskip(NEXT) | instid1(SALU_CYCLE_1)
	s_and_b32 s74, exec_lo, s76
	s_or_b32 s62, s74, s62
	s_and_not1_b32 s63, s63, exec_lo
	s_and_b32 s74, s72, exec_lo
	s_delay_alu instid0(SALU_CYCLE_1)
	s_or_b32 s63, s63, s74
	s_and_not1_b32 exec_lo, exec_lo, s62
	s_cbranch_execz .LBB2_493
.LBB2_489:                              ;   Parent Loop BB2_47 Depth=1
                                        ;     Parent Loop BB2_275 Depth=2
                                        ;       Parent Loop BB2_278 Depth=3
                                        ; =>      This Inner Loop Header: Depth=4
	s_add_co_i32 s73, s73, 1
	s_delay_alu instid0(SALU_CYCLE_1) | instskip(SKIP_1) | instid1(SALU_CYCLE_1)
	s_cmp_lg_u32 s73, 0x2710
	s_cselect_b32 s74, -1, 0
	s_and_b32 vcc_lo, exec_lo, s74
	s_cbranch_vccz .LBB2_491
; %bb.490:                              ;   in Loop: Header=BB2_489 Depth=4
	s_mov_b32 s76, -1
	s_or_b32 s72, s72, exec_lo
	s_and_saveexec_b32 s75, s74
	s_cbranch_execz .LBB2_488
	s_branch .LBB2_492
.LBB2_491:                              ;   in Loop: Header=BB2_489 Depth=4
	s_trap 2
	ds_load_b64 v[10:11], v0
	s_and_not1_b32 s74, s74, exec_lo
	s_mov_b32 s73, 0
	s_wait_storecnt 0x0
	s_wait_loadcnt_dscnt 0x0
	flat_load_b32 v2, v[10:11] scope:SCOPE_SYS
	s_wait_loadcnt_dscnt 0x0
	global_inv scope:SCOPE_SYS
	v_cmp_eq_u32_e32 vcc_lo, 0, v2
	s_and_b32 s75, vcc_lo, exec_lo
	s_delay_alu instid0(SALU_CYCLE_1)
	s_or_b32 s74, s74, s75
	s_mov_b32 s76, -1
	s_or_b32 s72, s72, exec_lo
	s_and_saveexec_b32 s75, s74
	s_cbranch_execz .LBB2_488
.LBB2_492:                              ;   in Loop: Header=BB2_489 Depth=4
	s_sleep 1
	s_trap 2
	ds_load_b64 v[10:11], v0
	s_wait_dscnt 0x0
	s_and_not1_b32 s72, s72, exec_lo
	v_cmp_ge_u64_e32 vcc_lo, v[10:11], v[32:33]
	s_or_not1_b32 s76, vcc_lo, exec_lo
	s_branch .LBB2_488
.LBB2_493:                              ;   in Loop: Header=BB2_278 Depth=3
	s_or_b32 exec_lo, exec_lo, s62
	s_and_saveexec_b32 s62, s63
	s_delay_alu instid0(SALU_CYCLE_1)
	s_xor_b32 s62, exec_lo, s62
	s_cbranch_execz .LBB2_495
; %bb.494:                              ;   in Loop: Header=BB2_278 Depth=3
	ds_store_b32 v0, v61
	s_trap 2
.LBB2_495:                              ;   in Loop: Header=BB2_278 Depth=3
	s_or_b32 exec_lo, exec_lo, s61
	;;#ASMSTART
	s_wakeup
	;;#ASMEND
.LBB2_496:                              ;   in Loop: Header=BB2_278 Depth=3
	s_or_b32 exec_lo, exec_lo, s60
.LBB2_497:                              ;   in Loop: Header=BB2_278 Depth=3
	s_and_not1_saveexec_b32 s41, s41
	s_cbranch_execz .LBB2_499
; %bb.498:                              ;   in Loop: Header=BB2_278 Depth=3
	;;#ASMSTART
	s_waitcnt lgkmcnt(0) vmcnt(0)
	;;#ASMEND
	s_barrier_signal -1
	s_barrier_wait -1
.LBB2_499:                              ;   in Loop: Header=BB2_278 Depth=3
	s_or_b32 exec_lo, exec_lo, s41
.LBB2_500:                              ;   in Loop: Header=BB2_278 Depth=3
	s_delay_alu instid0(SALU_CYCLE_1) | instskip(SKIP_2) | instid1(SALU_CYCLE_1)
	s_or_b32 exec_lo, exec_lo, s13
	v_cmp_ne_u32_e32 vcc_lo, 0, v8
	s_xor_b32 s13, s4, -1
	s_and_b32 s41, vcc_lo, s13
	s_delay_alu instid0(SALU_CYCLE_1)
	s_and_saveexec_b32 s13, s41
	s_cbranch_execz .LBB2_502
; %bb.501:                              ;   in Loop: Header=BB2_278 Depth=3
	global_wb scope:SCOPE_SYS
	s_wait_storecnt 0x0
	s_wait_loadcnt_dscnt 0x0
	flat_store_b32 v[28:29], v61 scope:SCOPE_SYS
.LBB2_502:                              ;   in Loop: Header=BB2_278 Depth=3
	s_wait_xcnt 0x0
	s_or_b32 exec_lo, exec_lo, s13
	v_and_b32_e32 v2, 48, v30
	s_mov_b32 s13, exec_lo
	s_delay_alu instid0(VALU_DEP_1)
	v_cmpx_ne_u32_e32 0, v2
	s_cbranch_execz .LBB2_277
; %bb.503:                              ;   in Loop: Header=BB2_278 Depth=3
	v_add_nc_u64_e32 v[98:99], 2, v[98:99]
	global_wb scope:SCOPE_SYS
	s_wait_storecnt 0x0
	s_wait_loadcnt_dscnt 0x0
	flat_store_b64 v[22:23], v[98:99] scope:SCOPE_SYS
	s_branch .LBB2_277
.LBB2_504:                              ;   in Loop: Header=BB2_275 Depth=2
	s_or_b32 exec_lo, exec_lo, s18
.LBB2_505:                              ;   in Loop: Header=BB2_275 Depth=2
	s_delay_alu instid0(SALU_CYCLE_1) | instskip(NEXT) | instid1(SALU_CYCLE_1)
	s_or_b32 exec_lo, exec_lo, s15
	s_mov_b32 s15, exec_lo
	v_cmpx_gt_i32_e32 2, v2
	s_cbranch_execz .LBB2_274
; %bb.506:                              ;   in Loop: Header=BB2_275 Depth=2
	v_cmp_eq_u32_e64 s27, 0, v2
	s_mov_b32 s18, 0
	s_branch .LBB2_508
.LBB2_507:                              ;   in Loop: Header=BB2_508 Depth=3
	s_wait_xcnt 0x0
	s_or_b32 exec_lo, exec_lo, s13
	v_add_nc_u32_e32 v114, v112, v114
	s_mov_b32 s27, 0
	s_and_not1_b32 exec_lo, exec_lo, s18
	s_cbranch_execz .LBB2_273
.LBB2_508:                              ;   Parent Loop BB2_47 Depth=1
                                        ;     Parent Loop BB2_275 Depth=2
                                        ; =>    This Loop Header: Depth=3
                                        ;         Child Loop BB2_514 Depth 4
                                        ;         Child Loop BB2_542 Depth 4
	;; [unrolled: 1-line block ×3, first 2 shown]
	s_delay_alu instid0(VALU_DEP_1) | instskip(SKIP_2) | instid1(VALU_DEP_2)
	v_sub_nc_u32_e32 v2, v56, v114
	v_and_b32_e32 v8, 12, v30
	s_mov_b32 s40, exec_lo
	v_min_i32_e32 v112, v112, v2
	s_delay_alu instid0(VALU_DEP_2)
	v_cmpx_ne_u32_e32 0, v8
	s_cbranch_execz .LBB2_534
; %bb.509:                              ;   in Loop: Header=BB2_508 Depth=3
	v_and_b32_e32 v2, 8, v30
	v_add_nc_u64_e32 v[8:9], 2, v[98:99]
	s_mov_b32 s41, exec_lo
	s_wait_loadcnt_dscnt 0x1
	s_delay_alu instid0(VALU_DEP_2) | instskip(NEXT) | instid1(VALU_DEP_1)
	v_add_nc_u64_e32 v[10:11], v[34:35], v[2:3]
	v_cmpx_lt_u64_e64 v[10:11], v[8:9]
	s_cbranch_execz .LBB2_521
; %bb.510:                              ;   in Loop: Header=BB2_508 Depth=3
	v_and_b32_e32 v10, 64, v30
	s_mov_b32 s60, 0
	s_mov_b32 s72, 0
                                        ; implicit-def: $sgpr61
                                        ; implicit-def: $sgpr62
                                        ; implicit-def: $sgpr63
	s_delay_alu instid0(VALU_DEP_1)
	v_cmp_eq_u32_e32 vcc_lo, 0, v10
	s_branch .LBB2_514
.LBB2_511:                              ;   in Loop: Header=BB2_514 Depth=4
	s_wait_loadcnt_dscnt 0x0
	v_add_nc_u64_e32 v[12:13], v[34:35], v[2:3]
	s_or_b32 s75, s75, exec_lo
	s_delay_alu instid0(VALU_DEP_1)
	v_cmp_ge_u64_e64 s13, v[12:13], v[8:9]
	s_or_not1_b32 s74, s13, exec_lo
.LBB2_512:                              ;   in Loop: Header=BB2_514 Depth=4
	s_or_b32 exec_lo, exec_lo, s77
	s_delay_alu instid0(SALU_CYCLE_1)
	s_and_not1_b32 s13, s63, exec_lo
	s_and_b32 s63, s75, exec_lo
	s_and_not1_b32 s62, s62, exec_lo
	s_and_b32 s74, s74, exec_lo
	s_or_b32 s63, s13, s63
	s_or_b32 s62, s62, s74
.LBB2_513:                              ;   in Loop: Header=BB2_514 Depth=4
	s_or_b32 exec_lo, exec_lo, s73
	s_delay_alu instid0(SALU_CYCLE_1) | instskip(NEXT) | instid1(SALU_CYCLE_1)
	s_and_b32 s13, exec_lo, s62
	s_or_b32 s60, s13, s60
	s_and_not1_b32 s13, s61, exec_lo
	s_and_b32 s61, s63, exec_lo
	s_delay_alu instid0(SALU_CYCLE_1)
	s_or_b32 s61, s13, s61
	s_and_not1_b32 exec_lo, exec_lo, s60
	s_cbranch_execz .LBB2_518
.LBB2_514:                              ;   Parent Loop BB2_47 Depth=1
                                        ;     Parent Loop BB2_275 Depth=2
                                        ;       Parent Loop BB2_508 Depth=3
                                        ; =>      This Inner Loop Header: Depth=4
	s_sleep 1
	s_wait_loadcnt_dscnt 0x0
	flat_load_b64 v[34:35], v[22:23] scope:SCOPE_SYS
	s_or_b32 s63, s63, exec_lo
	s_or_b32 s62, s62, exec_lo
                                        ; implicit-def: $vgpr10
	s_wait_xcnt 0x0
	s_and_saveexec_b32 s73, vcc_lo
	s_cbranch_execz .LBB2_513
; %bb.515:                              ;   in Loop: Header=BB2_514 Depth=4
	s_cmp_lt_i32 s72, 0x270f
	s_mov_b32 s74, -1
	s_cselect_b32 s76, -1, 0
	s_cmp_gt_i32 s72, 0x270e
	s_cbranch_scc0 .LBB2_517
; %bb.516:                              ;   in Loop: Header=BB2_514 Depth=4
	s_trap 2
	ds_load_b64 v[10:11], v0
	s_and_not1_b32 s72, s76, exec_lo
	s_mov_b32 s75, 0
	s_wait_storecnt 0x0
	s_wait_loadcnt_dscnt 0x0
	flat_load_b32 v10, v[10:11] scope:SCOPE_SYS
	s_wait_loadcnt_dscnt 0x0
	global_inv scope:SCOPE_SYS
	v_cmp_eq_u32_e64 s13, 0, v10
	s_and_b32 s13, s13, exec_lo
	s_delay_alu instid0(SALU_CYCLE_1)
	s_or_b32 s76, s72, s13
	s_mov_b32 s72, 0
	s_and_saveexec_b32 s77, s76
	s_cbranch_execz .LBB2_512
	s_branch .LBB2_511
.LBB2_517:                              ;   in Loop: Header=BB2_514 Depth=4
	s_add_co_i32 s72, s72, 1
	s_mov_b32 s75, -1
                                        ; implicit-def: $vgpr10
	s_and_saveexec_b32 s77, s76
	s_cbranch_execz .LBB2_512
	s_branch .LBB2_511
.LBB2_518:                              ;   in Loop: Header=BB2_508 Depth=3
	s_or_b32 exec_lo, exec_lo, s60
	s_xor_b32 s13, s61, -1
	s_delay_alu instid0(SALU_CYCLE_1) | instskip(NEXT) | instid1(SALU_CYCLE_1)
	s_and_saveexec_b32 s60, s13
	s_xor_b32 s13, exec_lo, s60
	s_cbranch_execz .LBB2_520
; %bb.519:                              ;   in Loop: Header=BB2_508 Depth=3
	v_or_b32_e32 v30, 64, v30
	s_wait_storecnt 0x0
	s_wait_loadcnt_dscnt 0x0
	ds_store_b32 v0, v10
	s_trap 2
.LBB2_520:                              ;   in Loop: Header=BB2_508 Depth=3
	s_or_b32 exec_lo, exec_lo, s13
.LBB2_521:                              ;   in Loop: Header=BB2_508 Depth=3
	s_delay_alu instid0(SALU_CYCLE_1) | instskip(SKIP_2) | instid1(VALU_DEP_1)
	s_or_b32 exec_lo, exec_lo, s41
	v_and_b32_e32 v10, 0x108, v30
	;;#ASMSTART
	s_wakeup
	;;#ASMEND
	v_cmp_ne_u32_e32 vcc_lo, 0x108, v10
                                        ; implicit-def: $vgpr10_vgpr11
	s_and_saveexec_b32 s13, vcc_lo
	s_delay_alu instid0(SALU_CYCLE_1)
	s_xor_b32 s13, exec_lo, s13
; %bb.522:                              ;   in Loop: Header=BB2_508 Depth=3
	v_dual_mov_b32 v11, v3 :: v_dual_bitop2_b32 v10, 7, v98 bitop3:0x40
                                        ; implicit-def: $vgpr98_vgpr99
; %bb.523:                              ;   in Loop: Header=BB2_508 Depth=3
	s_and_not1_saveexec_b32 s13, s13
	s_cbranch_execz .LBB2_525
; %bb.524:                              ;   in Loop: Header=BB2_508 Depth=3
	v_dual_ashrrev_i32 v113, 31, v112 :: v_dual_bitop2_b32 v10, 7, v98 bitop3:0x40
	v_mov_b32_e32 v11, v3
	s_delay_alu instid0(VALU_DEP_2) | instskip(NEXT) | instid1(VALU_DEP_3)
	v_mad_nc_u64_u32 v[12:13], v10, 24, v[6:7]
	v_lshlrev_b64_e32 v[14:15], 1, v[112:113]
	flat_store_b64 v[12:13], v[14:15] offset:8
.LBB2_525:                              ;   in Loop: Header=BB2_508 Depth=3
	s_wait_xcnt 0x0
	s_or_b32 exec_lo, exec_lo, s13
	v_and_b32_e32 v12, 0x100, v30
	s_mov_b32 s13, -1
	s_delay_alu instid0(VALU_DEP_1)
	v_cmp_ne_u32_e32 vcc_lo, 0, v12
                                        ; implicit-def: $vgpr12_vgpr13
	s_and_saveexec_b32 s41, vcc_lo
	s_cbranch_execz .LBB2_529
; %bb.526:                              ;   in Loop: Header=BB2_508 Depth=3
	v_mad_nc_u64_u32 v[14:15], v10, 24, v[6:7]
	s_delay_alu instid0(VALU_DEP_1)
	v_mad_u32 v15, v11, 24, v15
	flat_load_b32 v12, v[14:15]
	s_wait_loadcnt_dscnt 0x0
	v_cmp_eq_u32_e64 s13, 1, v12
	v_cmp_ne_u32_e32 vcc_lo, 1, v12
                                        ; implicit-def: $vgpr12_vgpr13
	s_wait_xcnt 0x0
	s_and_saveexec_b32 s60, s13
	s_cbranch_execz .LBB2_528
; %bb.527:                              ;   in Loop: Header=BB2_508 Depth=3
	flat_load_b32 v12, v[14:15] offset:4 scope:SCOPE_SYS
	s_wait_loadcnt_dscnt 0x0
	v_ashrrev_i32_e32 v13, 31, v12
	s_delay_alu instid0(VALU_DEP_1)
	v_lshrrev_b64 v[12:13], 1, v[12:13]
.LBB2_528:                              ;   in Loop: Header=BB2_508 Depth=3
	s_wait_xcnt 0x0
	s_or_b32 exec_lo, exec_lo, s60
	s_delay_alu instid0(SALU_CYCLE_1)
	s_or_not1_b32 s13, vcc_lo, exec_lo
.LBB2_529:                              ;   in Loop: Header=BB2_508 Depth=3
	s_or_b32 exec_lo, exec_lo, s41
	s_and_saveexec_b32 s41, s13
; %bb.530:                              ;   in Loop: Header=BB2_508 Depth=3
	v_mul_u64_e32 v[12:13], v[10:11], v[24:25]
; %bb.531:                              ;   in Loop: Header=BB2_508 Depth=3
	s_or_b32 exec_lo, exec_lo, s41
	v_cmp_eq_u32_e32 vcc_lo, 0, v2
	v_and_b32_e32 v14, 0x2000, v30
	s_delay_alu instid0(VALU_DEP_3) | instskip(SKIP_2) | instid1(VALU_DEP_1)
	v_lshl_add_u64 v[10:11], v[12:13], 1, v[26:27]
	s_mov_b32 s13, exec_lo
	v_cndmask_b32_e32 v2, 0xc8, v62, vcc_lo
	v_add_nc_u32_e32 v2, v0, v2
	ds_store_b64 v2, v[10:11] offset:584
	v_cmpx_ne_u32_e32 0, v14
	s_cbranch_execz .LBB2_533
; %bb.532:                              ;   in Loop: Header=BB2_508 Depth=3
	ds_load_b64 v[10:11], v0 offset:872
	s_wait_dscnt 0x0
	v_add_nc_u64_e32 v[10:11], 1, v[10:11]
	ds_store_b64 v0, v[10:11] offset:872
.LBB2_533:                              ;   in Loop: Header=BB2_508 Depth=3
	s_or_b32 exec_lo, exec_lo, s13
	v_mov_b64_e32 v[98:99], v[8:9]
.LBB2_534:                              ;   in Loop: Header=BB2_508 Depth=3
	s_or_b32 exec_lo, exec_lo, s40
	s_xor_b32 s13, s27, -1
	s_delay_alu instid0(SALU_CYCLE_1) | instskip(NEXT) | instid1(SALU_CYCLE_1)
	s_and_b32 s13, exec_lo, s13
	s_or_b32 s18, s13, s18
	s_and_saveexec_b32 s13, s2
	s_cbranch_execz .LBB2_553
; %bb.535:                              ;   in Loop: Header=BB2_508 Depth=3
	s_and_saveexec_b32 s27, s3
	s_delay_alu instid0(SALU_CYCLE_1)
	s_xor_b32 s27, exec_lo, s27
	s_cbranch_execz .LBB2_550
; %bb.536:                              ;   in Loop: Header=BB2_508 Depth=3
	s_and_saveexec_b32 s40, s6
	s_cbranch_execz .LBB2_549
; %bb.537:                              ;   in Loop: Header=BB2_508 Depth=3
	s_mov_b32 s60, exec_lo
	s_mov_b32 s41, exec_lo
	v_mbcnt_lo_u32_b32 v2, s60, 0
	global_wb scope:SCOPE_DEV
	s_wait_storecnt 0x0
	s_wait_loadcnt_dscnt 0x0
	global_inv scope:SCOPE_DEV
	v_cmpx_eq_u32_e32 0, v2
	s_cbranch_execz .LBB2_539
; %bb.538:                              ;   in Loop: Header=BB2_508 Depth=3
	s_bcnt1_i32_b32 s60, s60
	s_delay_alu instid0(SALU_CYCLE_1)
	v_mov_b32_e32 v2, s60
	s_wait_loadcnt 0x0
	ds_add_u64 v0, v[2:3]
	s_trap 2
.LBB2_539:                              ;   in Loop: Header=BB2_508 Depth=3
	s_or_b32 exec_lo, exec_lo, s41
	s_trap 2
	ds_load_b64 v[8:9], v0
	s_wait_dscnt 0x0
	v_add_nc_u64_e32 v[32:33], v[32:33], v[36:37]
	s_mov_b32 s41, exec_lo
	s_delay_alu instid0(VALU_DEP_1)
	v_cmpx_lt_u64_e64 v[8:9], v[32:33]
	s_cbranch_execz .LBB2_548
; %bb.540:                              ;   in Loop: Header=BB2_508 Depth=3
	s_mov_b32 s60, 0
	s_mov_b32 s63, 0
                                        ; implicit-def: $sgpr61
                                        ; implicit-def: $sgpr62
	s_branch .LBB2_542
.LBB2_541:                              ;   in Loop: Header=BB2_542 Depth=4
	s_or_b32 exec_lo, exec_lo, s73
	s_delay_alu instid0(SALU_CYCLE_1) | instskip(NEXT) | instid1(SALU_CYCLE_1)
	s_and_b32 s72, exec_lo, s74
	s_or_b32 s60, s72, s60
	s_and_not1_b32 s61, s61, exec_lo
	s_and_b32 s72, s62, exec_lo
	s_delay_alu instid0(SALU_CYCLE_1)
	s_or_b32 s61, s61, s72
	s_and_not1_b32 exec_lo, exec_lo, s60
	s_cbranch_execz .LBB2_546
.LBB2_542:                              ;   Parent Loop BB2_47 Depth=1
                                        ;     Parent Loop BB2_275 Depth=2
                                        ;       Parent Loop BB2_508 Depth=3
                                        ; =>      This Inner Loop Header: Depth=4
	s_add_co_i32 s63, s63, 1
	s_delay_alu instid0(SALU_CYCLE_1) | instskip(SKIP_1) | instid1(SALU_CYCLE_1)
	s_cmp_lg_u32 s63, 0x2710
	s_cselect_b32 s72, -1, 0
	s_and_b32 vcc_lo, exec_lo, s72
	s_cbranch_vccz .LBB2_544
; %bb.543:                              ;   in Loop: Header=BB2_542 Depth=4
	s_mov_b32 s74, -1
	s_or_b32 s62, s62, exec_lo
	s_and_saveexec_b32 s73, s72
	s_cbranch_execz .LBB2_541
	s_branch .LBB2_545
.LBB2_544:                              ;   in Loop: Header=BB2_542 Depth=4
	s_trap 2
	ds_load_b64 v[8:9], v0
	s_and_not1_b32 s72, s72, exec_lo
	s_mov_b32 s63, 0
	s_wait_loadcnt_dscnt 0x0
	flat_load_b32 v2, v[8:9] scope:SCOPE_SYS
	s_wait_loadcnt_dscnt 0x0
	global_inv scope:SCOPE_SYS
	v_cmp_eq_u32_e32 vcc_lo, 0, v2
	s_and_b32 s73, vcc_lo, exec_lo
	s_delay_alu instid0(SALU_CYCLE_1)
	s_or_b32 s72, s72, s73
	s_mov_b32 s74, -1
	s_or_b32 s62, s62, exec_lo
	s_and_saveexec_b32 s73, s72
	s_cbranch_execz .LBB2_541
.LBB2_545:                              ;   in Loop: Header=BB2_542 Depth=4
	s_sleep 1
	s_trap 2
	ds_load_b64 v[8:9], v0
	s_wait_dscnt 0x0
	s_and_not1_b32 s62, s62, exec_lo
	v_cmp_ge_u64_e32 vcc_lo, v[8:9], v[32:33]
	s_or_not1_b32 s74, vcc_lo, exec_lo
	s_branch .LBB2_541
.LBB2_546:                              ;   in Loop: Header=BB2_508 Depth=3
	s_or_b32 exec_lo, exec_lo, s60
	s_and_saveexec_b32 s60, s61
	s_delay_alu instid0(SALU_CYCLE_1)
	s_xor_b32 s60, exec_lo, s60
	s_cbranch_execz .LBB2_548
; %bb.547:                              ;   in Loop: Header=BB2_508 Depth=3
	ds_store_b32 v0, v61
	s_trap 2
.LBB2_548:                              ;   in Loop: Header=BB2_508 Depth=3
	s_or_b32 exec_lo, exec_lo, s41
	;;#ASMSTART
	s_wakeup
	;;#ASMEND
.LBB2_549:                              ;   in Loop: Header=BB2_508 Depth=3
	s_or_b32 exec_lo, exec_lo, s40
.LBB2_550:                              ;   in Loop: Header=BB2_508 Depth=3
	s_and_not1_saveexec_b32 s27, s27
	s_cbranch_execz .LBB2_552
; %bb.551:                              ;   in Loop: Header=BB2_508 Depth=3
	global_wb scope:SCOPE_DEV
	s_wait_storecnt 0x0
	s_wait_loadcnt_dscnt 0x0
	global_inv scope:SCOPE_DEV
	s_barrier_signal -1
	s_barrier_wait -1
.LBB2_552:                              ;   in Loop: Header=BB2_508 Depth=3
	s_or_b32 exec_lo, exec_lo, s27
.LBB2_553:                              ;   in Loop: Header=BB2_508 Depth=3
	s_delay_alu instid0(SALU_CYCLE_1) | instskip(SKIP_1) | instid1(SALU_CYCLE_1)
	s_or_b32 exec_lo, exec_lo, s13
                                        ; implicit-def: $vgpr2
	s_and_saveexec_b32 s13, s47
	s_xor_b32 s13, exec_lo, s13
	s_cbranch_execz .LBB2_565
; %bb.554:                              ;   in Loop: Header=BB2_508 Depth=3
	s_and_saveexec_b32 s27, s3
	s_delay_alu instid0(SALU_CYCLE_1)
	s_xor_b32 s27, exec_lo, s27
	s_cbranch_execz .LBB2_570
; %bb.555:                              ;   in Loop: Header=BB2_508 Depth=3
	s_and_saveexec_b32 s40, s6
	s_cbranch_execz .LBB2_569
; %bb.556:                              ;   in Loop: Header=BB2_508 Depth=3
	s_mov_b32 s60, exec_lo
	s_mov_b32 s41, exec_lo
	v_mbcnt_lo_u32_b32 v2, s60, 0
	;;#ASMSTART
	s_waitcnt lgkmcnt(0) vmcnt(0)
	;;#ASMEND
	s_delay_alu instid0(VALU_DEP_1)
	v_cmpx_eq_u32_e32 0, v2
	s_cbranch_execz .LBB2_558
; %bb.557:                              ;   in Loop: Header=BB2_508 Depth=3
	s_bcnt1_i32_b32 s60, s60
	s_delay_alu instid0(SALU_CYCLE_1)
	v_mov_b32_e32 v2, s60
	s_wait_storecnt 0x0
	s_wait_loadcnt_dscnt 0x0
	ds_add_u64 v0, v[2:3]
	s_trap 2
.LBB2_558:                              ;   in Loop: Header=BB2_508 Depth=3
	s_or_b32 exec_lo, exec_lo, s41
	s_trap 2
	ds_load_b64 v[8:9], v0
	s_wait_dscnt 0x0
	v_add_nc_u64_e32 v[32:33], v[32:33], v[36:37]
	s_mov_b32 s41, exec_lo
	s_delay_alu instid0(VALU_DEP_1)
	v_cmpx_lt_u64_e64 v[8:9], v[32:33]
	s_cbranch_execz .LBB2_568
; %bb.559:                              ;   in Loop: Header=BB2_508 Depth=3
	s_mov_b32 s60, 0
	s_mov_b32 s63, 0
                                        ; implicit-def: $sgpr61
                                        ; implicit-def: $sgpr62
	s_branch .LBB2_561
.LBB2_560:                              ;   in Loop: Header=BB2_561 Depth=4
	s_or_b32 exec_lo, exec_lo, s73
	s_delay_alu instid0(SALU_CYCLE_1) | instskip(NEXT) | instid1(SALU_CYCLE_1)
	s_and_b32 s72, exec_lo, s74
	s_or_b32 s60, s72, s60
	s_and_not1_b32 s61, s61, exec_lo
	s_and_b32 s72, s62, exec_lo
	s_delay_alu instid0(SALU_CYCLE_1)
	s_or_b32 s61, s61, s72
	s_and_not1_b32 exec_lo, exec_lo, s60
	s_cbranch_execz .LBB2_566
.LBB2_561:                              ;   Parent Loop BB2_47 Depth=1
                                        ;     Parent Loop BB2_275 Depth=2
                                        ;       Parent Loop BB2_508 Depth=3
                                        ; =>      This Inner Loop Header: Depth=4
	s_add_co_i32 s63, s63, 1
	s_delay_alu instid0(SALU_CYCLE_1) | instskip(SKIP_1) | instid1(SALU_CYCLE_1)
	s_cmp_lg_u32 s63, 0x2710
	s_cselect_b32 s72, -1, 0
	s_and_b32 vcc_lo, exec_lo, s72
	s_cbranch_vccz .LBB2_563
; %bb.562:                              ;   in Loop: Header=BB2_561 Depth=4
	s_mov_b32 s74, -1
	s_or_b32 s62, s62, exec_lo
	s_and_saveexec_b32 s73, s72
	s_cbranch_execz .LBB2_560
	s_branch .LBB2_564
.LBB2_563:                              ;   in Loop: Header=BB2_561 Depth=4
	s_trap 2
	ds_load_b64 v[8:9], v0
	s_and_not1_b32 s72, s72, exec_lo
	s_mov_b32 s63, 0
	s_wait_storecnt 0x0
	s_wait_loadcnt_dscnt 0x0
	flat_load_b32 v2, v[8:9] scope:SCOPE_SYS
	s_wait_loadcnt_dscnt 0x0
	global_inv scope:SCOPE_SYS
	v_cmp_eq_u32_e32 vcc_lo, 0, v2
	s_and_b32 s73, vcc_lo, exec_lo
	s_delay_alu instid0(SALU_CYCLE_1)
	s_or_b32 s72, s72, s73
	s_mov_b32 s74, -1
	s_or_b32 s62, s62, exec_lo
	s_and_saveexec_b32 s73, s72
	s_cbranch_execz .LBB2_560
.LBB2_564:                              ;   in Loop: Header=BB2_561 Depth=4
	s_sleep 1
	s_trap 2
	ds_load_b64 v[8:9], v0
	s_wait_dscnt 0x0
	s_and_not1_b32 s62, s62, exec_lo
	v_cmp_ge_u64_e32 vcc_lo, v[8:9], v[32:33]
	s_or_not1_b32 s74, vcc_lo, exec_lo
	s_branch .LBB2_560
.LBB2_565:                              ;   in Loop: Header=BB2_508 Depth=3
	s_and_not1_saveexec_b32 s27, s13
	s_cbranch_execnz .LBB2_573
	s_branch .LBB2_576
.LBB2_566:                              ;   in Loop: Header=BB2_508 Depth=3
	s_or_b32 exec_lo, exec_lo, s60
	s_and_saveexec_b32 s60, s61
	s_delay_alu instid0(SALU_CYCLE_1)
	s_xor_b32 s60, exec_lo, s60
	s_cbranch_execz .LBB2_568
; %bb.567:                              ;   in Loop: Header=BB2_508 Depth=3
	ds_store_b32 v0, v61
	s_trap 2
.LBB2_568:                              ;   in Loop: Header=BB2_508 Depth=3
	s_or_b32 exec_lo, exec_lo, s41
	;;#ASMSTART
	s_wakeup
	;;#ASMEND
.LBB2_569:                              ;   in Loop: Header=BB2_508 Depth=3
	s_or_b32 exec_lo, exec_lo, s40
.LBB2_570:                              ;   in Loop: Header=BB2_508 Depth=3
	s_and_not1_saveexec_b32 s27, s27
	s_cbranch_execz .LBB2_572
; %bb.571:                              ;   in Loop: Header=BB2_508 Depth=3
	;;#ASMSTART
	s_waitcnt lgkmcnt(0) vmcnt(0)
	;;#ASMEND
	s_barrier_signal -1
	s_barrier_wait -1
.LBB2_572:                              ;   in Loop: Header=BB2_508 Depth=3
	s_or_b32 exec_lo, exec_lo, s27
	v_and_b32_e32 v2, 16, v30
	s_and_not1_saveexec_b32 s27, s13
	s_cbranch_execz .LBB2_576
.LBB2_573:                              ;   in Loop: Header=BB2_508 Depth=3
	s_trap 2
	ds_load_b32 v2, v0
	v_cmp_lt_i32_e32 vcc_lo, 0, v112
	s_wait_dscnt 0x0
	v_readfirstlane_b32 s13, v2
	v_and_b32_e32 v2, 16, v30
	s_cmp_eq_u32 s13, 0
	s_delay_alu instid0(VALU_DEP_1) | instskip(SKIP_3) | instid1(SALU_CYCLE_1)
	v_cmp_ne_u32_e64 s13, 0, v2
	s_cselect_b32 s40, -1, 0
	v_and_b32_e32 v2, 16, v30
	s_and_b32 s40, vcc_lo, s40
	s_and_b32 s40, s13, s40
	s_delay_alu instid0(SALU_CYCLE_1)
	s_and_saveexec_b32 s13, s40
	s_cbranch_execz .LBB2_575
; %bb.574:                              ;   in Loop: Header=BB2_508 Depth=3
	v_mov_b32_e32 v2, 1
	global_wb scope:SCOPE_SYS
	s_wait_loadcnt 0x0
	s_wait_storecnt 0x0
	global_inv scope:SCOPE_SYS
.LBB2_575:                              ;   in Loop: Header=BB2_508 Depth=3
	s_or_b32 exec_lo, exec_lo, s13
.LBB2_576:                              ;   in Loop: Header=BB2_508 Depth=3
	s_delay_alu instid0(SALU_CYCLE_1) | instskip(NEXT) | instid1(VALU_DEP_1)
	s_or_b32 exec_lo, exec_lo, s27
	v_cmp_ne_u32_e32 vcc_lo, 0, v2
	s_xor_b32 s13, s4, -1
	s_delay_alu instid0(SALU_CYCLE_1) | instskip(NEXT) | instid1(SALU_CYCLE_1)
	s_and_b32 s27, vcc_lo, s13
	s_and_saveexec_b32 s13, s27
	s_cbranch_execz .LBB2_578
; %bb.577:                              ;   in Loop: Header=BB2_508 Depth=3
	global_wb scope:SCOPE_SYS
	s_wait_storecnt 0x0
	s_wait_loadcnt_dscnt 0x0
	flat_store_b32 v[28:29], v61 scope:SCOPE_SYS
.LBB2_578:                              ;   in Loop: Header=BB2_508 Depth=3
	s_wait_xcnt 0x0
	s_or_b32 exec_lo, exec_lo, s13
	v_and_b32_e32 v2, 48, v30
	s_mov_b32 s13, exec_lo
	s_delay_alu instid0(VALU_DEP_1)
	v_cmpx_ne_u32_e32 0, v2
	s_cbranch_execz .LBB2_507
; %bb.579:                              ;   in Loop: Header=BB2_508 Depth=3
	v_add_nc_u64_e32 v[98:99], 2, v[98:99]
	global_wb scope:SCOPE_SYS
	s_wait_storecnt 0x0
	s_wait_loadcnt_dscnt 0x0
	flat_store_b64 v[22:23], v[98:99] scope:SCOPE_SYS
	s_branch .LBB2_507
.LBB2_580:                              ;   in Loop: Header=BB2_47 Depth=1
	v_mul_u64_e32 v[8:9], s[16:17], v[96:97]
	v_mov_b32_e32 v114, 0
	s_delay_alu instid0(VALU_DEP_2) | instskip(NEXT) | instid1(VALU_DEP_1)
	v_sub_nc_u64_e32 v[10:11], v[100:101], v[8:9]
	v_min_i64 v[10:11], v[96:97], v[10:11]
	s_delay_alu instid0(VALU_DEP_1) | instskip(SKIP_1) | instid1(VALU_DEP_2)
	v_max_i32_e32 v75, 0, v10
	v_cmp_lt_i32_e32 vcc_lo, 0, v10
	v_add_nc_u32_e32 v2, 31, v75
	s_and_b32 s13, s57, vcc_lo
	s_delay_alu instid0(VALU_DEP_1) | instskip(NEXT) | instid1(VALU_DEP_1)
	v_lshrrev_b32_e32 v2, 1, v2
	v_and_b32_e32 v11, 0x3ffffff0, v2
	s_delay_alu instid0(VALU_DEP_1)
	v_dual_mov_b32 v2, 0 :: v_dual_max_i32 v112, s45, v11
	s_and_saveexec_b32 s18, s13
	s_cbranch_execz .LBB2_931
; %bb.581:                              ;   in Loop: Header=BB2_47 Depth=1
	v_add_nc_u64_e32 v[8:9], v[8:9], v[102:103]
	v_mov_b32_e32 v114, 0
	s_mov_b32 s61, 1
	s_mov_b32 s60, -1
	s_mov_b32 s27, 0
	s_delay_alu instid0(VALU_DEP_2)
	v_lshlrev_b64_e32 v[116:117], 1, v[8:9]
	s_branch .LBB2_583
.LBB2_582:                              ;   in Loop: Header=BB2_583 Depth=2
	s_wait_xcnt 0x0
	s_or_b32 exec_lo, exec_lo, s13
	v_dual_add_nc_u32 v114, v112, v114 :: v_dual_mov_b32 v2, s61
	s_xor_b32 s13, s60, -1
	s_mov_b32 s60, 0
	s_mov_b32 s61, 2
	s_delay_alu instid0(VALU_DEP_1) | instskip(SKIP_1) | instid1(SALU_CYCLE_1)
	v_cmp_ge_i32_e32 vcc_lo, v114, v75
	s_or_b32 s13, s13, vcc_lo
	s_and_b32 s13, exec_lo, s13
	s_delay_alu instid0(SALU_CYCLE_1) | instskip(NEXT) | instid1(SALU_CYCLE_1)
	s_or_b32 s27, s13, s27
	s_and_not1_b32 exec_lo, exec_lo, s27
	s_cbranch_execz .LBB2_930
.LBB2_583:                              ;   Parent Loop BB2_47 Depth=1
                                        ; =>  This Loop Header: Depth=2
                                        ;       Child Loop BB2_591 Depth 3
                                        ;       Child Loop BB2_619 Depth 3
	;; [unrolled: 1-line block ×4, first 2 shown]
                                        ;         Child Loop BB2_694 Depth 4
                                        ;       Child Loop BB2_700 Depth 3
                                        ;         Child Loop BB2_733 Depth 4
                                        ;       Child Loop BB2_743 Depth 3
                                        ;       Child Loop BB2_763 Depth 3
                                        ;         Child Loop BB2_768 Depth 4
                                        ;       Child Loop BB2_781 Depth 3
                                        ;       Child Loop BB2_818 Depth 3
                                        ;       Child Loop BB2_858 Depth 3
                                        ;       Child Loop BB2_879 Depth 3
                                        ;       Child Loop BB2_892 Depth 3
                                        ;       Child Loop BB2_915 Depth 3
	s_and_saveexec_b32 s13, s0
	s_cbranch_execz .LBB2_585
; %bb.584:                              ;   in Loop: Header=BB2_583 Depth=2
	s_trap 2
	ds_load_b64 v[12:13], v0
	ds_load_2addr_b64 v[8:11], v0 offset1:1
	s_wait_dscnt 0x1
	v_cmp_ne_u64_e32 vcc_lo, 0, v[12:13]
	v_ashrrev_i32_e32 v115, 31, v114
	v_add_nc_u64_e32 v[118:119], v[12:13], v[116:117]
	s_wait_dscnt 0x0
	v_add_nc_u64_e32 v[8:9], v[8:9], v[116:117]
	v_add_nc_u64_e32 v[10:11], v[10:11], v[116:117]
	v_lshlrev_b64_e32 v[14:15], 1, v[114:115]
	s_delay_alu instid0(VALU_DEP_1) | instskip(NEXT) | instid1(VALU_DEP_4)
	v_add_nc_u64_e32 v[118:119], v[118:119], v[14:15]
	v_add_nc_u64_e32 v[8:9], v[8:9], v[14:15]
	s_delay_alu instid0(VALU_DEP_4) | instskip(NEXT) | instid1(VALU_DEP_3)
	v_add_nc_u64_e32 v[10:11], v[10:11], v[14:15]
	v_dual_cndmask_b32 v13, 0, v119 :: v_dual_cndmask_b32 v12, 0, v118
	ds_store_b64 v0, v[8:9]
	ds_store_b64 v0, v[10:11]
	;; [unrolled: 1-line block ×3, first 2 shown]
.LBB2_585:                              ;   in Loop: Header=BB2_583 Depth=2
	s_or_b32 exec_lo, exec_lo, s13
	v_sub_nc_u32_e32 v2, v75, v114
	v_and_b32_e32 v8, 12, v30
	s_mov_b32 s14, exec_lo
	s_delay_alu instid0(VALU_DEP_2) | instskip(NEXT) | instid1(VALU_DEP_2)
	v_min_i32_e32 v112, v112, v2
	v_cmpx_ne_u32_e32 0, v8
	s_cbranch_execz .LBB2_611
; %bb.586:                              ;   in Loop: Header=BB2_583 Depth=2
	v_and_b32_e32 v2, 8, v30
	v_add_nc_u64_e32 v[8:9], 2, v[98:99]
	s_mov_b32 s15, exec_lo
	s_wait_loadcnt_dscnt 0x1
	s_delay_alu instid0(VALU_DEP_2) | instskip(NEXT) | instid1(VALU_DEP_1)
	v_add_nc_u64_e32 v[10:11], v[34:35], v[2:3]
	v_cmpx_lt_u64_e64 v[10:11], v[8:9]
	s_cbranch_execz .LBB2_598
; %bb.587:                              ;   in Loop: Header=BB2_583 Depth=2
	v_and_b32_e32 v10, 64, v30
	s_mov_b32 s40, 0
	s_mov_b32 s72, 0
                                        ; implicit-def: $sgpr41
                                        ; implicit-def: $sgpr62
                                        ; implicit-def: $sgpr63
	s_delay_alu instid0(VALU_DEP_1)
	v_cmp_eq_u32_e32 vcc_lo, 0, v10
	s_branch .LBB2_591
.LBB2_588:                              ;   in Loop: Header=BB2_591 Depth=3
	s_wait_loadcnt_dscnt 0x0
	v_add_nc_u64_e32 v[12:13], v[34:35], v[2:3]
	s_or_b32 s75, s75, exec_lo
	s_delay_alu instid0(VALU_DEP_1)
	v_cmp_ge_u64_e64 s13, v[12:13], v[8:9]
	s_or_not1_b32 s74, s13, exec_lo
.LBB2_589:                              ;   in Loop: Header=BB2_591 Depth=3
	s_or_b32 exec_lo, exec_lo, s77
	s_delay_alu instid0(SALU_CYCLE_1)
	s_and_not1_b32 s13, s63, exec_lo
	s_and_b32 s63, s75, exec_lo
	s_and_not1_b32 s62, s62, exec_lo
	s_and_b32 s74, s74, exec_lo
	s_or_b32 s63, s13, s63
	s_or_b32 s62, s62, s74
.LBB2_590:                              ;   in Loop: Header=BB2_591 Depth=3
	s_or_b32 exec_lo, exec_lo, s73
	s_delay_alu instid0(SALU_CYCLE_1) | instskip(NEXT) | instid1(SALU_CYCLE_1)
	s_and_b32 s13, exec_lo, s62
	s_or_b32 s40, s13, s40
	s_and_not1_b32 s13, s41, exec_lo
	s_and_b32 s41, s63, exec_lo
	s_delay_alu instid0(SALU_CYCLE_1)
	s_or_b32 s41, s13, s41
	s_and_not1_b32 exec_lo, exec_lo, s40
	s_cbranch_execz .LBB2_595
.LBB2_591:                              ;   Parent Loop BB2_47 Depth=1
                                        ;     Parent Loop BB2_583 Depth=2
                                        ; =>    This Inner Loop Header: Depth=3
	s_sleep 1
	s_wait_loadcnt_dscnt 0x0
	flat_load_b64 v[34:35], v[22:23] scope:SCOPE_SYS
	s_or_b32 s63, s63, exec_lo
	s_or_b32 s62, s62, exec_lo
                                        ; implicit-def: $vgpr10
	s_wait_xcnt 0x0
	s_and_saveexec_b32 s73, vcc_lo
	s_cbranch_execz .LBB2_590
; %bb.592:                              ;   in Loop: Header=BB2_591 Depth=3
	s_cmp_lt_i32 s72, 0x270f
	s_mov_b32 s74, -1
	s_cselect_b32 s76, -1, 0
	s_cmp_gt_i32 s72, 0x270e
	s_cbranch_scc0 .LBB2_594
; %bb.593:                              ;   in Loop: Header=BB2_591 Depth=3
	s_trap 2
	ds_load_b64 v[10:11], v0
	s_and_not1_b32 s72, s76, exec_lo
	s_mov_b32 s75, 0
	s_wait_storecnt 0x0
	s_wait_loadcnt_dscnt 0x0
	flat_load_b32 v10, v[10:11] scope:SCOPE_SYS
	s_wait_loadcnt_dscnt 0x0
	global_inv scope:SCOPE_SYS
	v_cmp_eq_u32_e64 s13, 0, v10
	s_and_b32 s13, s13, exec_lo
	s_delay_alu instid0(SALU_CYCLE_1)
	s_or_b32 s76, s72, s13
	s_mov_b32 s72, 0
	s_and_saveexec_b32 s77, s76
	s_cbranch_execz .LBB2_589
	s_branch .LBB2_588
.LBB2_594:                              ;   in Loop: Header=BB2_591 Depth=3
	s_add_co_i32 s72, s72, 1
	s_mov_b32 s75, -1
                                        ; implicit-def: $vgpr10
	s_and_saveexec_b32 s77, s76
	s_cbranch_execz .LBB2_589
	s_branch .LBB2_588
.LBB2_595:                              ;   in Loop: Header=BB2_583 Depth=2
	s_or_b32 exec_lo, exec_lo, s40
	s_xor_b32 s13, s41, -1
	s_delay_alu instid0(SALU_CYCLE_1) | instskip(NEXT) | instid1(SALU_CYCLE_1)
	s_and_saveexec_b32 s40, s13
	s_xor_b32 s13, exec_lo, s40
	s_cbranch_execz .LBB2_597
; %bb.596:                              ;   in Loop: Header=BB2_583 Depth=2
	v_or_b32_e32 v30, 64, v30
	s_wait_storecnt 0x0
	s_wait_loadcnt_dscnt 0x0
	ds_store_b32 v0, v10
	s_trap 2
.LBB2_597:                              ;   in Loop: Header=BB2_583 Depth=2
	s_or_b32 exec_lo, exec_lo, s13
.LBB2_598:                              ;   in Loop: Header=BB2_583 Depth=2
	s_delay_alu instid0(SALU_CYCLE_1) | instskip(SKIP_2) | instid1(VALU_DEP_1)
	s_or_b32 exec_lo, exec_lo, s15
	v_and_b32_e32 v10, 0x108, v30
	;;#ASMSTART
	s_wakeup
	;;#ASMEND
	v_cmp_ne_u32_e32 vcc_lo, 0x108, v10
                                        ; implicit-def: $vgpr10_vgpr11
	s_and_saveexec_b32 s13, vcc_lo
	s_delay_alu instid0(SALU_CYCLE_1)
	s_xor_b32 s13, exec_lo, s13
; %bb.599:                              ;   in Loop: Header=BB2_583 Depth=2
	v_dual_mov_b32 v11, v3 :: v_dual_bitop2_b32 v10, 7, v98 bitop3:0x40
                                        ; implicit-def: $vgpr98_vgpr99
; %bb.600:                              ;   in Loop: Header=BB2_583 Depth=2
	s_and_not1_saveexec_b32 s13, s13
	s_cbranch_execz .LBB2_602
; %bb.601:                              ;   in Loop: Header=BB2_583 Depth=2
	v_dual_ashrrev_i32 v113, 31, v112 :: v_dual_bitop2_b32 v10, 7, v98 bitop3:0x40
	v_mov_b32_e32 v11, v3
	s_delay_alu instid0(VALU_DEP_2) | instskip(NEXT) | instid1(VALU_DEP_3)
	v_mad_nc_u64_u32 v[12:13], v10, 24, v[6:7]
	v_lshlrev_b64_e32 v[14:15], 1, v[112:113]
	flat_store_b64 v[12:13], v[14:15] offset:8
.LBB2_602:                              ;   in Loop: Header=BB2_583 Depth=2
	s_wait_xcnt 0x0
	s_or_b32 exec_lo, exec_lo, s13
	v_and_b32_e32 v12, 0x100, v30
	s_mov_b32 s13, -1
	s_delay_alu instid0(VALU_DEP_1)
	v_cmp_ne_u32_e32 vcc_lo, 0, v12
                                        ; implicit-def: $vgpr12_vgpr13
	s_and_saveexec_b32 s15, vcc_lo
	s_cbranch_execz .LBB2_606
; %bb.603:                              ;   in Loop: Header=BB2_583 Depth=2
	v_mad_nc_u64_u32 v[14:15], v10, 24, v[6:7]
	s_delay_alu instid0(VALU_DEP_1)
	v_mad_u32 v15, v11, 24, v15
	flat_load_b32 v12, v[14:15]
	s_wait_loadcnt_dscnt 0x0
	v_cmp_eq_u32_e64 s13, 1, v12
	v_cmp_ne_u32_e32 vcc_lo, 1, v12
                                        ; implicit-def: $vgpr12_vgpr13
	s_wait_xcnt 0x0
	s_and_saveexec_b32 s40, s13
	s_cbranch_execz .LBB2_605
; %bb.604:                              ;   in Loop: Header=BB2_583 Depth=2
	flat_load_b32 v12, v[14:15] offset:4 scope:SCOPE_SYS
	s_wait_loadcnt_dscnt 0x0
	v_ashrrev_i32_e32 v13, 31, v12
	s_delay_alu instid0(VALU_DEP_1)
	v_lshrrev_b64 v[12:13], 1, v[12:13]
.LBB2_605:                              ;   in Loop: Header=BB2_583 Depth=2
	s_wait_xcnt 0x0
	s_or_b32 exec_lo, exec_lo, s40
	s_delay_alu instid0(SALU_CYCLE_1)
	s_or_not1_b32 s13, vcc_lo, exec_lo
.LBB2_606:                              ;   in Loop: Header=BB2_583 Depth=2
	s_or_b32 exec_lo, exec_lo, s15
	s_and_saveexec_b32 s15, s13
; %bb.607:                              ;   in Loop: Header=BB2_583 Depth=2
	v_mul_u64_e32 v[12:13], v[10:11], v[24:25]
; %bb.608:                              ;   in Loop: Header=BB2_583 Depth=2
	s_or_b32 exec_lo, exec_lo, s15
	v_cmp_eq_u32_e32 vcc_lo, 0, v2
	v_and_b32_e32 v14, 0x2000, v30
	s_delay_alu instid0(VALU_DEP_3) | instskip(SKIP_2) | instid1(VALU_DEP_1)
	v_lshl_add_u64 v[10:11], v[12:13], 1, v[26:27]
	s_mov_b32 s13, exec_lo
	v_cndmask_b32_e32 v2, 0xd0, v62, vcc_lo
	v_add_nc_u32_e32 v2, v0, v2
	ds_store_b64 v2, v[10:11] offset:584
	v_cmpx_ne_u32_e32 0, v14
	s_cbranch_execz .LBB2_610
; %bb.609:                              ;   in Loop: Header=BB2_583 Depth=2
	ds_load_b64 v[10:11], v0 offset:872
	s_wait_dscnt 0x0
	v_add_nc_u64_e32 v[10:11], 1, v[10:11]
	ds_store_b64 v0, v[10:11] offset:872
.LBB2_610:                              ;   in Loop: Header=BB2_583 Depth=2
	s_or_b32 exec_lo, exec_lo, s13
	v_mov_b64_e32 v[98:99], v[8:9]
.LBB2_611:                              ;   in Loop: Header=BB2_583 Depth=2
	s_or_b32 exec_lo, exec_lo, s14
	s_and_saveexec_b32 s13, s2
	s_cbranch_execz .LBB2_630
; %bb.612:                              ;   in Loop: Header=BB2_583 Depth=2
	s_and_saveexec_b32 s14, s3
	s_delay_alu instid0(SALU_CYCLE_1)
	s_xor_b32 s14, exec_lo, s14
	s_cbranch_execz .LBB2_627
; %bb.613:                              ;   in Loop: Header=BB2_583 Depth=2
	s_and_saveexec_b32 s15, s6
	s_cbranch_execz .LBB2_626
; %bb.614:                              ;   in Loop: Header=BB2_583 Depth=2
	s_mov_b32 s41, exec_lo
	s_mov_b32 s40, exec_lo
	v_mbcnt_lo_u32_b32 v2, s41, 0
	global_wb scope:SCOPE_DEV
	s_wait_storecnt 0x0
	s_wait_loadcnt_dscnt 0x0
	global_inv scope:SCOPE_DEV
	v_cmpx_eq_u32_e32 0, v2
	s_cbranch_execz .LBB2_616
; %bb.615:                              ;   in Loop: Header=BB2_583 Depth=2
	s_bcnt1_i32_b32 s41, s41
	s_delay_alu instid0(SALU_CYCLE_1)
	v_mov_b32_e32 v2, s41
	s_wait_loadcnt 0x0
	ds_add_u64 v0, v[2:3]
	s_trap 2
.LBB2_616:                              ;   in Loop: Header=BB2_583 Depth=2
	s_or_b32 exec_lo, exec_lo, s40
	s_trap 2
	ds_load_b64 v[8:9], v0
	s_wait_dscnt 0x0
	v_add_nc_u64_e32 v[32:33], v[32:33], v[36:37]
	s_mov_b32 s40, exec_lo
	s_delay_alu instid0(VALU_DEP_1)
	v_cmpx_lt_u64_e64 v[8:9], v[32:33]
	s_cbranch_execz .LBB2_625
; %bb.617:                              ;   in Loop: Header=BB2_583 Depth=2
	s_mov_b32 s41, 0
	s_mov_b32 s72, 0
                                        ; implicit-def: $sgpr62
                                        ; implicit-def: $sgpr63
	s_branch .LBB2_619
.LBB2_618:                              ;   in Loop: Header=BB2_619 Depth=3
	s_or_b32 exec_lo, exec_lo, s74
	s_delay_alu instid0(SALU_CYCLE_1) | instskip(NEXT) | instid1(SALU_CYCLE_1)
	s_and_b32 s73, exec_lo, s75
	s_or_b32 s41, s73, s41
	s_and_not1_b32 s62, s62, exec_lo
	s_and_b32 s73, s63, exec_lo
	s_delay_alu instid0(SALU_CYCLE_1)
	s_or_b32 s62, s62, s73
	s_and_not1_b32 exec_lo, exec_lo, s41
	s_cbranch_execz .LBB2_623
.LBB2_619:                              ;   Parent Loop BB2_47 Depth=1
                                        ;     Parent Loop BB2_583 Depth=2
                                        ; =>    This Inner Loop Header: Depth=3
	s_add_co_i32 s72, s72, 1
	s_delay_alu instid0(SALU_CYCLE_1) | instskip(SKIP_1) | instid1(SALU_CYCLE_1)
	s_cmp_lg_u32 s72, 0x2710
	s_cselect_b32 s73, -1, 0
	s_and_b32 vcc_lo, exec_lo, s73
	s_cbranch_vccz .LBB2_621
; %bb.620:                              ;   in Loop: Header=BB2_619 Depth=3
	s_mov_b32 s75, -1
	s_or_b32 s63, s63, exec_lo
	s_and_saveexec_b32 s74, s73
	s_cbranch_execz .LBB2_618
	s_branch .LBB2_622
.LBB2_621:                              ;   in Loop: Header=BB2_619 Depth=3
	s_trap 2
	ds_load_b64 v[8:9], v0
	s_and_not1_b32 s73, s73, exec_lo
	s_mov_b32 s72, 0
	s_wait_loadcnt_dscnt 0x0
	flat_load_b32 v2, v[8:9] scope:SCOPE_SYS
	s_wait_loadcnt_dscnt 0x0
	global_inv scope:SCOPE_SYS
	v_cmp_eq_u32_e32 vcc_lo, 0, v2
	s_and_b32 s74, vcc_lo, exec_lo
	s_delay_alu instid0(SALU_CYCLE_1)
	s_or_b32 s73, s73, s74
	s_mov_b32 s75, -1
	s_or_b32 s63, s63, exec_lo
	s_and_saveexec_b32 s74, s73
	s_cbranch_execz .LBB2_618
.LBB2_622:                              ;   in Loop: Header=BB2_619 Depth=3
	s_sleep 1
	s_trap 2
	ds_load_b64 v[8:9], v0
	s_wait_dscnt 0x0
	s_and_not1_b32 s63, s63, exec_lo
	v_cmp_ge_u64_e32 vcc_lo, v[8:9], v[32:33]
	s_or_not1_b32 s75, vcc_lo, exec_lo
	s_branch .LBB2_618
.LBB2_623:                              ;   in Loop: Header=BB2_583 Depth=2
	s_or_b32 exec_lo, exec_lo, s41
	s_and_saveexec_b32 s41, s62
	s_delay_alu instid0(SALU_CYCLE_1)
	s_xor_b32 s41, exec_lo, s41
	s_cbranch_execz .LBB2_625
; %bb.624:                              ;   in Loop: Header=BB2_583 Depth=2
	ds_store_b32 v0, v61
	s_trap 2
.LBB2_625:                              ;   in Loop: Header=BB2_583 Depth=2
	s_or_b32 exec_lo, exec_lo, s40
	;;#ASMSTART
	s_wakeup
	;;#ASMEND
.LBB2_626:                              ;   in Loop: Header=BB2_583 Depth=2
	s_or_b32 exec_lo, exec_lo, s15
.LBB2_627:                              ;   in Loop: Header=BB2_583 Depth=2
	s_and_not1_saveexec_b32 s14, s14
	s_cbranch_execz .LBB2_629
; %bb.628:                              ;   in Loop: Header=BB2_583 Depth=2
	global_wb scope:SCOPE_DEV
	s_wait_storecnt 0x0
	s_wait_loadcnt_dscnt 0x0
	global_inv scope:SCOPE_DEV
	s_barrier_signal -1
	s_barrier_wait -1
.LBB2_629:                              ;   in Loop: Header=BB2_583 Depth=2
	s_or_b32 exec_lo, exec_lo, s14
.LBB2_630:                              ;   in Loop: Header=BB2_583 Depth=2
	s_delay_alu instid0(SALU_CYCLE_1) | instskip(SKIP_4) | instid1(VALU_DEP_1)
	s_or_b32 exec_lo, exec_lo, s13
	s_trap 2
	ds_load_b32 v8, v0
	v_and_b32_e32 v2, 0x4000, v30
	s_xor_b32 s13, s1, -1
	v_cmp_ne_u32_e32 vcc_lo, 0, v2
	s_and_b32 s14, s13, vcc_lo
	s_delay_alu instid0(SALU_CYCLE_1)
	s_and_saveexec_b32 s13, s14
	s_cbranch_execz .LBB2_649
; %bb.631:                              ;   in Loop: Header=BB2_583 Depth=2
	s_and_saveexec_b32 s14, s3
	s_delay_alu instid0(SALU_CYCLE_1)
	s_xor_b32 s14, exec_lo, s14
	s_cbranch_execz .LBB2_646
; %bb.632:                              ;   in Loop: Header=BB2_583 Depth=2
	s_and_saveexec_b32 s15, s6
	s_cbranch_execz .LBB2_645
; %bb.633:                              ;   in Loop: Header=BB2_583 Depth=2
	s_mov_b32 s41, exec_lo
	s_mov_b32 s40, exec_lo
	v_mbcnt_lo_u32_b32 v2, s41, 0
	global_wb scope:SCOPE_DEV
	s_wait_storecnt 0x0
	s_wait_loadcnt_dscnt 0x0
	global_inv scope:SCOPE_DEV
	v_cmpx_eq_u32_e32 0, v2
	s_cbranch_execz .LBB2_635
; %bb.634:                              ;   in Loop: Header=BB2_583 Depth=2
	s_bcnt1_i32_b32 s41, s41
	s_delay_alu instid0(SALU_CYCLE_1)
	v_mov_b32_e32 v2, s41
	s_wait_loadcnt 0x0
	ds_add_u64 v0, v[2:3]
	s_trap 2
.LBB2_635:                              ;   in Loop: Header=BB2_583 Depth=2
	s_or_b32 exec_lo, exec_lo, s40
	s_trap 2
	ds_load_b64 v[10:11], v0
	s_wait_dscnt 0x0
	v_add_nc_u64_e32 v[32:33], v[32:33], v[36:37]
	s_mov_b32 s40, exec_lo
	s_delay_alu instid0(VALU_DEP_1)
	v_cmpx_lt_u64_e64 v[10:11], v[32:33]
	s_cbranch_execz .LBB2_644
; %bb.636:                              ;   in Loop: Header=BB2_583 Depth=2
	s_mov_b32 s41, 0
	s_mov_b32 s72, 0
                                        ; implicit-def: $sgpr62
                                        ; implicit-def: $sgpr63
	s_branch .LBB2_638
.LBB2_637:                              ;   in Loop: Header=BB2_638 Depth=3
	s_or_b32 exec_lo, exec_lo, s74
	s_delay_alu instid0(SALU_CYCLE_1) | instskip(NEXT) | instid1(SALU_CYCLE_1)
	s_and_b32 s73, exec_lo, s75
	s_or_b32 s41, s73, s41
	s_and_not1_b32 s62, s62, exec_lo
	s_and_b32 s73, s63, exec_lo
	s_delay_alu instid0(SALU_CYCLE_1)
	s_or_b32 s62, s62, s73
	s_and_not1_b32 exec_lo, exec_lo, s41
	s_cbranch_execz .LBB2_642
.LBB2_638:                              ;   Parent Loop BB2_47 Depth=1
                                        ;     Parent Loop BB2_583 Depth=2
                                        ; =>    This Inner Loop Header: Depth=3
	s_add_co_i32 s72, s72, 1
	s_delay_alu instid0(SALU_CYCLE_1) | instskip(SKIP_1) | instid1(SALU_CYCLE_1)
	s_cmp_lg_u32 s72, 0x2710
	s_cselect_b32 s73, -1, 0
	s_and_b32 vcc_lo, exec_lo, s73
	s_cbranch_vccz .LBB2_640
; %bb.639:                              ;   in Loop: Header=BB2_638 Depth=3
	s_mov_b32 s75, -1
	s_or_b32 s63, s63, exec_lo
	s_and_saveexec_b32 s74, s73
	s_cbranch_execz .LBB2_637
	s_branch .LBB2_641
.LBB2_640:                              ;   in Loop: Header=BB2_638 Depth=3
	s_trap 2
	ds_load_b64 v[10:11], v0
	s_and_not1_b32 s73, s73, exec_lo
	s_mov_b32 s72, 0
	s_wait_loadcnt_dscnt 0x0
	flat_load_b32 v2, v[10:11] scope:SCOPE_SYS
	s_wait_loadcnt_dscnt 0x0
	global_inv scope:SCOPE_SYS
	v_cmp_eq_u32_e32 vcc_lo, 0, v2
	s_and_b32 s74, vcc_lo, exec_lo
	s_delay_alu instid0(SALU_CYCLE_1)
	s_or_b32 s73, s73, s74
	s_mov_b32 s75, -1
	s_or_b32 s63, s63, exec_lo
	s_and_saveexec_b32 s74, s73
	s_cbranch_execz .LBB2_637
.LBB2_641:                              ;   in Loop: Header=BB2_638 Depth=3
	s_sleep 1
	s_trap 2
	ds_load_b64 v[10:11], v0
	s_wait_dscnt 0x0
	s_and_not1_b32 s63, s63, exec_lo
	v_cmp_ge_u64_e32 vcc_lo, v[10:11], v[32:33]
	s_or_not1_b32 s75, vcc_lo, exec_lo
	s_branch .LBB2_637
.LBB2_642:                              ;   in Loop: Header=BB2_583 Depth=2
	s_or_b32 exec_lo, exec_lo, s41
	s_and_saveexec_b32 s41, s62
	s_delay_alu instid0(SALU_CYCLE_1)
	s_xor_b32 s41, exec_lo, s41
	s_cbranch_execz .LBB2_644
; %bb.643:                              ;   in Loop: Header=BB2_583 Depth=2
	ds_store_b32 v0, v61
	s_trap 2
.LBB2_644:                              ;   in Loop: Header=BB2_583 Depth=2
	s_or_b32 exec_lo, exec_lo, s40
	;;#ASMSTART
	s_wakeup
	;;#ASMEND
.LBB2_645:                              ;   in Loop: Header=BB2_583 Depth=2
	s_or_b32 exec_lo, exec_lo, s15
.LBB2_646:                              ;   in Loop: Header=BB2_583 Depth=2
	s_and_not1_saveexec_b32 s14, s14
	s_cbranch_execz .LBB2_648
; %bb.647:                              ;   in Loop: Header=BB2_583 Depth=2
	global_wb scope:SCOPE_DEV
	s_wait_storecnt 0x0
	s_wait_loadcnt_dscnt 0x0
	global_inv scope:SCOPE_DEV
	s_barrier_signal -1
	s_barrier_wait -1
.LBB2_648:                              ;   in Loop: Header=BB2_583 Depth=2
	s_or_b32 exec_lo, exec_lo, s14
.LBB2_649:                              ;   in Loop: Header=BB2_583 Depth=2
	s_delay_alu instid0(SALU_CYCLE_1)
	s_or_b32 exec_lo, exec_lo, s13
	s_trap 2
	ds_load_b64 v[118:119], v0
	s_wait_dscnt 0x0
	v_cmp_eq_u64_e32 vcc_lo, 0, v[118:119]
	s_cbranch_vccnz .LBB2_658
; %bb.650:                              ;   in Loop: Header=BB2_583 Depth=2
	s_trap 2
	ds_load_b64 v[40:41], v0
	s_wait_dscnt 0x0
	v_cmp_eq_u64_e32 vcc_lo, 0, v[40:41]
	s_cbranch_vccnz .LBB2_658
; %bb.651:                              ;   in Loop: Header=BB2_583 Depth=2
	s_trap 2
	ds_load_b64 v[42:43], v0
	v_cmp_eq_u32_e32 vcc_lo, 0, v8
	s_mov_b32 s13, -1
	v_cndmask_b32_e32 v2, 0, v112, vcc_lo
	s_delay_alu instid0(VALU_DEP_1)
	v_lshlrev_b32_e32 v113, 1, v2
	s_wait_dscnt 0x0
	v_cmp_ne_u64_e32 vcc_lo, 0, v[42:43]
	s_cbranch_vccz .LBB2_771
; %bb.652:                              ;   in Loop: Header=BB2_583 Depth=2
	s_and_saveexec_b32 s14, s12
	s_cbranch_execz .LBB2_654
; %bb.653:                              ;   in Loop: Header=BB2_583 Depth=2
	ds_load_b32 v8, v0 offset:720
	s_wait_dscnt 0x0
	v_and_b32_e32 v8, 15, v8
	s_delay_alu instid0(VALU_DEP_1)
	v_cmp_eq_u32_e32 vcc_lo, 0, v8
	s_or_not1_b32 s13, vcc_lo, exec_lo
.LBB2_654:                              ;   in Loop: Header=BB2_583 Depth=2
	s_or_b32 exec_lo, exec_lo, s14
	s_and_saveexec_b32 s14, s12
	s_cbranch_execz .LBB2_656
; %bb.655:                              ;   in Loop: Header=BB2_583 Depth=2
	ds_load_b32 v8, v0 offset:784
	s_wait_dscnt 0x0
	v_and_b32_e32 v8, 15, v8
	s_delay_alu instid0(VALU_DEP_1) | instskip(SKIP_3) | instid1(SALU_CYCLE_1)
	v_cmp_eq_u32_e32 vcc_lo, 0, v8
	s_and_b32 s15, s13, vcc_lo
	s_and_not1_b32 s13, s13, exec_lo
	s_and_b32 s15, s15, exec_lo
	s_or_b32 s13, s13, s15
.LBB2_656:                              ;   in Loop: Header=BB2_583 Depth=2
	s_or_b32 exec_lo, exec_lo, s14
	s_xor_b32 s13, s13, -1
	v_dual_mov_b32 v44, 0 :: v_dual_mov_b32 v45, v113
	v_cndmask_b32_e64 v8, 0, 1, s13
	v_mov_b32_e32 v46, v0
	s_mov_b32 s14, -1
	s_delay_alu instid0(VALU_DEP_2)
	v_cmp_ne_u32_e32 vcc_lo, 0, v8
	v_mov_b32_e32 v8, v72
	s_cbranch_vccz .LBB2_659
; %bb.657:                              ;   in Loop: Header=BB2_583 Depth=2
	s_and_saveexec_b32 s15, s14
	s_cbranch_execnz .LBB2_740
	s_branch .LBB2_770
.LBB2_658:                              ;   in Loop: Header=BB2_583 Depth=2
	s_mov_b32 s13, 0
	s_and_saveexec_b32 s14, s2
	s_cbranch_execnz .LBB2_885
	s_branch .LBB2_903
.LBB2_659:                              ;   in Loop: Header=BB2_583 Depth=2
	v_dual_ashrrev_i32 v8, 31, v113 :: v_dual_sub_nc_u32 v115, v113, v48
	s_mov_b32 s62, exec_lo
	s_delay_alu instid0(VALU_DEP_1) | instskip(NEXT) | instid1(VALU_DEP_1)
	v_lshrrev_b32_e32 v8, 23, v8
	v_add_nc_u32_e32 v8, v113, v8
	s_delay_alu instid0(VALU_DEP_1) | instskip(SKIP_1) | instid1(VALU_DEP_2)
	v_and_b32_e32 v76, 0xfffffe00, v8
	v_ashrrev_i32_e32 v8, 9, v8
	v_sub_nc_u32_e32 v77, v113, v76
	s_delay_alu instid0(VALU_DEP_1) | instskip(NEXT) | instid1(VALU_DEP_1)
	v_cmp_lt_i32_e64 s13, 15, v77
	v_add_co_ci_u32_e64 v78, null, v8, v74, s13
	v_cmpx_lt_i32_e32 15, v115
	s_cbranch_execz .LBB2_697
; %bb.660:                              ;   in Loop: Header=BB2_583 Depth=2
	s_trap 2
	ds_load_b64 v[8:9], v0
	v_add_nc_u64_e32 v[44:45], v[40:41], v[48:49]
	v_add_nc_u64_e32 v[46:47], v[42:43], v[48:49]
	;; [unrolled: 1-line block ×3, first 2 shown]
	s_mov_b32 s63, 0
	s_wait_dscnt 0x0
	v_add_nc_u64_e32 v[58:59], v[8:9], v[48:49]
.LBB2_661:                              ;   Parent Loop BB2_47 Depth=1
                                        ;     Parent Loop BB2_583 Depth=2
                                        ; =>    This Loop Header: Depth=3
                                        ;         Child Loop BB2_694 Depth 4
	global_load_b128 v[8:11], v[58:59], off th:TH_LOAD_NT
	global_load_b128 v[12:15], v[56:57], off th:TH_LOAD_NT
	s_wait_loadcnt 0x1
	v_lshlrev_b32_e32 v79, 16, v8
	s_wait_loadcnt 0x0
	v_lshlrev_b32_e32 v88, 16, v12
	s_delay_alu instid0(VALU_DEP_1) | instskip(NEXT) | instid1(VALU_DEP_1)
	v_mul_f32_e32 v88, v88, v79
	v_and_b32_e32 v79, 0x7f800000, v88
	s_delay_alu instid0(VALU_DEP_1) | instskip(SKIP_2) | instid1(SALU_CYCLE_1)
	v_cmp_ne_u32_e32 vcc_lo, 0x7f800000, v79
                                        ; implicit-def: $vgpr79
	s_wait_xcnt 0x0
	s_and_saveexec_b32 s14, vcc_lo
	s_xor_b32 s14, exec_lo, s14
; %bb.662:                              ;   in Loop: Header=BB2_661 Depth=3
	v_bfe_u32 v79, v88, 16, 1
	s_delay_alu instid0(VALU_DEP_1)
	v_add3_u32 v79, v88, v79, 0x7fff
                                        ; implicit-def: $vgpr88
; %bb.663:                              ;   in Loop: Header=BB2_661 Depth=3
	s_and_not1_saveexec_b32 s14, s14
; %bb.664:                              ;   in Loop: Header=BB2_661 Depth=3
	v_and_b32_e32 v79, 0xffff, v88
	v_or_b32_e32 v89, 0x10000, v88
	s_delay_alu instid0(VALU_DEP_2) | instskip(NEXT) | instid1(VALU_DEP_2)
	v_cmp_eq_u32_e32 vcc_lo, 0, v79
	v_cndmask_b32_e32 v79, v89, v88, vcc_lo
; %bb.665:                              ;   in Loop: Header=BB2_661 Depth=3
	s_or_b32 exec_lo, exec_lo, s14
	v_and_b32_e32 v8, 0xffff0000, v8
	v_and_b32_e32 v12, 0xffff0000, v12
	s_delay_alu instid0(VALU_DEP_1) | instskip(NEXT) | instid1(VALU_DEP_1)
	v_mul_f32_e32 v12, v12, v8
	v_and_b32_e32 v8, 0x7f800000, v12
	s_delay_alu instid0(VALU_DEP_1) | instskip(SKIP_1) | instid1(SALU_CYCLE_1)
	v_cmp_ne_u32_e32 vcc_lo, 0x7f800000, v8
                                        ; implicit-def: $vgpr8
	s_and_saveexec_b32 s14, vcc_lo
	s_xor_b32 s14, exec_lo, s14
; %bb.666:                              ;   in Loop: Header=BB2_661 Depth=3
	v_bfe_u32 v8, v12, 16, 1
	s_delay_alu instid0(VALU_DEP_1)
	v_add3_u32 v8, v12, v8, 0x7fff
                                        ; implicit-def: $vgpr12
; %bb.667:                              ;   in Loop: Header=BB2_661 Depth=3
	s_and_not1_saveexec_b32 s14, s14
; %bb.668:                              ;   in Loop: Header=BB2_661 Depth=3
	v_and_b32_e32 v8, 0xffff, v12
	v_or_b32_e32 v88, 0x10000, v12
	s_delay_alu instid0(VALU_DEP_2) | instskip(NEXT) | instid1(VALU_DEP_2)
	v_cmp_eq_u32_e32 vcc_lo, 0, v8
	v_cndmask_b32_e32 v8, v88, v12, vcc_lo
; %bb.669:                              ;   in Loop: Header=BB2_661 Depth=3
	s_or_b32 exec_lo, exec_lo, s14
	v_lshlrev_b32_e32 v12, 16, v9
	v_lshlrev_b32_e32 v88, 16, v13
	s_delay_alu instid0(VALU_DEP_1) | instskip(NEXT) | instid1(VALU_DEP_1)
	v_mul_f32_e32 v88, v88, v12
	v_and_b32_e32 v12, 0x7f800000, v88
	s_delay_alu instid0(VALU_DEP_1) | instskip(SKIP_1) | instid1(SALU_CYCLE_1)
	v_cmp_ne_u32_e32 vcc_lo, 0x7f800000, v12
                                        ; implicit-def: $vgpr12
	s_and_saveexec_b32 s14, vcc_lo
	s_xor_b32 s14, exec_lo, s14
; %bb.670:                              ;   in Loop: Header=BB2_661 Depth=3
	v_bfe_u32 v12, v88, 16, 1
	s_delay_alu instid0(VALU_DEP_1)
	v_add3_u32 v12, v88, v12, 0x7fff
                                        ; implicit-def: $vgpr88
; %bb.671:                              ;   in Loop: Header=BB2_661 Depth=3
	s_and_not1_saveexec_b32 s14, s14
; %bb.672:                              ;   in Loop: Header=BB2_661 Depth=3
	v_and_b32_e32 v12, 0xffff, v88
	v_or_b32_e32 v89, 0x10000, v88
	s_delay_alu instid0(VALU_DEP_2) | instskip(NEXT) | instid1(VALU_DEP_2)
	v_cmp_eq_u32_e32 vcc_lo, 0, v12
	v_cndmask_b32_e32 v12, v89, v88, vcc_lo
; %bb.673:                              ;   in Loop: Header=BB2_661 Depth=3
	s_or_b32 exec_lo, exec_lo, s14
	v_and_b32_e32 v13, 0xffff0000, v13
	v_and_b32_e32 v9, 0xffff0000, v9
	s_delay_alu instid0(VALU_DEP_1) | instskip(NEXT) | instid1(VALU_DEP_1)
	v_mul_f32_e32 v13, v13, v9
	v_and_b32_e32 v9, 0x7f800000, v13
	s_delay_alu instid0(VALU_DEP_1) | instskip(SKIP_1) | instid1(SALU_CYCLE_1)
	v_cmp_ne_u32_e32 vcc_lo, 0x7f800000, v9
                                        ; implicit-def: $vgpr9
	s_and_saveexec_b32 s14, vcc_lo
	s_xor_b32 s14, exec_lo, s14
; %bb.674:                              ;   in Loop: Header=BB2_661 Depth=3
	v_bfe_u32 v9, v13, 16, 1
	s_delay_alu instid0(VALU_DEP_1)
	v_add3_u32 v9, v13, v9, 0x7fff
                                        ; implicit-def: $vgpr13
; %bb.675:                              ;   in Loop: Header=BB2_661 Depth=3
	s_and_not1_saveexec_b32 s14, s14
; %bb.676:                              ;   in Loop: Header=BB2_661 Depth=3
	v_and_b32_e32 v9, 0xffff, v13
	v_or_b32_e32 v88, 0x10000, v13
	s_delay_alu instid0(VALU_DEP_2) | instskip(NEXT) | instid1(VALU_DEP_2)
	v_cmp_eq_u32_e32 vcc_lo, 0, v9
	v_cndmask_b32_e32 v9, v88, v13, vcc_lo
; %bb.677:                              ;   in Loop: Header=BB2_661 Depth=3
	s_or_b32 exec_lo, exec_lo, s14
	v_lshlrev_b32_e32 v13, 16, v10
	v_lshlrev_b32_e32 v88, 16, v14
	s_delay_alu instid0(VALU_DEP_1) | instskip(NEXT) | instid1(VALU_DEP_1)
	v_mul_f32_e32 v88, v88, v13
	v_and_b32_e32 v13, 0x7f800000, v88
	s_delay_alu instid0(VALU_DEP_1) | instskip(SKIP_1) | instid1(SALU_CYCLE_1)
	v_cmp_ne_u32_e32 vcc_lo, 0x7f800000, v13
                                        ; implicit-def: $vgpr13
	s_and_saveexec_b32 s14, vcc_lo
	s_xor_b32 s14, exec_lo, s14
; %bb.678:                              ;   in Loop: Header=BB2_661 Depth=3
	v_bfe_u32 v13, v88, 16, 1
	s_delay_alu instid0(VALU_DEP_1)
	v_add3_u32 v13, v88, v13, 0x7fff
                                        ; implicit-def: $vgpr88
; %bb.679:                              ;   in Loop: Header=BB2_661 Depth=3
	s_and_not1_saveexec_b32 s14, s14
; %bb.680:                              ;   in Loop: Header=BB2_661 Depth=3
	v_and_b32_e32 v13, 0xffff, v88
	v_or_b32_e32 v89, 0x10000, v88
	s_delay_alu instid0(VALU_DEP_2) | instskip(NEXT) | instid1(VALU_DEP_2)
	v_cmp_eq_u32_e32 vcc_lo, 0, v13
	v_cndmask_b32_e32 v13, v89, v88, vcc_lo
; %bb.681:                              ;   in Loop: Header=BB2_661 Depth=3
	s_or_b32 exec_lo, exec_lo, s14
	v_and_b32_e32 v14, 0xffff0000, v14
	v_and_b32_e32 v10, 0xffff0000, v10
	s_delay_alu instid0(VALU_DEP_1) | instskip(NEXT) | instid1(VALU_DEP_1)
	v_mul_f32_e32 v14, v14, v10
	v_and_b32_e32 v10, 0x7f800000, v14
	s_delay_alu instid0(VALU_DEP_1) | instskip(SKIP_1) | instid1(SALU_CYCLE_1)
	v_cmp_ne_u32_e32 vcc_lo, 0x7f800000, v10
                                        ; implicit-def: $vgpr10
	s_and_saveexec_b32 s14, vcc_lo
	s_xor_b32 s14, exec_lo, s14
; %bb.682:                              ;   in Loop: Header=BB2_661 Depth=3
	v_bfe_u32 v10, v14, 16, 1
	s_delay_alu instid0(VALU_DEP_1)
	v_add3_u32 v10, v14, v10, 0x7fff
                                        ; implicit-def: $vgpr14
; %bb.683:                              ;   in Loop: Header=BB2_661 Depth=3
	s_and_not1_saveexec_b32 s14, s14
; %bb.684:                              ;   in Loop: Header=BB2_661 Depth=3
	v_and_b32_e32 v10, 0xffff, v14
	v_or_b32_e32 v88, 0x10000, v14
	s_delay_alu instid0(VALU_DEP_2) | instskip(NEXT) | instid1(VALU_DEP_2)
	v_cmp_eq_u32_e32 vcc_lo, 0, v10
	v_cndmask_b32_e32 v10, v88, v14, vcc_lo
; %bb.685:                              ;   in Loop: Header=BB2_661 Depth=3
	s_or_b32 exec_lo, exec_lo, s14
	v_lshlrev_b32_e32 v14, 16, v11
	v_lshlrev_b32_e32 v88, 16, v15
	s_delay_alu instid0(VALU_DEP_1) | instskip(NEXT) | instid1(VALU_DEP_1)
	v_mul_f32_e32 v88, v88, v14
	v_and_b32_e32 v14, 0x7f800000, v88
	s_delay_alu instid0(VALU_DEP_1) | instskip(SKIP_1) | instid1(SALU_CYCLE_1)
	v_cmp_ne_u32_e32 vcc_lo, 0x7f800000, v14
                                        ; implicit-def: $vgpr14
	s_and_saveexec_b32 s14, vcc_lo
	s_xor_b32 s14, exec_lo, s14
; %bb.686:                              ;   in Loop: Header=BB2_661 Depth=3
	v_bfe_u32 v14, v88, 16, 1
	s_delay_alu instid0(VALU_DEP_1)
	v_add3_u32 v14, v88, v14, 0x7fff
                                        ; implicit-def: $vgpr88
; %bb.687:                              ;   in Loop: Header=BB2_661 Depth=3
	s_and_not1_saveexec_b32 s14, s14
; %bb.688:                              ;   in Loop: Header=BB2_661 Depth=3
	v_and_b32_e32 v14, 0xffff, v88
	v_or_b32_e32 v89, 0x10000, v88
	s_delay_alu instid0(VALU_DEP_2) | instskip(NEXT) | instid1(VALU_DEP_2)
	v_cmp_eq_u32_e32 vcc_lo, 0, v14
	v_cndmask_b32_e32 v14, v89, v88, vcc_lo
; %bb.689:                              ;   in Loop: Header=BB2_661 Depth=3
	s_or_b32 exec_lo, exec_lo, s14
	v_and_b32_e32 v15, 0xffff0000, v15
	v_and_b32_e32 v11, 0xffff0000, v11
	s_delay_alu instid0(VALU_DEP_1) | instskip(NEXT) | instid1(VALU_DEP_1)
	v_mul_f32_e32 v15, v15, v11
	v_and_b32_e32 v11, 0x7f800000, v15
	s_delay_alu instid0(VALU_DEP_1) | instskip(SKIP_1) | instid1(SALU_CYCLE_1)
	v_cmp_ne_u32_e32 vcc_lo, 0x7f800000, v11
                                        ; implicit-def: $vgpr11
	s_and_saveexec_b32 s14, vcc_lo
	s_xor_b32 s14, exec_lo, s14
; %bb.690:                              ;   in Loop: Header=BB2_661 Depth=3
	v_bfe_u32 v11, v15, 16, 1
	s_delay_alu instid0(VALU_DEP_1)
	v_add3_u32 v11, v15, v11, 0x7fff
                                        ; implicit-def: $vgpr15
; %bb.691:                              ;   in Loop: Header=BB2_661 Depth=3
	s_and_not1_saveexec_b32 s14, s14
; %bb.692:                              ;   in Loop: Header=BB2_661 Depth=3
	v_and_b32_e32 v11, 0xffff, v15
	v_or_b32_e32 v88, 0x10000, v15
	s_delay_alu instid0(VALU_DEP_2) | instskip(NEXT) | instid1(VALU_DEP_2)
	v_cmp_eq_u32_e32 vcc_lo, 0, v11
	v_cndmask_b32_e32 v11, v88, v15, vcc_lo
; %bb.693:                              ;   in Loop: Header=BB2_661 Depth=3
	s_or_b32 exec_lo, exec_lo, s14
	v_dual_lshrrev_b32 v12, 16, v12 :: v_dual_lshrrev_b32 v15, 16, v79
	v_dual_lshrrev_b32 v13, 16, v13 :: v_dual_lshrrev_b32 v14, 16, v14
	s_mov_b64 s[40:41], 0
	s_delay_alu instid0(VALU_DEP_2) | instskip(NEXT) | instid1(VALU_DEP_3)
	v_and_or_b32 v9, 0xffff0000, v9, v12
	v_and_or_b32 v8, 0xffff0000, v8, v15
	s_delay_alu instid0(VALU_DEP_3)
	v_and_or_b32 v10, 0xffff0000, v10, v13
	v_and_or_b32 v11, 0xffff0000, v11, v14
	s_mov_b32 s72, -1
.LBB2_694:                              ;   Parent Loop BB2_47 Depth=1
                                        ;     Parent Loop BB2_583 Depth=2
                                        ;       Parent Loop BB2_661 Depth=3
                                        ; =>      This Inner Loop Header: Depth=4
	s_cmp_eq_u32 s40, 1
	s_cselect_b32 vcc_lo, -1, 0
	s_cmp_eq_u32 s40, 0
	s_wait_xcnt 0x0
	v_dual_cndmask_b32 v13, v45, v47 :: v_dual_cndmask_b32 v12, v44, v46
	s_cselect_b32 s14, -1, 0
	s_and_b32 s15, exec_lo, s72
	s_mov_b64 s[40:41], 1
	s_mov_b32 s72, 0
	v_add_nc_u64_e32 v[14:15], 0x200, v[12:13]
	global_store_b128 v[12:13], v[8:11], off th:TH_STORE_NT
	v_dual_cndmask_b32 v47, v47, v15 :: v_dual_cndmask_b32 v46, v46, v14
	v_dual_cndmask_b32 v45, v45, v15, s14 :: v_dual_cndmask_b32 v44, v44, v14, s14
	s_mov_b32 vcc_lo, s15
	s_cbranch_vccnz .LBB2_694
; %bb.695:                              ;   in Loop: Header=BB2_661 Depth=3
	v_sub_nc_u32_e32 v115, v115, v64
	v_add_nc_u64_e32 v[56:57], v[56:57], v[82:83]
	v_add_nc_u64_e32 v[58:59], v[58:59], v[82:83]
	;; [unrolled: 1-line block ×4, first 2 shown]
	v_cmp_gt_i32_e32 vcc_lo, 16, v115
	v_sub_nc_u32_e32 v78, v78, v36
	s_or_b32 s63, vcc_lo, s63
	s_wait_xcnt 0x0
	s_and_not1_b32 exec_lo, exec_lo, s63
	s_cbranch_execnz .LBB2_661
; %bb.696:                              ;   in Loop: Header=BB2_583 Depth=2
	s_or_b32 exec_lo, exec_lo, s63
.LBB2_697:                              ;   in Loop: Header=BB2_583 Depth=2
	s_delay_alu instid0(SALU_CYCLE_1) | instskip(SKIP_3) | instid1(VALU_DEP_1)
	s_or_b32 exec_lo, exec_lo, s62
	v_dual_mov_b32 v44, 0 :: v_dual_bitop2_b32 v9, 14, v113 bitop3:0x40
	s_mov_b32 s14, 0
	s_mov_b32 s62, exec_lo
                                        ; implicit-def: $vgpr45
                                        ; implicit-def: $vgpr46
                                        ; implicit-def: $vgpr8
	v_cndmask_b32_e64 v115, v77, v9, s13
	s_delay_alu instid0(VALU_DEP_1)
	v_cmpx_ne_u32_e32 0, v115
	s_cbranch_execz .LBB2_739
; %bb.698:                              ;   in Loop: Header=BB2_583 Depth=2
	v_cmp_lt_i32_e32 vcc_lo, 0, v78
	s_mov_b32 s63, exec_lo
	v_dual_ashrrev_i32 v11, 31, v115 :: v_dual_sub_nc_u32 v9, v77, v9
	s_delay_alu instid0(VALU_DEP_1) | instskip(NEXT) | instid1(VALU_DEP_1)
	v_dual_cndmask_b32 v8, 0, v36 :: v_dual_lshrrev_b32 v11, 23, v11
	v_dual_sub_nc_u32 v8, v8, v78 :: v_dual_add_nc_u32 v11, v115, v11
	s_delay_alu instid0(VALU_DEP_1) | instskip(NEXT) | instid1(VALU_DEP_2)
	v_lshl_add_u32 v8, v8, 5, v73
	v_and_b32_e32 v78, 0xfffffe00, v11
	s_delay_alu instid0(VALU_DEP_2) | instskip(NEXT) | instid1(VALU_DEP_2)
	v_dual_ashrrev_i32 v11, 9, v11 :: v_dual_ashrrev_i32 v10, 31, v8
	v_sub_nc_u32_e32 v77, v115, v78
	s_delay_alu instid0(VALU_DEP_2) | instskip(NEXT) | instid1(VALU_DEP_1)
	v_lshrrev_b32_e32 v10, 27, v10
	v_add_nc_u32_e32 v10, v8, v10
	s_delay_alu instid0(VALU_DEP_1) | instskip(NEXT) | instid1(VALU_DEP_1)
	v_and_b32_e32 v12, 0xffffffe0, v10
	v_dual_ashrrev_i32 v10, 5, v10 :: v_dual_sub_nc_u32 v79, v8, v12
	s_delay_alu instid0(VALU_DEP_1) | instskip(NEXT) | instid1(VALU_DEP_1)
	v_lshlrev_b32_e32 v8, 4, v79
	v_lshl_add_u32 v8, v10, 9, v8
	v_cndmask_b32_e64 v9, 0, v9, s13
	v_cmp_lt_i32_e64 s13, 15, v77
	s_delay_alu instid0(VALU_DEP_3) | instskip(NEXT) | instid1(VALU_DEP_2)
	v_sub_nc_u32_e32 v89, v115, v8
	v_add_co_ci_u32_e64 v11, null, 0, v11, s13
	s_delay_alu instid0(VALU_DEP_1) | instskip(NEXT) | instid1(VALU_DEP_3)
	v_dual_add_nc_u32 v76, v9, v76 :: v_dual_sub_nc_u32 v88, v11, v10
	v_cmpx_lt_i32_e32 15, v89
	s_cbranch_execz .LBB2_736
; %bb.699:                              ;   in Loop: Header=BB2_583 Depth=2
	s_trap 2
	ds_load_b64 v[10:11], v0
	v_add_nc_u32_e32 v8, v8, v76
	s_mov_b32 s72, 0
	s_delay_alu instid0(VALU_DEP_1) | instskip(NEXT) | instid1(VALU_DEP_1)
	v_ashrrev_i32_e32 v9, 31, v8
	v_add_nc_u64_e32 v[44:45], v[8:9], v[40:41]
	v_add_nc_u64_e32 v[46:47], v[8:9], v[42:43]
	;; [unrolled: 1-line block ×3, first 2 shown]
	s_wait_dscnt 0x0
	v_add_nc_u64_e32 v[58:59], v[10:11], v[8:9]
.LBB2_700:                              ;   Parent Loop BB2_47 Depth=1
                                        ;     Parent Loop BB2_583 Depth=2
                                        ; =>    This Loop Header: Depth=3
                                        ;         Child Loop BB2_733 Depth 4
	global_load_b128 v[8:11], v[58:59], off th:TH_LOAD_NT
	global_load_b128 v[12:15], v[56:57], off th:TH_LOAD_NT
	s_wait_loadcnt 0x1
	v_lshlrev_b32_e32 v90, 16, v8
	s_wait_loadcnt 0x0
	v_lshlrev_b32_e32 v91, 16, v12
	s_delay_alu instid0(VALU_DEP_1) | instskip(NEXT) | instid1(VALU_DEP_1)
	v_mul_f32_e32 v91, v91, v90
	v_and_b32_e32 v90, 0x7f800000, v91
	s_delay_alu instid0(VALU_DEP_1) | instskip(SKIP_2) | instid1(SALU_CYCLE_1)
	v_cmp_ne_u32_e32 vcc_lo, 0x7f800000, v90
                                        ; implicit-def: $vgpr90
	s_wait_xcnt 0x0
	s_and_saveexec_b32 s14, vcc_lo
	s_xor_b32 s14, exec_lo, s14
; %bb.701:                              ;   in Loop: Header=BB2_700 Depth=3
	v_bfe_u32 v90, v91, 16, 1
	s_delay_alu instid0(VALU_DEP_1)
	v_add3_u32 v90, v91, v90, 0x7fff
                                        ; implicit-def: $vgpr91
; %bb.702:                              ;   in Loop: Header=BB2_700 Depth=3
	s_and_not1_saveexec_b32 s14, s14
; %bb.703:                              ;   in Loop: Header=BB2_700 Depth=3
	v_and_b32_e32 v90, 0xffff, v91
	v_or_b32_e32 v92, 0x10000, v91
	s_delay_alu instid0(VALU_DEP_2) | instskip(NEXT) | instid1(VALU_DEP_2)
	v_cmp_eq_u32_e32 vcc_lo, 0, v90
	v_cndmask_b32_e32 v90, v92, v91, vcc_lo
; %bb.704:                              ;   in Loop: Header=BB2_700 Depth=3
	s_or_b32 exec_lo, exec_lo, s14
	v_and_b32_e32 v8, 0xffff0000, v8
	v_and_b32_e32 v12, 0xffff0000, v12
	s_delay_alu instid0(VALU_DEP_1) | instskip(NEXT) | instid1(VALU_DEP_1)
	v_mul_f32_e32 v12, v12, v8
	v_and_b32_e32 v8, 0x7f800000, v12
	s_delay_alu instid0(VALU_DEP_1) | instskip(SKIP_1) | instid1(SALU_CYCLE_1)
	v_cmp_ne_u32_e32 vcc_lo, 0x7f800000, v8
                                        ; implicit-def: $vgpr8
	s_and_saveexec_b32 s14, vcc_lo
	s_xor_b32 s14, exec_lo, s14
; %bb.705:                              ;   in Loop: Header=BB2_700 Depth=3
	v_bfe_u32 v8, v12, 16, 1
	s_delay_alu instid0(VALU_DEP_1)
	v_add3_u32 v8, v12, v8, 0x7fff
                                        ; implicit-def: $vgpr12
; %bb.706:                              ;   in Loop: Header=BB2_700 Depth=3
	s_and_not1_saveexec_b32 s14, s14
; %bb.707:                              ;   in Loop: Header=BB2_700 Depth=3
	v_and_b32_e32 v8, 0xffff, v12
	v_or_b32_e32 v91, 0x10000, v12
	s_delay_alu instid0(VALU_DEP_2) | instskip(NEXT) | instid1(VALU_DEP_2)
	v_cmp_eq_u32_e32 vcc_lo, 0, v8
	v_cndmask_b32_e32 v8, v91, v12, vcc_lo
; %bb.708:                              ;   in Loop: Header=BB2_700 Depth=3
	s_or_b32 exec_lo, exec_lo, s14
	v_lshlrev_b32_e32 v12, 16, v9
	v_lshlrev_b32_e32 v91, 16, v13
	s_delay_alu instid0(VALU_DEP_1) | instskip(NEXT) | instid1(VALU_DEP_1)
	v_mul_f32_e32 v91, v91, v12
	v_and_b32_e32 v12, 0x7f800000, v91
	s_delay_alu instid0(VALU_DEP_1) | instskip(SKIP_1) | instid1(SALU_CYCLE_1)
	v_cmp_ne_u32_e32 vcc_lo, 0x7f800000, v12
                                        ; implicit-def: $vgpr12
	s_and_saveexec_b32 s14, vcc_lo
	s_xor_b32 s14, exec_lo, s14
; %bb.709:                              ;   in Loop: Header=BB2_700 Depth=3
	v_bfe_u32 v12, v91, 16, 1
	s_delay_alu instid0(VALU_DEP_1)
	v_add3_u32 v12, v91, v12, 0x7fff
                                        ; implicit-def: $vgpr91
; %bb.710:                              ;   in Loop: Header=BB2_700 Depth=3
	s_and_not1_saveexec_b32 s14, s14
; %bb.711:                              ;   in Loop: Header=BB2_700 Depth=3
	v_and_b32_e32 v12, 0xffff, v91
	v_or_b32_e32 v92, 0x10000, v91
	s_delay_alu instid0(VALU_DEP_2) | instskip(NEXT) | instid1(VALU_DEP_2)
	v_cmp_eq_u32_e32 vcc_lo, 0, v12
	v_cndmask_b32_e32 v12, v92, v91, vcc_lo
; %bb.712:                              ;   in Loop: Header=BB2_700 Depth=3
	s_or_b32 exec_lo, exec_lo, s14
	v_and_b32_e32 v13, 0xffff0000, v13
	v_and_b32_e32 v9, 0xffff0000, v9
	s_delay_alu instid0(VALU_DEP_1) | instskip(NEXT) | instid1(VALU_DEP_1)
	v_mul_f32_e32 v13, v13, v9
	v_and_b32_e32 v9, 0x7f800000, v13
	s_delay_alu instid0(VALU_DEP_1) | instskip(SKIP_1) | instid1(SALU_CYCLE_1)
	v_cmp_ne_u32_e32 vcc_lo, 0x7f800000, v9
                                        ; implicit-def: $vgpr9
	s_and_saveexec_b32 s14, vcc_lo
	s_xor_b32 s14, exec_lo, s14
; %bb.713:                              ;   in Loop: Header=BB2_700 Depth=3
	v_bfe_u32 v9, v13, 16, 1
	s_delay_alu instid0(VALU_DEP_1)
	v_add3_u32 v9, v13, v9, 0x7fff
                                        ; implicit-def: $vgpr13
; %bb.714:                              ;   in Loop: Header=BB2_700 Depth=3
	s_and_not1_saveexec_b32 s14, s14
; %bb.715:                              ;   in Loop: Header=BB2_700 Depth=3
	v_and_b32_e32 v9, 0xffff, v13
	v_or_b32_e32 v91, 0x10000, v13
	s_delay_alu instid0(VALU_DEP_2) | instskip(NEXT) | instid1(VALU_DEP_2)
	v_cmp_eq_u32_e32 vcc_lo, 0, v9
	v_cndmask_b32_e32 v9, v91, v13, vcc_lo
; %bb.716:                              ;   in Loop: Header=BB2_700 Depth=3
	s_or_b32 exec_lo, exec_lo, s14
	v_lshlrev_b32_e32 v13, 16, v10
	v_lshlrev_b32_e32 v91, 16, v14
	s_delay_alu instid0(VALU_DEP_1) | instskip(NEXT) | instid1(VALU_DEP_1)
	v_mul_f32_e32 v91, v91, v13
	v_and_b32_e32 v13, 0x7f800000, v91
	s_delay_alu instid0(VALU_DEP_1) | instskip(SKIP_1) | instid1(SALU_CYCLE_1)
	v_cmp_ne_u32_e32 vcc_lo, 0x7f800000, v13
                                        ; implicit-def: $vgpr13
	s_and_saveexec_b32 s14, vcc_lo
	s_xor_b32 s14, exec_lo, s14
; %bb.717:                              ;   in Loop: Header=BB2_700 Depth=3
	v_bfe_u32 v13, v91, 16, 1
	s_delay_alu instid0(VALU_DEP_1)
	v_add3_u32 v13, v91, v13, 0x7fff
                                        ; implicit-def: $vgpr91
; %bb.718:                              ;   in Loop: Header=BB2_700 Depth=3
	s_and_not1_saveexec_b32 s14, s14
; %bb.719:                              ;   in Loop: Header=BB2_700 Depth=3
	v_and_b32_e32 v13, 0xffff, v91
	v_or_b32_e32 v92, 0x10000, v91
	s_delay_alu instid0(VALU_DEP_2) | instskip(NEXT) | instid1(VALU_DEP_2)
	v_cmp_eq_u32_e32 vcc_lo, 0, v13
	v_cndmask_b32_e32 v13, v92, v91, vcc_lo
; %bb.720:                              ;   in Loop: Header=BB2_700 Depth=3
	s_or_b32 exec_lo, exec_lo, s14
	v_and_b32_e32 v14, 0xffff0000, v14
	v_and_b32_e32 v10, 0xffff0000, v10
	s_delay_alu instid0(VALU_DEP_1) | instskip(NEXT) | instid1(VALU_DEP_1)
	v_mul_f32_e32 v14, v14, v10
	v_and_b32_e32 v10, 0x7f800000, v14
	s_delay_alu instid0(VALU_DEP_1) | instskip(SKIP_1) | instid1(SALU_CYCLE_1)
	v_cmp_ne_u32_e32 vcc_lo, 0x7f800000, v10
                                        ; implicit-def: $vgpr10
	s_and_saveexec_b32 s14, vcc_lo
	s_xor_b32 s14, exec_lo, s14
; %bb.721:                              ;   in Loop: Header=BB2_700 Depth=3
	v_bfe_u32 v10, v14, 16, 1
	s_delay_alu instid0(VALU_DEP_1)
	v_add3_u32 v10, v14, v10, 0x7fff
                                        ; implicit-def: $vgpr14
; %bb.722:                              ;   in Loop: Header=BB2_700 Depth=3
	s_and_not1_saveexec_b32 s14, s14
; %bb.723:                              ;   in Loop: Header=BB2_700 Depth=3
	v_and_b32_e32 v10, 0xffff, v14
	v_or_b32_e32 v91, 0x10000, v14
	s_delay_alu instid0(VALU_DEP_2) | instskip(NEXT) | instid1(VALU_DEP_2)
	v_cmp_eq_u32_e32 vcc_lo, 0, v10
	v_cndmask_b32_e32 v10, v91, v14, vcc_lo
; %bb.724:                              ;   in Loop: Header=BB2_700 Depth=3
	s_or_b32 exec_lo, exec_lo, s14
	v_lshlrev_b32_e32 v14, 16, v11
	v_lshlrev_b32_e32 v91, 16, v15
	s_delay_alu instid0(VALU_DEP_1) | instskip(NEXT) | instid1(VALU_DEP_1)
	v_mul_f32_e32 v91, v91, v14
	v_and_b32_e32 v14, 0x7f800000, v91
	s_delay_alu instid0(VALU_DEP_1) | instskip(SKIP_1) | instid1(SALU_CYCLE_1)
	v_cmp_ne_u32_e32 vcc_lo, 0x7f800000, v14
                                        ; implicit-def: $vgpr14
	s_and_saveexec_b32 s14, vcc_lo
	s_xor_b32 s14, exec_lo, s14
; %bb.725:                              ;   in Loop: Header=BB2_700 Depth=3
	v_bfe_u32 v14, v91, 16, 1
	s_delay_alu instid0(VALU_DEP_1)
	v_add3_u32 v14, v91, v14, 0x7fff
                                        ; implicit-def: $vgpr91
; %bb.726:                              ;   in Loop: Header=BB2_700 Depth=3
	s_and_not1_saveexec_b32 s14, s14
; %bb.727:                              ;   in Loop: Header=BB2_700 Depth=3
	v_and_b32_e32 v14, 0xffff, v91
	v_or_b32_e32 v92, 0x10000, v91
	s_delay_alu instid0(VALU_DEP_2) | instskip(NEXT) | instid1(VALU_DEP_2)
	v_cmp_eq_u32_e32 vcc_lo, 0, v14
	v_cndmask_b32_e32 v14, v92, v91, vcc_lo
; %bb.728:                              ;   in Loop: Header=BB2_700 Depth=3
	s_or_b32 exec_lo, exec_lo, s14
	v_and_b32_e32 v15, 0xffff0000, v15
	v_and_b32_e32 v11, 0xffff0000, v11
	s_delay_alu instid0(VALU_DEP_1) | instskip(NEXT) | instid1(VALU_DEP_1)
	v_mul_f32_e32 v15, v15, v11
	v_and_b32_e32 v11, 0x7f800000, v15
	s_delay_alu instid0(VALU_DEP_1) | instskip(SKIP_1) | instid1(SALU_CYCLE_1)
	v_cmp_ne_u32_e32 vcc_lo, 0x7f800000, v11
                                        ; implicit-def: $vgpr11
	s_and_saveexec_b32 s14, vcc_lo
	s_xor_b32 s14, exec_lo, s14
; %bb.729:                              ;   in Loop: Header=BB2_700 Depth=3
	v_bfe_u32 v11, v15, 16, 1
	s_delay_alu instid0(VALU_DEP_1)
	v_add3_u32 v11, v15, v11, 0x7fff
                                        ; implicit-def: $vgpr15
; %bb.730:                              ;   in Loop: Header=BB2_700 Depth=3
	s_and_not1_saveexec_b32 s14, s14
; %bb.731:                              ;   in Loop: Header=BB2_700 Depth=3
	v_and_b32_e32 v11, 0xffff, v15
	v_or_b32_e32 v91, 0x10000, v15
	s_delay_alu instid0(VALU_DEP_2) | instskip(NEXT) | instid1(VALU_DEP_2)
	v_cmp_eq_u32_e32 vcc_lo, 0, v11
	v_cndmask_b32_e32 v11, v91, v15, vcc_lo
; %bb.732:                              ;   in Loop: Header=BB2_700 Depth=3
	s_or_b32 exec_lo, exec_lo, s14
	v_dual_lshrrev_b32 v12, 16, v12 :: v_dual_lshrrev_b32 v15, 16, v90
	v_dual_lshrrev_b32 v13, 16, v13 :: v_dual_lshrrev_b32 v14, 16, v14
	s_mov_b64 s[40:41], 0
	s_delay_alu instid0(VALU_DEP_2) | instskip(NEXT) | instid1(VALU_DEP_3)
	v_and_or_b32 v9, 0xffff0000, v9, v12
	v_and_or_b32 v8, 0xffff0000, v8, v15
	s_delay_alu instid0(VALU_DEP_3)
	v_and_or_b32 v10, 0xffff0000, v10, v13
	v_and_or_b32 v11, 0xffff0000, v11, v14
	s_mov_b32 s73, -1
.LBB2_733:                              ;   Parent Loop BB2_47 Depth=1
                                        ;     Parent Loop BB2_583 Depth=2
                                        ;       Parent Loop BB2_700 Depth=3
                                        ; =>      This Inner Loop Header: Depth=4
	s_cmp_eq_u32 s40, 1
	s_cselect_b32 vcc_lo, -1, 0
	s_cmp_eq_u32 s40, 0
	s_wait_xcnt 0x0
	v_dual_cndmask_b32 v13, v45, v47 :: v_dual_cndmask_b32 v12, v44, v46
	s_cselect_b32 s14, -1, 0
	s_and_b32 s15, exec_lo, s73
	s_mov_b64 s[40:41], 1
	s_mov_b32 s73, 0
	v_add_nc_u64_e32 v[14:15], 0x200, v[12:13]
	global_store_b128 v[12:13], v[8:11], off th:TH_STORE_NT
	v_dual_cndmask_b32 v47, v47, v15 :: v_dual_cndmask_b32 v46, v46, v14
	v_dual_cndmask_b32 v45, v45, v15, s14 :: v_dual_cndmask_b32 v44, v44, v14, s14
	s_mov_b32 vcc_lo, s15
	s_cbranch_vccnz .LBB2_733
; %bb.734:                              ;   in Loop: Header=BB2_700 Depth=3
	v_sub_nc_u32_e32 v89, v89, v64
	v_add_nc_u64_e32 v[56:57], v[56:57], v[82:83]
	v_add_nc_u64_e32 v[58:59], v[58:59], v[82:83]
	;; [unrolled: 1-line block ×4, first 2 shown]
	v_cmp_gt_i32_e32 vcc_lo, 16, v89
	v_sub_nc_u32_e32 v88, v88, v36
	s_or_b32 s72, vcc_lo, s72
	s_wait_xcnt 0x0
	s_and_not1_b32 exec_lo, exec_lo, s72
	s_cbranch_execnz .LBB2_700
; %bb.735:                              ;   in Loop: Header=BB2_583 Depth=2
	s_or_b32 exec_lo, exec_lo, s72
.LBB2_736:                              ;   in Loop: Header=BB2_583 Depth=2
	s_delay_alu instid0(SALU_CYCLE_1) | instskip(SKIP_3) | instid1(VALU_DEP_1)
	s_or_b32 exec_lo, exec_lo, s63
	v_dual_mov_b32 v44, 0 :: v_dual_bitop2_b32 v9, 14, v115 bitop3:0x40
	s_mov_b32 s14, 0
	s_mov_b32 s15, exec_lo
                                        ; implicit-def: $vgpr46
                                        ; implicit-def: $vgpr8
	v_cndmask_b32_e64 v45, v77, v9, s13
	s_delay_alu instid0(VALU_DEP_1)
	v_cmpx_ne_u32_e32 0, v45
	s_cbranch_execz .LBB2_738
; %bb.737:                              ;   in Loop: Header=BB2_583 Depth=2
	v_cmp_lt_i32_e32 vcc_lo, 0, v88
	s_mov_b32 s14, exec_lo
	v_dual_cndmask_b32 v8, 0, v36 :: v_dual_sub_nc_u32 v9, v77, v9
	s_delay_alu instid0(VALU_DEP_1) | instskip(NEXT) | instid1(VALU_DEP_1)
	v_dual_cndmask_b32 v9, 0, v9, s13 :: v_dual_sub_nc_u32 v8, v8, v88
	v_add3_u32 v44, v78, v76, v9
	s_delay_alu instid0(VALU_DEP_2) | instskip(NEXT) | instid1(VALU_DEP_1)
	v_lshl_add_u32 v46, v8, 5, v79
	v_ashrrev_i32_e32 v8, 31, v46
	s_delay_alu instid0(VALU_DEP_1) | instskip(NEXT) | instid1(VALU_DEP_1)
	v_lshrrev_b32_e32 v8, 27, v8
	v_add_nc_u32_e32 v8, v46, v8
	s_delay_alu instid0(VALU_DEP_1)
	v_ashrrev_i32_e32 v8, 5, v8
.LBB2_738:                              ;   in Loop: Header=BB2_583 Depth=2
	s_or_b32 exec_lo, exec_lo, s15
	s_delay_alu instid0(SALU_CYCLE_1)
	s_and_b32 s14, s14, exec_lo
.LBB2_739:                              ;   in Loop: Header=BB2_583 Depth=2
	s_or_b32 exec_lo, exec_lo, s62
	s_and_saveexec_b32 s15, s14
	s_cbranch_execz .LBB2_770
.LBB2_740:                              ;   in Loop: Header=BB2_583 Depth=2
	v_ashrrev_i32_e32 v9, 31, v45
	s_mov_b32 s13, exec_lo
	s_delay_alu instid0(VALU_DEP_1) | instskip(NEXT) | instid1(VALU_DEP_1)
	v_lshrrev_b32_e32 v9, 24, v9
	v_add_nc_u32_e32 v9, v45, v9
	s_delay_alu instid0(VALU_DEP_1) | instskip(NEXT) | instid1(VALU_DEP_1)
	v_dual_ashrrev_i32 v56, 8, v9 :: v_dual_ashrrev_i32 v9, 31, v46
	v_dual_sub_nc_u32 v115, v56, v8 :: v_dual_lshrrev_b32 v47, 27, v9
	s_delay_alu instid0(VALU_DEP_1)
	v_cmpx_lt_i32_e32 0, v115
	s_cbranch_execz .LBB2_760
; %bb.741:                              ;   in Loop: Header=BB2_583 Depth=2
	s_delay_alu instid0(VALU_DEP_2) | instskip(SKIP_4) | instid1(VALU_DEP_1)
	v_dual_add_nc_u32 v9, v46, v47 :: v_dual_lshlrev_b32 v8, 8, v8
	s_trap 2
	ds_load_b64 v[14:15], v0
	s_mov_b32 s14, 0
	v_and_b32_e32 v9, 0x7fffffe0, v9
	v_sub_nc_u32_e32 v9, v46, v9
	s_delay_alu instid0(VALU_DEP_1) | instskip(NEXT) | instid1(VALU_DEP_1)
	v_lshlrev_b32_e32 v9, 1, v9
	v_add3_u32 v58, v9, v44, v8
	s_delay_alu instid0(VALU_DEP_1) | instskip(NEXT) | instid1(VALU_DEP_1)
	v_ashrrev_i32_e32 v59, 31, v58
	v_add_nc_u64_e32 v[8:9], v[58:59], v[40:41]
	v_add_nc_u64_e32 v[10:11], v[58:59], v[42:43]
	;; [unrolled: 1-line block ×3, first 2 shown]
	s_wait_dscnt 0x0
	v_add_nc_u64_e32 v[14:15], v[14:15], v[58:59]
	s_branch .LBB2_743
.LBB2_742:                              ;   in Loop: Header=BB2_743 Depth=3
	s_or_b32 exec_lo, exec_lo, s40
	v_dual_lshrrev_b32 v57, 16, v57 :: v_dual_lshrrev_b32 v59, 16, v76
	v_dual_sub_nc_u32 v115, v115, v36 :: v_dual_lshrrev_b32 v76, 16, v77
	v_lshrrev_b32_e32 v58, 16, v58
	s_clause 0x3
	flat_store_b16 v[8:9], v57 th:TH_STORE_NT
	flat_store_b16 v[8:9], v59 offset:64 th:TH_STORE_NT
	flat_store_b16 v[8:9], v76 offset:128 th:TH_STORE_NT
	;; [unrolled: 1-line block ×3, first 2 shown]
	s_clause 0x3
	flat_store_b16 v[10:11], v57 th:TH_STORE_NT
	flat_store_b16 v[10:11], v59 offset:64 th:TH_STORE_NT
	flat_store_b16 v[10:11], v76 offset:128 th:TH_STORE_NT
	;; [unrolled: 1-line block ×3, first 2 shown]
	v_add_nc_u64_e32 v[12:13], v[12:13], v[66:67]
	v_add_nc_u64_e32 v[14:15], v[14:15], v[66:67]
	s_wait_xcnt 0x4
	v_add_nc_u64_e32 v[8:9], v[8:9], v[66:67]
	v_cmp_gt_i32_e32 vcc_lo, 1, v115
	s_wait_xcnt 0x0
	v_add_nc_u64_e32 v[10:11], v[10:11], v[66:67]
	s_or_b32 s14, vcc_lo, s14
	s_delay_alu instid0(SALU_CYCLE_1)
	s_and_not1_b32 exec_lo, exec_lo, s14
	s_cbranch_execz .LBB2_759
.LBB2_743:                              ;   Parent Loop BB2_47 Depth=1
                                        ;     Parent Loop BB2_583 Depth=2
                                        ; =>    This Inner Loop Header: Depth=3
	s_clause 0x2
	flat_load_u16 v77, v[12:13] offset:128 th:TH_LOAD_NT
	flat_load_u16 v58, v[12:13] offset:192 th:TH_LOAD_NT
	flat_load_u16 v57, v[12:13] th:TH_LOAD_NT
	s_clause 0x2
	flat_load_u16 v78, v[14:15] offset:128 th:TH_LOAD_NT
	flat_load_u16 v59, v[14:15] offset:192 th:TH_LOAD_NT
	flat_load_u16 v88, v[14:15] th:TH_LOAD_NT
	flat_load_u16 v76, v[12:13] offset:64 th:TH_LOAD_NT
	flat_load_u16 v79, v[14:15] offset:64 th:TH_LOAD_NT
	s_wait_loadcnt_dscnt 0x202
	v_dual_lshlrev_b32 v57, 16, v57 :: v_dual_lshlrev_b32 v88, 16, v88
	s_delay_alu instid0(VALU_DEP_1) | instskip(NEXT) | instid1(VALU_DEP_1)
	v_mul_f32_e32 v88, v88, v57
	v_and_b32_e32 v57, 0x7f800000, v88
	s_delay_alu instid0(VALU_DEP_1) | instskip(SKIP_2) | instid1(SALU_CYCLE_1)
	v_cmp_ne_u32_e32 vcc_lo, 0x7f800000, v57
                                        ; implicit-def: $vgpr57
	s_wait_xcnt 0x0
	s_and_saveexec_b32 s40, vcc_lo
	s_xor_b32 s40, exec_lo, s40
; %bb.744:                              ;   in Loop: Header=BB2_743 Depth=3
	v_bfe_u32 v57, v88, 16, 1
	s_delay_alu instid0(VALU_DEP_1)
	v_add3_u32 v57, v88, v57, 0x7fff
                                        ; implicit-def: $vgpr88
; %bb.745:                              ;   in Loop: Header=BB2_743 Depth=3
	s_and_not1_saveexec_b32 s40, s40
; %bb.746:                              ;   in Loop: Header=BB2_743 Depth=3
	v_and_b32_e32 v57, 0xffff, v88
	v_or_b32_e32 v89, 0x10000, v88
	s_delay_alu instid0(VALU_DEP_2) | instskip(NEXT) | instid1(VALU_DEP_2)
	v_cmp_eq_u32_e32 vcc_lo, 0, v57
	v_cndmask_b32_e32 v57, v89, v88, vcc_lo
; %bb.747:                              ;   in Loop: Header=BB2_743 Depth=3
	s_or_b32 exec_lo, exec_lo, s40
	s_wait_loadcnt_dscnt 0x0
	v_dual_lshlrev_b32 v76, 16, v76 :: v_dual_lshlrev_b32 v79, 16, v79
	s_delay_alu instid0(VALU_DEP_1) | instskip(NEXT) | instid1(VALU_DEP_1)
	v_mul_f32_e32 v79, v79, v76
	v_and_b32_e32 v76, 0x7f800000, v79
	s_delay_alu instid0(VALU_DEP_1) | instskip(SKIP_1) | instid1(SALU_CYCLE_1)
	v_cmp_ne_u32_e32 vcc_lo, 0x7f800000, v76
                                        ; implicit-def: $vgpr76
	s_and_saveexec_b32 s40, vcc_lo
	s_xor_b32 s40, exec_lo, s40
; %bb.748:                              ;   in Loop: Header=BB2_743 Depth=3
	v_bfe_u32 v76, v79, 16, 1
	s_delay_alu instid0(VALU_DEP_1)
	v_add3_u32 v76, v79, v76, 0x7fff
                                        ; implicit-def: $vgpr79
; %bb.749:                              ;   in Loop: Header=BB2_743 Depth=3
	s_and_not1_saveexec_b32 s40, s40
; %bb.750:                              ;   in Loop: Header=BB2_743 Depth=3
	v_and_b32_e32 v76, 0xffff, v79
	v_or_b32_e32 v88, 0x10000, v79
	s_delay_alu instid0(VALU_DEP_2) | instskip(NEXT) | instid1(VALU_DEP_2)
	v_cmp_eq_u32_e32 vcc_lo, 0, v76
	v_cndmask_b32_e32 v76, v88, v79, vcc_lo
; %bb.751:                              ;   in Loop: Header=BB2_743 Depth=3
	s_or_b32 exec_lo, exec_lo, s40
	v_dual_lshlrev_b32 v77, 16, v77 :: v_dual_lshlrev_b32 v78, 16, v78
	s_delay_alu instid0(VALU_DEP_1) | instskip(NEXT) | instid1(VALU_DEP_1)
	v_mul_f32_e32 v78, v78, v77
	v_and_b32_e32 v77, 0x7f800000, v78
	s_delay_alu instid0(VALU_DEP_1) | instskip(SKIP_1) | instid1(SALU_CYCLE_1)
	v_cmp_ne_u32_e32 vcc_lo, 0x7f800000, v77
                                        ; implicit-def: $vgpr77
	s_and_saveexec_b32 s40, vcc_lo
	s_xor_b32 s40, exec_lo, s40
; %bb.752:                              ;   in Loop: Header=BB2_743 Depth=3
	v_bfe_u32 v77, v78, 16, 1
	s_delay_alu instid0(VALU_DEP_1)
	v_add3_u32 v77, v78, v77, 0x7fff
                                        ; implicit-def: $vgpr78
; %bb.753:                              ;   in Loop: Header=BB2_743 Depth=3
	s_and_not1_saveexec_b32 s40, s40
; %bb.754:                              ;   in Loop: Header=BB2_743 Depth=3
	v_and_b32_e32 v77, 0xffff, v78
	v_or_b32_e32 v79, 0x10000, v78
	s_delay_alu instid0(VALU_DEP_2) | instskip(NEXT) | instid1(VALU_DEP_2)
	v_cmp_eq_u32_e32 vcc_lo, 0, v77
	v_cndmask_b32_e32 v77, v79, v78, vcc_lo
; %bb.755:                              ;   in Loop: Header=BB2_743 Depth=3
	s_or_b32 exec_lo, exec_lo, s40
	v_dual_lshlrev_b32 v58, 16, v58 :: v_dual_lshlrev_b32 v59, 16, v59
	s_delay_alu instid0(VALU_DEP_1) | instskip(NEXT) | instid1(VALU_DEP_1)
	v_mul_f32_e32 v59, v59, v58
	v_and_b32_e32 v58, 0x7f800000, v59
	s_delay_alu instid0(VALU_DEP_1) | instskip(SKIP_1) | instid1(SALU_CYCLE_1)
	v_cmp_ne_u32_e32 vcc_lo, 0x7f800000, v58
                                        ; implicit-def: $vgpr58
	s_and_saveexec_b32 s40, vcc_lo
	s_xor_b32 s40, exec_lo, s40
; %bb.756:                              ;   in Loop: Header=BB2_743 Depth=3
	v_bfe_u32 v58, v59, 16, 1
	s_delay_alu instid0(VALU_DEP_1)
	v_add3_u32 v58, v59, v58, 0x7fff
                                        ; implicit-def: $vgpr59
; %bb.757:                              ;   in Loop: Header=BB2_743 Depth=3
	s_and_not1_saveexec_b32 s40, s40
	s_cbranch_execz .LBB2_742
; %bb.758:                              ;   in Loop: Header=BB2_743 Depth=3
	v_and_b32_e32 v58, 0xffff, v59
	v_or_b32_e32 v78, 0x10000, v59
	s_delay_alu instid0(VALU_DEP_2) | instskip(NEXT) | instid1(VALU_DEP_2)
	v_cmp_eq_u32_e32 vcc_lo, 0, v58
	v_cndmask_b32_e32 v58, v78, v59, vcc_lo
	s_branch .LBB2_742
.LBB2_759:                              ;   in Loop: Header=BB2_583 Depth=2
	s_or_b32 exec_lo, exec_lo, s14
.LBB2_760:                              ;   in Loop: Header=BB2_583 Depth=2
	s_delay_alu instid0(SALU_CYCLE_1) | instskip(SKIP_1) | instid1(VALU_DEP_1)
	s_or_b32 exec_lo, exec_lo, s13
	v_lshlrev_b32_e32 v8, 8, v56
	v_cmp_ne_u32_e32 vcc_lo, v45, v8
	s_and_b32 exec_lo, exec_lo, vcc_lo
	s_cbranch_execz .LBB2_770
; %bb.761:                              ;   in Loop: Header=BB2_583 Depth=2
	v_add_nc_u32_e32 v9, v46, v47
	v_lshlrev_b32_e32 v10, 5, v115
	s_delay_alu instid0(VALU_DEP_2) | instskip(NEXT) | instid1(VALU_DEP_1)
	v_and_b32_e32 v9, 0xffffffe0, v9
	v_sub_nc_u32_e32 v9, v46, v9
	s_delay_alu instid0(VALU_DEP_1) | instskip(NEXT) | instid1(VALU_DEP_1)
	v_sub_nc_u32_e32 v9, v9, v10
	v_ashrrev_i32_e32 v10, 31, v9
	s_delay_alu instid0(VALU_DEP_1) | instskip(NEXT) | instid1(VALU_DEP_1)
	v_lshrrev_b32_e32 v10, 27, v10
	v_add_nc_u32_e32 v10, v9, v10
	s_delay_alu instid0(VALU_DEP_1) | instskip(NEXT) | instid1(VALU_DEP_1)
	v_and_b32_e32 v11, 0x7fffffe0, v10
	v_dual_lshlrev_b32 v10, 1, v10 :: v_dual_sub_nc_u32 v9, v9, v11
	s_delay_alu instid0(VALU_DEP_1) | instskip(NEXT) | instid1(VALU_DEP_2)
	v_and_b32_e32 v10, 0xffffffc0, v10
	v_lshlrev_b32_e32 v9, 1, v9
	s_delay_alu instid0(VALU_DEP_1) | instskip(NEXT) | instid1(VALU_DEP_1)
	v_add3_u32 v8, v10, v9, v8
	v_sub_nc_u32_e32 v115, v45, v8
	s_delay_alu instid0(VALU_DEP_1)
	v_cmp_lt_i32_e32 vcc_lo, 1, v115
	s_and_b32 exec_lo, exec_lo, vcc_lo
	s_cbranch_execz .LBB2_770
; %bb.762:                              ;   in Loop: Header=BB2_583 Depth=2
	s_trap 2
	ds_load_b64 v[14:15], v0
	v_add_nc_u32_e32 v44, v8, v44
	s_mov_b32 s62, 0
	s_delay_alu instid0(VALU_DEP_1) | instskip(NEXT) | instid1(VALU_DEP_1)
	v_ashrrev_i32_e32 v45, 31, v44
	v_add_nc_u64_e32 v[8:9], v[44:45], v[40:41]
	v_add_nc_u64_e32 v[10:11], v[44:45], v[42:43]
	;; [unrolled: 1-line block ×3, first 2 shown]
	s_wait_dscnt 0x0
	v_add_nc_u64_e32 v[14:15], v[14:15], v[44:45]
.LBB2_763:                              ;   Parent Loop BB2_47 Depth=1
                                        ;     Parent Loop BB2_583 Depth=2
                                        ; =>    This Loop Header: Depth=3
                                        ;         Child Loop BB2_768 Depth 4
	flat_load_u16 v42, v[12:13] th:TH_LOAD_NT
	flat_load_u16 v43, v[14:15] th:TH_LOAD_NT
	s_wait_loadcnt_dscnt 0x0
	v_dual_lshlrev_b32 v42, 16, v42 :: v_dual_lshlrev_b32 v43, 16, v43
	s_delay_alu instid0(VALU_DEP_1) | instskip(NEXT) | instid1(VALU_DEP_1)
	v_mul_f32_e32 v42, v43, v42
	v_and_b32_e32 v43, 0x7f800000, v42
	s_delay_alu instid0(VALU_DEP_1) | instskip(SKIP_2) | instid1(SALU_CYCLE_1)
	v_cmp_ne_u32_e32 vcc_lo, 0x7f800000, v43
                                        ; implicit-def: $vgpr43
	s_wait_xcnt 0x0
	s_and_saveexec_b32 s13, vcc_lo
	s_xor_b32 s13, exec_lo, s13
; %bb.764:                              ;   in Loop: Header=BB2_763 Depth=3
	v_bfe_u32 v43, v42, 16, 1
	s_delay_alu instid0(VALU_DEP_1)
	v_add3_u32 v43, v42, v43, 0x7fff
                                        ; implicit-def: $vgpr42
; %bb.765:                              ;   in Loop: Header=BB2_763 Depth=3
	s_and_not1_saveexec_b32 s13, s13
; %bb.766:                              ;   in Loop: Header=BB2_763 Depth=3
	v_and_b32_e32 v43, 0xffff, v42
	v_or_b32_e32 v44, 0x10000, v42
	s_delay_alu instid0(VALU_DEP_2) | instskip(NEXT) | instid1(VALU_DEP_2)
	v_cmp_eq_u32_e32 vcc_lo, 0, v43
	v_cndmask_b32_e32 v43, v44, v42, vcc_lo
; %bb.767:                              ;   in Loop: Header=BB2_763 Depth=3
	s_or_b32 exec_lo, exec_lo, s13
	s_delay_alu instid0(VALU_DEP_1)
	v_lshrrev_b32_e32 v42, 16, v43
	s_mov_b64 s[40:41], 0
	s_mov_b32 s63, -1
.LBB2_768:                              ;   Parent Loop BB2_47 Depth=1
                                        ;     Parent Loop BB2_583 Depth=2
                                        ;       Parent Loop BB2_763 Depth=3
                                        ; =>      This Inner Loop Header: Depth=4
	s_cmp_eq_u32 s40, 1
	s_cselect_b32 vcc_lo, -1, 0
	s_cmp_eq_u32 s40, 0
	s_wait_xcnt 0x0
	v_dual_cndmask_b32 v45, v9, v11 :: v_dual_cndmask_b32 v44, v8, v10
	s_cselect_b32 s13, -1, 0
	s_and_b32 s14, exec_lo, s63
	s_mov_b64 s[40:41], 1
	s_mov_b32 s63, 0
	v_add_nc_u64_e32 v[46:47], 64, v[44:45]
	flat_store_b16 v[44:45], v42 th:TH_STORE_NT
	v_dual_cndmask_b32 v11, v11, v47 :: v_dual_cndmask_b32 v10, v10, v46
	v_dual_cndmask_b32 v9, v9, v47, s13 :: v_dual_cndmask_b32 v8, v8, v46, s13
	s_mov_b32 vcc_lo, s14
	s_cbranch_vccnz .LBB2_768
; %bb.769:                              ;   in Loop: Header=BB2_763 Depth=3
	v_sub_nc_u32_e32 v115, v115, v68
	v_add_nc_u64_e32 v[12:13], v[12:13], v[84:85]
	v_add_nc_u64_e32 v[14:15], v[14:15], v[84:85]
	;; [unrolled: 1-line block ×4, first 2 shown]
	v_cmp_gt_i32_e32 vcc_lo, 2, v115
	s_or_b32 s62, vcc_lo, s62
	s_wait_xcnt 0x0
	s_and_not1_b32 exec_lo, exec_lo, s62
	s_cbranch_execnz .LBB2_763
.LBB2_770:                              ;   in Loop: Header=BB2_583 Depth=2
	s_or_b32 exec_lo, exec_lo, s15
	s_mov_b32 s13, 0
.LBB2_771:                              ;   in Loop: Header=BB2_583 Depth=2
	s_delay_alu instid0(SALU_CYCLE_1)
	s_and_b32 vcc_lo, exec_lo, s13
	s_cbranch_vccz .LBB2_884
; %bb.772:                              ;   in Loop: Header=BB2_583 Depth=2
	s_mov_b32 s13, -1
	s_and_saveexec_b32 s14, s12
	s_cbranch_execz .LBB2_774
; %bb.773:                              ;   in Loop: Header=BB2_583 Depth=2
	ds_load_b32 v8, v0 offset:720
	s_wait_dscnt 0x0
	v_and_b32_e32 v8, 15, v8
	s_delay_alu instid0(VALU_DEP_1)
	v_cmp_eq_u32_e32 vcc_lo, 0, v8
	s_or_not1_b32 s13, vcc_lo, exec_lo
.LBB2_774:                              ;   in Loop: Header=BB2_583 Depth=2
	s_or_b32 exec_lo, exec_lo, s14
	s_and_saveexec_b32 s14, s10
	s_cbranch_execz .LBB2_776
; %bb.775:                              ;   in Loop: Header=BB2_583 Depth=2
	ds_load_b32 v8, v0 offset:784
	s_wait_dscnt 0x0
	v_and_b32_e32 v8, 15, v8
	s_delay_alu instid0(VALU_DEP_1) | instskip(SKIP_3) | instid1(SALU_CYCLE_1)
	v_cmp_eq_u32_e32 vcc_lo, 0, v8
	s_and_b32 s15, s13, vcc_lo
	s_and_not1_b32 s13, s13, exec_lo
	s_and_b32 s15, s15, exec_lo
	s_or_b32 s13, s13, s15
.LBB2_776:                              ;   in Loop: Header=BB2_583 Depth=2
	s_or_b32 exec_lo, exec_lo, s14
	s_xor_b32 s13, s13, -1
	v_mov_b32_e32 v14, 0
	v_cndmask_b32_e64 v8, 0, 1, s13
	s_mov_b32 s15, -1
	s_delay_alu instid0(VALU_DEP_1)
	v_cmp_ne_u32_e32 vcc_lo, 0, v8
	s_cbranch_vccz .LBB2_778
; %bb.777:                              ;   in Loop: Header=BB2_583 Depth=2
	v_dual_mov_b32 v15, v0 :: v_dual_mov_b32 v8, v72
	s_and_saveexec_b32 s13, s15
	s_cbranch_execnz .LBB2_855
	s_branch .LBB2_883
.LBB2_778:                              ;   in Loop: Header=BB2_583 Depth=2
	v_dual_ashrrev_i32 v8, 31, v113 :: v_dual_sub_nc_u32 v115, v113, v48
	s_mov_b32 s14, exec_lo
	s_delay_alu instid0(VALU_DEP_1) | instskip(NEXT) | instid1(VALU_DEP_1)
	v_lshrrev_b32_e32 v8, 23, v8
	v_add_nc_u32_e32 v8, v113, v8
	s_delay_alu instid0(VALU_DEP_1) | instskip(SKIP_1) | instid1(VALU_DEP_2)
	v_and_b32_e32 v56, 0xfffffe00, v8
	v_ashrrev_i32_e32 v8, 9, v8
	v_sub_nc_u32_e32 v57, v113, v56
	s_delay_alu instid0(VALU_DEP_1) | instskip(NEXT) | instid1(VALU_DEP_3)
	v_cmp_lt_i32_e32 vcc_lo, 15, v57
	v_add_co_ci_u32_e64 v58, null, v8, v74, vcc_lo
	v_cmpx_lt_i32_e32 15, v115
	s_cbranch_execz .LBB2_814
; %bb.779:                              ;   in Loop: Header=BB2_583 Depth=2
	s_trap 2
	ds_load_b64 v[8:9], v0
	v_add_nc_u64_e32 v[42:43], v[118:119], v[48:49]
	v_add_nc_u64_e32 v[46:47], v[40:41], v[48:49]
	s_mov_b32 s15, 0
	s_wait_dscnt 0x0
	v_add_nc_u64_e32 v[44:45], v[8:9], v[48:49]
	s_branch .LBB2_781
.LBB2_780:                              ;   in Loop: Header=BB2_781 Depth=3
	s_or_b32 exec_lo, exec_lo, s40
	v_dual_lshrrev_b32 v12, 16, v12 :: v_dual_lshrrev_b32 v15, 16, v59
	v_dual_lshrrev_b32 v13, 16, v13 :: v_dual_lshrrev_b32 v14, 16, v14
	v_sub_nc_u32_e32 v115, v115, v64
	s_delay_alu instid0(VALU_DEP_3) | instskip(NEXT) | instid1(VALU_DEP_4)
	v_and_or_b32 v9, 0xffff0000, v9, v12
	v_and_or_b32 v8, 0xffff0000, v8, v15
	s_delay_alu instid0(VALU_DEP_4)
	v_and_or_b32 v10, 0xffff0000, v10, v13
	v_and_or_b32 v11, 0xffff0000, v11, v14
	v_add_nc_u64_e32 v[42:43], v[42:43], v[64:65]
	v_add_nc_u64_e32 v[44:45], v[44:45], v[64:65]
	v_cmp_gt_i32_e64 s13, 16, v115
	v_sub_nc_u32_e32 v58, v58, v36
	global_store_b128 v[46:47], v[8:11], off th:TH_STORE_NT
	s_wait_xcnt 0x0
	v_add_nc_u64_e32 v[46:47], v[46:47], v[64:65]
	s_or_b32 s15, s13, s15
	s_delay_alu instid0(SALU_CYCLE_1)
	s_and_not1_b32 exec_lo, exec_lo, s15
	s_cbranch_execz .LBB2_813
.LBB2_781:                              ;   Parent Loop BB2_47 Depth=1
                                        ;     Parent Loop BB2_583 Depth=2
                                        ; =>    This Inner Loop Header: Depth=3
	global_load_b128 v[8:11], v[44:45], off th:TH_LOAD_NT
	global_load_b128 v[12:15], v[42:43], off th:TH_LOAD_NT
	s_wait_loadcnt 0x1
	v_lshlrev_b32_e32 v59, 16, v8
	s_wait_loadcnt 0x0
	v_lshlrev_b32_e32 v76, 16, v12
	s_delay_alu instid0(VALU_DEP_1) | instskip(NEXT) | instid1(VALU_DEP_1)
	v_mul_f32_e32 v76, v76, v59
	v_and_b32_e32 v59, 0x7f800000, v76
	s_delay_alu instid0(VALU_DEP_1) | instskip(SKIP_2) | instid1(SALU_CYCLE_1)
	v_cmp_ne_u32_e64 s13, 0x7f800000, v59
                                        ; implicit-def: $vgpr59
	s_wait_xcnt 0x0
	s_and_saveexec_b32 s40, s13
	s_xor_b32 s13, exec_lo, s40
; %bb.782:                              ;   in Loop: Header=BB2_781 Depth=3
	v_bfe_u32 v59, v76, 16, 1
	s_delay_alu instid0(VALU_DEP_1)
	v_add3_u32 v59, v76, v59, 0x7fff
                                        ; implicit-def: $vgpr76
; %bb.783:                              ;   in Loop: Header=BB2_781 Depth=3
	s_and_not1_saveexec_b32 s40, s13
; %bb.784:                              ;   in Loop: Header=BB2_781 Depth=3
	v_and_b32_e32 v59, 0xffff, v76
	v_or_b32_e32 v77, 0x10000, v76
	s_delay_alu instid0(VALU_DEP_2) | instskip(NEXT) | instid1(VALU_DEP_1)
	v_cmp_eq_u32_e64 s13, 0, v59
	v_cndmask_b32_e64 v59, v77, v76, s13
; %bb.785:                              ;   in Loop: Header=BB2_781 Depth=3
	s_or_b32 exec_lo, exec_lo, s40
	v_and_b32_e32 v8, 0xffff0000, v8
	v_and_b32_e32 v12, 0xffff0000, v12
	s_delay_alu instid0(VALU_DEP_1) | instskip(NEXT) | instid1(VALU_DEP_1)
	v_mul_f32_e32 v12, v12, v8
	v_and_b32_e32 v8, 0x7f800000, v12
	s_delay_alu instid0(VALU_DEP_1) | instskip(SKIP_1) | instid1(SALU_CYCLE_1)
	v_cmp_ne_u32_e64 s13, 0x7f800000, v8
                                        ; implicit-def: $vgpr8
	s_and_saveexec_b32 s40, s13
	s_xor_b32 s13, exec_lo, s40
; %bb.786:                              ;   in Loop: Header=BB2_781 Depth=3
	v_bfe_u32 v8, v12, 16, 1
	s_delay_alu instid0(VALU_DEP_1)
	v_add3_u32 v8, v12, v8, 0x7fff
                                        ; implicit-def: $vgpr12
; %bb.787:                              ;   in Loop: Header=BB2_781 Depth=3
	s_and_not1_saveexec_b32 s40, s13
; %bb.788:                              ;   in Loop: Header=BB2_781 Depth=3
	v_and_b32_e32 v8, 0xffff, v12
	v_or_b32_e32 v76, 0x10000, v12
	s_delay_alu instid0(VALU_DEP_2) | instskip(NEXT) | instid1(VALU_DEP_1)
	v_cmp_eq_u32_e64 s13, 0, v8
	v_cndmask_b32_e64 v8, v76, v12, s13
; %bb.789:                              ;   in Loop: Header=BB2_781 Depth=3
	s_or_b32 exec_lo, exec_lo, s40
	v_lshlrev_b32_e32 v12, 16, v9
	v_lshlrev_b32_e32 v76, 16, v13
	s_delay_alu instid0(VALU_DEP_1) | instskip(NEXT) | instid1(VALU_DEP_1)
	v_mul_f32_e32 v76, v76, v12
	v_and_b32_e32 v12, 0x7f800000, v76
	s_delay_alu instid0(VALU_DEP_1) | instskip(SKIP_1) | instid1(SALU_CYCLE_1)
	v_cmp_ne_u32_e64 s13, 0x7f800000, v12
                                        ; implicit-def: $vgpr12
	s_and_saveexec_b32 s40, s13
	s_xor_b32 s13, exec_lo, s40
; %bb.790:                              ;   in Loop: Header=BB2_781 Depth=3
	v_bfe_u32 v12, v76, 16, 1
	s_delay_alu instid0(VALU_DEP_1)
	v_add3_u32 v12, v76, v12, 0x7fff
                                        ; implicit-def: $vgpr76
; %bb.791:                              ;   in Loop: Header=BB2_781 Depth=3
	s_and_not1_saveexec_b32 s40, s13
; %bb.792:                              ;   in Loop: Header=BB2_781 Depth=3
	v_and_b32_e32 v12, 0xffff, v76
	v_or_b32_e32 v77, 0x10000, v76
	s_delay_alu instid0(VALU_DEP_2) | instskip(NEXT) | instid1(VALU_DEP_1)
	v_cmp_eq_u32_e64 s13, 0, v12
	v_cndmask_b32_e64 v12, v77, v76, s13
; %bb.793:                              ;   in Loop: Header=BB2_781 Depth=3
	s_or_b32 exec_lo, exec_lo, s40
	v_and_b32_e32 v13, 0xffff0000, v13
	v_and_b32_e32 v9, 0xffff0000, v9
	s_delay_alu instid0(VALU_DEP_1) | instskip(NEXT) | instid1(VALU_DEP_1)
	v_mul_f32_e32 v13, v13, v9
	v_and_b32_e32 v9, 0x7f800000, v13
	s_delay_alu instid0(VALU_DEP_1) | instskip(SKIP_1) | instid1(SALU_CYCLE_1)
	v_cmp_ne_u32_e64 s13, 0x7f800000, v9
                                        ; implicit-def: $vgpr9
	s_and_saveexec_b32 s40, s13
	s_xor_b32 s13, exec_lo, s40
; %bb.794:                              ;   in Loop: Header=BB2_781 Depth=3
	v_bfe_u32 v9, v13, 16, 1
	s_delay_alu instid0(VALU_DEP_1)
	v_add3_u32 v9, v13, v9, 0x7fff
                                        ; implicit-def: $vgpr13
; %bb.795:                              ;   in Loop: Header=BB2_781 Depth=3
	s_and_not1_saveexec_b32 s40, s13
; %bb.796:                              ;   in Loop: Header=BB2_781 Depth=3
	v_and_b32_e32 v9, 0xffff, v13
	v_or_b32_e32 v76, 0x10000, v13
	s_delay_alu instid0(VALU_DEP_2) | instskip(NEXT) | instid1(VALU_DEP_1)
	v_cmp_eq_u32_e64 s13, 0, v9
	v_cndmask_b32_e64 v9, v76, v13, s13
; %bb.797:                              ;   in Loop: Header=BB2_781 Depth=3
	s_or_b32 exec_lo, exec_lo, s40
	v_lshlrev_b32_e32 v13, 16, v10
	v_lshlrev_b32_e32 v76, 16, v14
	s_delay_alu instid0(VALU_DEP_1) | instskip(NEXT) | instid1(VALU_DEP_1)
	v_mul_f32_e32 v76, v76, v13
	v_and_b32_e32 v13, 0x7f800000, v76
	s_delay_alu instid0(VALU_DEP_1) | instskip(SKIP_1) | instid1(SALU_CYCLE_1)
	v_cmp_ne_u32_e64 s13, 0x7f800000, v13
                                        ; implicit-def: $vgpr13
	s_and_saveexec_b32 s40, s13
	s_xor_b32 s13, exec_lo, s40
; %bb.798:                              ;   in Loop: Header=BB2_781 Depth=3
	v_bfe_u32 v13, v76, 16, 1
	s_delay_alu instid0(VALU_DEP_1)
	v_add3_u32 v13, v76, v13, 0x7fff
                                        ; implicit-def: $vgpr76
; %bb.799:                              ;   in Loop: Header=BB2_781 Depth=3
	s_and_not1_saveexec_b32 s40, s13
; %bb.800:                              ;   in Loop: Header=BB2_781 Depth=3
	v_and_b32_e32 v13, 0xffff, v76
	v_or_b32_e32 v77, 0x10000, v76
	s_delay_alu instid0(VALU_DEP_2) | instskip(NEXT) | instid1(VALU_DEP_1)
	v_cmp_eq_u32_e64 s13, 0, v13
	v_cndmask_b32_e64 v13, v77, v76, s13
; %bb.801:                              ;   in Loop: Header=BB2_781 Depth=3
	s_or_b32 exec_lo, exec_lo, s40
	v_and_b32_e32 v14, 0xffff0000, v14
	v_and_b32_e32 v10, 0xffff0000, v10
	s_delay_alu instid0(VALU_DEP_1) | instskip(NEXT) | instid1(VALU_DEP_1)
	v_mul_f32_e32 v14, v14, v10
	v_and_b32_e32 v10, 0x7f800000, v14
	s_delay_alu instid0(VALU_DEP_1) | instskip(SKIP_1) | instid1(SALU_CYCLE_1)
	v_cmp_ne_u32_e64 s13, 0x7f800000, v10
                                        ; implicit-def: $vgpr10
	s_and_saveexec_b32 s40, s13
	s_xor_b32 s13, exec_lo, s40
; %bb.802:                              ;   in Loop: Header=BB2_781 Depth=3
	v_bfe_u32 v10, v14, 16, 1
	s_delay_alu instid0(VALU_DEP_1)
	v_add3_u32 v10, v14, v10, 0x7fff
                                        ; implicit-def: $vgpr14
; %bb.803:                              ;   in Loop: Header=BB2_781 Depth=3
	s_and_not1_saveexec_b32 s40, s13
; %bb.804:                              ;   in Loop: Header=BB2_781 Depth=3
	v_and_b32_e32 v10, 0xffff, v14
	v_or_b32_e32 v76, 0x10000, v14
	s_delay_alu instid0(VALU_DEP_2) | instskip(NEXT) | instid1(VALU_DEP_1)
	v_cmp_eq_u32_e64 s13, 0, v10
	v_cndmask_b32_e64 v10, v76, v14, s13
; %bb.805:                              ;   in Loop: Header=BB2_781 Depth=3
	s_or_b32 exec_lo, exec_lo, s40
	v_lshlrev_b32_e32 v14, 16, v11
	v_lshlrev_b32_e32 v76, 16, v15
	s_delay_alu instid0(VALU_DEP_1) | instskip(NEXT) | instid1(VALU_DEP_1)
	v_mul_f32_e32 v76, v76, v14
	v_and_b32_e32 v14, 0x7f800000, v76
	s_delay_alu instid0(VALU_DEP_1) | instskip(SKIP_1) | instid1(SALU_CYCLE_1)
	v_cmp_ne_u32_e64 s13, 0x7f800000, v14
                                        ; implicit-def: $vgpr14
	s_and_saveexec_b32 s40, s13
	s_xor_b32 s13, exec_lo, s40
; %bb.806:                              ;   in Loop: Header=BB2_781 Depth=3
	v_bfe_u32 v14, v76, 16, 1
	s_delay_alu instid0(VALU_DEP_1)
	v_add3_u32 v14, v76, v14, 0x7fff
                                        ; implicit-def: $vgpr76
; %bb.807:                              ;   in Loop: Header=BB2_781 Depth=3
	s_and_not1_saveexec_b32 s40, s13
; %bb.808:                              ;   in Loop: Header=BB2_781 Depth=3
	v_and_b32_e32 v14, 0xffff, v76
	v_or_b32_e32 v77, 0x10000, v76
	s_delay_alu instid0(VALU_DEP_2) | instskip(NEXT) | instid1(VALU_DEP_1)
	v_cmp_eq_u32_e64 s13, 0, v14
	v_cndmask_b32_e64 v14, v77, v76, s13
; %bb.809:                              ;   in Loop: Header=BB2_781 Depth=3
	s_or_b32 exec_lo, exec_lo, s40
	v_and_b32_e32 v15, 0xffff0000, v15
	v_and_b32_e32 v11, 0xffff0000, v11
	s_delay_alu instid0(VALU_DEP_1) | instskip(NEXT) | instid1(VALU_DEP_1)
	v_mul_f32_e32 v15, v15, v11
	v_and_b32_e32 v11, 0x7f800000, v15
	s_delay_alu instid0(VALU_DEP_1) | instskip(SKIP_1) | instid1(SALU_CYCLE_1)
	v_cmp_ne_u32_e64 s13, 0x7f800000, v11
                                        ; implicit-def: $vgpr11
	s_and_saveexec_b32 s40, s13
	s_xor_b32 s13, exec_lo, s40
; %bb.810:                              ;   in Loop: Header=BB2_781 Depth=3
	v_bfe_u32 v11, v15, 16, 1
	s_delay_alu instid0(VALU_DEP_1)
	v_add3_u32 v11, v15, v11, 0x7fff
                                        ; implicit-def: $vgpr15
; %bb.811:                              ;   in Loop: Header=BB2_781 Depth=3
	s_and_not1_saveexec_b32 s40, s13
	s_cbranch_execz .LBB2_780
; %bb.812:                              ;   in Loop: Header=BB2_781 Depth=3
	v_and_b32_e32 v11, 0xffff, v15
	v_or_b32_e32 v76, 0x10000, v15
	s_delay_alu instid0(VALU_DEP_2) | instskip(NEXT) | instid1(VALU_DEP_1)
	v_cmp_eq_u32_e64 s13, 0, v11
	v_cndmask_b32_e64 v11, v76, v15, s13
	s_branch .LBB2_780
.LBB2_813:                              ;   in Loop: Header=BB2_583 Depth=2
	s_or_b32 exec_lo, exec_lo, s15
.LBB2_814:                              ;   in Loop: Header=BB2_583 Depth=2
	s_delay_alu instid0(SALU_CYCLE_1) | instskip(SKIP_3) | instid1(VALU_DEP_1)
	s_or_b32 exec_lo, exec_lo, s14
	v_dual_mov_b32 v14, 0 :: v_dual_bitop2_b32 v9, 14, v113 bitop3:0x40
	s_mov_b32 s15, 0
	s_mov_b32 s14, exec_lo
                                        ; implicit-def: $vgpr113
                                        ; implicit-def: $vgpr15
                                        ; implicit-def: $vgpr8
	v_cndmask_b32_e32 v115, v57, v9, vcc_lo
	s_delay_alu instid0(VALU_DEP_1)
	v_cmpx_ne_u32_e32 0, v115
	s_cbranch_execz .LBB2_854
; %bb.815:                              ;   in Loop: Header=BB2_583 Depth=2
	v_cmp_lt_i32_e64 s13, 0, v58
	s_mov_b32 s15, exec_lo
	v_dual_ashrrev_i32 v11, 31, v115 :: v_dual_sub_nc_u32 v9, v57, v9
	s_delay_alu instid0(VALU_DEP_1) | instskip(NEXT) | instid1(VALU_DEP_1)
	v_dual_cndmask_b32 v8, 0, v36, s13 :: v_dual_lshrrev_b32 v11, 23, v11
	v_dual_sub_nc_u32 v8, v8, v58 :: v_dual_add_nc_u32 v11, v115, v11
	s_delay_alu instid0(VALU_DEP_1) | instskip(NEXT) | instid1(VALU_DEP_2)
	v_lshl_add_u32 v8, v8, 5, v73
	v_and_b32_e32 v58, 0xfffffe00, v11
	s_delay_alu instid0(VALU_DEP_2) | instskip(NEXT) | instid1(VALU_DEP_2)
	v_dual_ashrrev_i32 v11, 9, v11 :: v_dual_ashrrev_i32 v10, 31, v8
	v_sub_nc_u32_e32 v57, v115, v58
	s_delay_alu instid0(VALU_DEP_2) | instskip(NEXT) | instid1(VALU_DEP_1)
	v_lshrrev_b32_e32 v10, 27, v10
	v_add_nc_u32_e32 v10, v8, v10
	s_delay_alu instid0(VALU_DEP_1) | instskip(NEXT) | instid1(VALU_DEP_1)
	v_and_b32_e32 v12, 0xffffffe0, v10
	v_dual_ashrrev_i32 v10, 5, v10 :: v_dual_sub_nc_u32 v59, v8, v12
	s_delay_alu instid0(VALU_DEP_1) | instskip(NEXT) | instid1(VALU_DEP_1)
	v_lshlrev_b32_e32 v8, 4, v59
	v_lshl_add_u32 v8, v10, 9, v8
	v_cndmask_b32_e32 v9, 0, v9, vcc_lo
	v_cmp_lt_i32_e32 vcc_lo, 15, v57
	s_delay_alu instid0(VALU_DEP_3) | instskip(SKIP_1) | instid1(VALU_DEP_1)
	v_sub_nc_u32_e32 v113, v115, v8
	v_add_co_ci_u32_e64 v11, null, 0, v11, vcc_lo
	v_dual_add_nc_u32 v56, v9, v56 :: v_dual_sub_nc_u32 v76, v11, v10
	s_delay_alu instid0(VALU_DEP_3)
	v_cmpx_lt_i32_e32 15, v113
	s_cbranch_execz .LBB2_851
; %bb.816:                              ;   in Loop: Header=BB2_583 Depth=2
	s_trap 2
	ds_load_b64 v[10:11], v0
	v_add_nc_u32_e32 v8, v8, v56
	s_mov_b32 s40, 0
	s_delay_alu instid0(VALU_DEP_1) | instskip(NEXT) | instid1(VALU_DEP_1)
	v_ashrrev_i32_e32 v9, 31, v8
	v_add_nc_u64_e32 v[42:43], v[8:9], v[118:119]
	v_add_nc_u64_e32 v[46:47], v[8:9], v[40:41]
	s_wait_dscnt 0x0
	v_add_nc_u64_e32 v[44:45], v[10:11], v[8:9]
	s_branch .LBB2_818
.LBB2_817:                              ;   in Loop: Header=BB2_818 Depth=3
	s_or_b32 exec_lo, exec_lo, s41
	v_dual_lshrrev_b32 v12, 16, v12 :: v_dual_lshrrev_b32 v15, 16, v77
	v_dual_lshrrev_b32 v13, 16, v13 :: v_dual_lshrrev_b32 v14, 16, v14
	v_sub_nc_u32_e32 v113, v113, v64
	s_delay_alu instid0(VALU_DEP_3) | instskip(NEXT) | instid1(VALU_DEP_4)
	v_and_or_b32 v9, 0xffff0000, v9, v12
	v_and_or_b32 v8, 0xffff0000, v8, v15
	s_delay_alu instid0(VALU_DEP_4)
	v_and_or_b32 v10, 0xffff0000, v10, v13
	v_and_or_b32 v11, 0xffff0000, v11, v14
	v_add_nc_u64_e32 v[42:43], v[42:43], v[64:65]
	v_add_nc_u64_e32 v[44:45], v[44:45], v[64:65]
	v_cmp_gt_i32_e64 s13, 16, v113
	v_sub_nc_u32_e32 v76, v76, v36
	global_store_b128 v[46:47], v[8:11], off th:TH_STORE_NT
	s_wait_xcnt 0x0
	v_add_nc_u64_e32 v[46:47], v[46:47], v[64:65]
	s_or_b32 s40, s13, s40
	s_delay_alu instid0(SALU_CYCLE_1)
	s_and_not1_b32 exec_lo, exec_lo, s40
	s_cbranch_execz .LBB2_850
.LBB2_818:                              ;   Parent Loop BB2_47 Depth=1
                                        ;     Parent Loop BB2_583 Depth=2
                                        ; =>    This Inner Loop Header: Depth=3
	global_load_b128 v[8:11], v[44:45], off th:TH_LOAD_NT
	global_load_b128 v[12:15], v[42:43], off th:TH_LOAD_NT
	s_wait_loadcnt 0x1
	v_lshlrev_b32_e32 v77, 16, v8
	s_wait_loadcnt 0x0
	v_lshlrev_b32_e32 v78, 16, v12
	s_delay_alu instid0(VALU_DEP_1) | instskip(NEXT) | instid1(VALU_DEP_1)
	v_mul_f32_e32 v78, v78, v77
	v_and_b32_e32 v77, 0x7f800000, v78
	s_delay_alu instid0(VALU_DEP_1) | instskip(SKIP_2) | instid1(SALU_CYCLE_1)
	v_cmp_ne_u32_e64 s13, 0x7f800000, v77
                                        ; implicit-def: $vgpr77
	s_wait_xcnt 0x0
	s_and_saveexec_b32 s41, s13
	s_xor_b32 s13, exec_lo, s41
; %bb.819:                              ;   in Loop: Header=BB2_818 Depth=3
	v_bfe_u32 v77, v78, 16, 1
	s_delay_alu instid0(VALU_DEP_1)
	v_add3_u32 v77, v78, v77, 0x7fff
                                        ; implicit-def: $vgpr78
; %bb.820:                              ;   in Loop: Header=BB2_818 Depth=3
	s_and_not1_saveexec_b32 s41, s13
; %bb.821:                              ;   in Loop: Header=BB2_818 Depth=3
	v_and_b32_e32 v77, 0xffff, v78
	v_or_b32_e32 v79, 0x10000, v78
	s_delay_alu instid0(VALU_DEP_2) | instskip(NEXT) | instid1(VALU_DEP_1)
	v_cmp_eq_u32_e64 s13, 0, v77
	v_cndmask_b32_e64 v77, v79, v78, s13
; %bb.822:                              ;   in Loop: Header=BB2_818 Depth=3
	s_or_b32 exec_lo, exec_lo, s41
	v_and_b32_e32 v8, 0xffff0000, v8
	v_and_b32_e32 v12, 0xffff0000, v12
	s_delay_alu instid0(VALU_DEP_1) | instskip(NEXT) | instid1(VALU_DEP_1)
	v_mul_f32_e32 v12, v12, v8
	v_and_b32_e32 v8, 0x7f800000, v12
	s_delay_alu instid0(VALU_DEP_1) | instskip(SKIP_1) | instid1(SALU_CYCLE_1)
	v_cmp_ne_u32_e64 s13, 0x7f800000, v8
                                        ; implicit-def: $vgpr8
	s_and_saveexec_b32 s41, s13
	s_xor_b32 s13, exec_lo, s41
; %bb.823:                              ;   in Loop: Header=BB2_818 Depth=3
	v_bfe_u32 v8, v12, 16, 1
	s_delay_alu instid0(VALU_DEP_1)
	v_add3_u32 v8, v12, v8, 0x7fff
                                        ; implicit-def: $vgpr12
; %bb.824:                              ;   in Loop: Header=BB2_818 Depth=3
	s_and_not1_saveexec_b32 s41, s13
; %bb.825:                              ;   in Loop: Header=BB2_818 Depth=3
	v_and_b32_e32 v8, 0xffff, v12
	v_or_b32_e32 v78, 0x10000, v12
	s_delay_alu instid0(VALU_DEP_2) | instskip(NEXT) | instid1(VALU_DEP_1)
	v_cmp_eq_u32_e64 s13, 0, v8
	v_cndmask_b32_e64 v8, v78, v12, s13
; %bb.826:                              ;   in Loop: Header=BB2_818 Depth=3
	s_or_b32 exec_lo, exec_lo, s41
	v_lshlrev_b32_e32 v12, 16, v9
	v_lshlrev_b32_e32 v78, 16, v13
	s_delay_alu instid0(VALU_DEP_1) | instskip(NEXT) | instid1(VALU_DEP_1)
	v_mul_f32_e32 v78, v78, v12
	v_and_b32_e32 v12, 0x7f800000, v78
	s_delay_alu instid0(VALU_DEP_1) | instskip(SKIP_1) | instid1(SALU_CYCLE_1)
	v_cmp_ne_u32_e64 s13, 0x7f800000, v12
                                        ; implicit-def: $vgpr12
	s_and_saveexec_b32 s41, s13
	s_xor_b32 s13, exec_lo, s41
; %bb.827:                              ;   in Loop: Header=BB2_818 Depth=3
	v_bfe_u32 v12, v78, 16, 1
	s_delay_alu instid0(VALU_DEP_1)
	v_add3_u32 v12, v78, v12, 0x7fff
                                        ; implicit-def: $vgpr78
; %bb.828:                              ;   in Loop: Header=BB2_818 Depth=3
	s_and_not1_saveexec_b32 s41, s13
; %bb.829:                              ;   in Loop: Header=BB2_818 Depth=3
	v_and_b32_e32 v12, 0xffff, v78
	v_or_b32_e32 v79, 0x10000, v78
	s_delay_alu instid0(VALU_DEP_2) | instskip(NEXT) | instid1(VALU_DEP_1)
	v_cmp_eq_u32_e64 s13, 0, v12
	v_cndmask_b32_e64 v12, v79, v78, s13
; %bb.830:                              ;   in Loop: Header=BB2_818 Depth=3
	s_or_b32 exec_lo, exec_lo, s41
	v_and_b32_e32 v13, 0xffff0000, v13
	v_and_b32_e32 v9, 0xffff0000, v9
	s_delay_alu instid0(VALU_DEP_1) | instskip(NEXT) | instid1(VALU_DEP_1)
	v_mul_f32_e32 v13, v13, v9
	v_and_b32_e32 v9, 0x7f800000, v13
	s_delay_alu instid0(VALU_DEP_1) | instskip(SKIP_1) | instid1(SALU_CYCLE_1)
	v_cmp_ne_u32_e64 s13, 0x7f800000, v9
                                        ; implicit-def: $vgpr9
	s_and_saveexec_b32 s41, s13
	s_xor_b32 s13, exec_lo, s41
; %bb.831:                              ;   in Loop: Header=BB2_818 Depth=3
	v_bfe_u32 v9, v13, 16, 1
	s_delay_alu instid0(VALU_DEP_1)
	v_add3_u32 v9, v13, v9, 0x7fff
                                        ; implicit-def: $vgpr13
; %bb.832:                              ;   in Loop: Header=BB2_818 Depth=3
	s_and_not1_saveexec_b32 s41, s13
; %bb.833:                              ;   in Loop: Header=BB2_818 Depth=3
	v_and_b32_e32 v9, 0xffff, v13
	v_or_b32_e32 v78, 0x10000, v13
	s_delay_alu instid0(VALU_DEP_2) | instskip(NEXT) | instid1(VALU_DEP_1)
	v_cmp_eq_u32_e64 s13, 0, v9
	v_cndmask_b32_e64 v9, v78, v13, s13
; %bb.834:                              ;   in Loop: Header=BB2_818 Depth=3
	s_or_b32 exec_lo, exec_lo, s41
	v_lshlrev_b32_e32 v13, 16, v10
	v_lshlrev_b32_e32 v78, 16, v14
	s_delay_alu instid0(VALU_DEP_1) | instskip(NEXT) | instid1(VALU_DEP_1)
	v_mul_f32_e32 v78, v78, v13
	v_and_b32_e32 v13, 0x7f800000, v78
	s_delay_alu instid0(VALU_DEP_1) | instskip(SKIP_1) | instid1(SALU_CYCLE_1)
	v_cmp_ne_u32_e64 s13, 0x7f800000, v13
                                        ; implicit-def: $vgpr13
	s_and_saveexec_b32 s41, s13
	s_xor_b32 s13, exec_lo, s41
; %bb.835:                              ;   in Loop: Header=BB2_818 Depth=3
	v_bfe_u32 v13, v78, 16, 1
	s_delay_alu instid0(VALU_DEP_1)
	v_add3_u32 v13, v78, v13, 0x7fff
                                        ; implicit-def: $vgpr78
; %bb.836:                              ;   in Loop: Header=BB2_818 Depth=3
	s_and_not1_saveexec_b32 s41, s13
; %bb.837:                              ;   in Loop: Header=BB2_818 Depth=3
	v_and_b32_e32 v13, 0xffff, v78
	v_or_b32_e32 v79, 0x10000, v78
	s_delay_alu instid0(VALU_DEP_2) | instskip(NEXT) | instid1(VALU_DEP_1)
	v_cmp_eq_u32_e64 s13, 0, v13
	v_cndmask_b32_e64 v13, v79, v78, s13
; %bb.838:                              ;   in Loop: Header=BB2_818 Depth=3
	s_or_b32 exec_lo, exec_lo, s41
	v_and_b32_e32 v14, 0xffff0000, v14
	v_and_b32_e32 v10, 0xffff0000, v10
	s_delay_alu instid0(VALU_DEP_1) | instskip(NEXT) | instid1(VALU_DEP_1)
	v_mul_f32_e32 v14, v14, v10
	v_and_b32_e32 v10, 0x7f800000, v14
	s_delay_alu instid0(VALU_DEP_1) | instskip(SKIP_1) | instid1(SALU_CYCLE_1)
	v_cmp_ne_u32_e64 s13, 0x7f800000, v10
                                        ; implicit-def: $vgpr10
	s_and_saveexec_b32 s41, s13
	s_xor_b32 s13, exec_lo, s41
; %bb.839:                              ;   in Loop: Header=BB2_818 Depth=3
	v_bfe_u32 v10, v14, 16, 1
	s_delay_alu instid0(VALU_DEP_1)
	v_add3_u32 v10, v14, v10, 0x7fff
                                        ; implicit-def: $vgpr14
; %bb.840:                              ;   in Loop: Header=BB2_818 Depth=3
	s_and_not1_saveexec_b32 s41, s13
; %bb.841:                              ;   in Loop: Header=BB2_818 Depth=3
	v_and_b32_e32 v10, 0xffff, v14
	v_or_b32_e32 v78, 0x10000, v14
	s_delay_alu instid0(VALU_DEP_2) | instskip(NEXT) | instid1(VALU_DEP_1)
	v_cmp_eq_u32_e64 s13, 0, v10
	v_cndmask_b32_e64 v10, v78, v14, s13
; %bb.842:                              ;   in Loop: Header=BB2_818 Depth=3
	s_or_b32 exec_lo, exec_lo, s41
	v_lshlrev_b32_e32 v14, 16, v11
	v_lshlrev_b32_e32 v78, 16, v15
	s_delay_alu instid0(VALU_DEP_1) | instskip(NEXT) | instid1(VALU_DEP_1)
	v_mul_f32_e32 v78, v78, v14
	v_and_b32_e32 v14, 0x7f800000, v78
	s_delay_alu instid0(VALU_DEP_1) | instskip(SKIP_1) | instid1(SALU_CYCLE_1)
	v_cmp_ne_u32_e64 s13, 0x7f800000, v14
                                        ; implicit-def: $vgpr14
	s_and_saveexec_b32 s41, s13
	s_xor_b32 s13, exec_lo, s41
; %bb.843:                              ;   in Loop: Header=BB2_818 Depth=3
	v_bfe_u32 v14, v78, 16, 1
	s_delay_alu instid0(VALU_DEP_1)
	v_add3_u32 v14, v78, v14, 0x7fff
                                        ; implicit-def: $vgpr78
; %bb.844:                              ;   in Loop: Header=BB2_818 Depth=3
	s_and_not1_saveexec_b32 s41, s13
; %bb.845:                              ;   in Loop: Header=BB2_818 Depth=3
	v_and_b32_e32 v14, 0xffff, v78
	v_or_b32_e32 v79, 0x10000, v78
	s_delay_alu instid0(VALU_DEP_2) | instskip(NEXT) | instid1(VALU_DEP_1)
	v_cmp_eq_u32_e64 s13, 0, v14
	v_cndmask_b32_e64 v14, v79, v78, s13
; %bb.846:                              ;   in Loop: Header=BB2_818 Depth=3
	s_or_b32 exec_lo, exec_lo, s41
	v_and_b32_e32 v15, 0xffff0000, v15
	v_and_b32_e32 v11, 0xffff0000, v11
	s_delay_alu instid0(VALU_DEP_1) | instskip(NEXT) | instid1(VALU_DEP_1)
	v_mul_f32_e32 v15, v15, v11
	v_and_b32_e32 v11, 0x7f800000, v15
	s_delay_alu instid0(VALU_DEP_1) | instskip(SKIP_1) | instid1(SALU_CYCLE_1)
	v_cmp_ne_u32_e64 s13, 0x7f800000, v11
                                        ; implicit-def: $vgpr11
	s_and_saveexec_b32 s41, s13
	s_xor_b32 s13, exec_lo, s41
; %bb.847:                              ;   in Loop: Header=BB2_818 Depth=3
	v_bfe_u32 v11, v15, 16, 1
	s_delay_alu instid0(VALU_DEP_1)
	v_add3_u32 v11, v15, v11, 0x7fff
                                        ; implicit-def: $vgpr15
; %bb.848:                              ;   in Loop: Header=BB2_818 Depth=3
	s_and_not1_saveexec_b32 s41, s13
	s_cbranch_execz .LBB2_817
; %bb.849:                              ;   in Loop: Header=BB2_818 Depth=3
	v_and_b32_e32 v11, 0xffff, v15
	v_or_b32_e32 v78, 0x10000, v15
	s_delay_alu instid0(VALU_DEP_2) | instskip(NEXT) | instid1(VALU_DEP_1)
	v_cmp_eq_u32_e64 s13, 0, v11
	v_cndmask_b32_e64 v11, v78, v15, s13
	s_branch .LBB2_817
.LBB2_850:                              ;   in Loop: Header=BB2_583 Depth=2
	s_or_b32 exec_lo, exec_lo, s40
.LBB2_851:                              ;   in Loop: Header=BB2_583 Depth=2
	s_delay_alu instid0(SALU_CYCLE_1) | instskip(SKIP_3) | instid1(VALU_DEP_1)
	s_or_b32 exec_lo, exec_lo, s15
	v_dual_mov_b32 v14, 0 :: v_dual_bitop2_b32 v9, 14, v115 bitop3:0x40
	s_mov_b32 s15, 0
	s_mov_b32 s40, exec_lo
                                        ; implicit-def: $vgpr15
                                        ; implicit-def: $vgpr8
	v_cndmask_b32_e32 v113, v57, v9, vcc_lo
	s_delay_alu instid0(VALU_DEP_1)
	v_cmpx_ne_u32_e32 0, v113
	s_cbranch_execz .LBB2_853
; %bb.852:                              ;   in Loop: Header=BB2_583 Depth=2
	v_cmp_lt_i32_e64 s13, 0, v76
	s_mov_b32 s15, exec_lo
	v_dual_sub_nc_u32 v9, v57, v9 :: v_dual_cndmask_b32 v8, 0, v36, s13
	s_delay_alu instid0(VALU_DEP_1) | instskip(NEXT) | instid1(VALU_DEP_1)
	v_dual_cndmask_b32 v9, 0, v9 :: v_dual_sub_nc_u32 v8, v8, v76
	v_add3_u32 v14, v58, v56, v9
	s_delay_alu instid0(VALU_DEP_2) | instskip(NEXT) | instid1(VALU_DEP_1)
	v_lshl_add_u32 v15, v8, 5, v59
	v_ashrrev_i32_e32 v8, 31, v15
	s_delay_alu instid0(VALU_DEP_1) | instskip(NEXT) | instid1(VALU_DEP_1)
	v_lshrrev_b32_e32 v8, 27, v8
	v_add_nc_u32_e32 v8, v15, v8
	s_delay_alu instid0(VALU_DEP_1)
	v_ashrrev_i32_e32 v8, 5, v8
.LBB2_853:                              ;   in Loop: Header=BB2_583 Depth=2
	s_or_b32 exec_lo, exec_lo, s40
	s_delay_alu instid0(SALU_CYCLE_1)
	s_and_b32 s15, s15, exec_lo
.LBB2_854:                              ;   in Loop: Header=BB2_583 Depth=2
	s_or_b32 exec_lo, exec_lo, s14
	s_and_saveexec_b32 s13, s15
	s_cbranch_execz .LBB2_883
.LBB2_855:                              ;   in Loop: Header=BB2_583 Depth=2
	v_ashrrev_i32_e32 v9, 31, v113
	s_mov_b32 s14, exec_lo
	s_delay_alu instid0(VALU_DEP_1) | instskip(NEXT) | instid1(VALU_DEP_1)
	v_lshrrev_b32_e32 v9, 24, v9
	v_add_nc_u32_e32 v9, v113, v9
	s_delay_alu instid0(VALU_DEP_1) | instskip(NEXT) | instid1(VALU_DEP_1)
	v_dual_ashrrev_i32 v43, 8, v9 :: v_dual_ashrrev_i32 v9, 31, v15
	v_dual_sub_nc_u32 v115, v43, v8 :: v_dual_lshrrev_b32 v42, 27, v9
	s_delay_alu instid0(VALU_DEP_1)
	v_cmpx_lt_i32_e32 0, v115
	s_cbranch_execz .LBB2_875
; %bb.856:                              ;   in Loop: Header=BB2_583 Depth=2
	s_delay_alu instid0(VALU_DEP_2) | instskip(SKIP_4) | instid1(VALU_DEP_1)
	v_dual_add_nc_u32 v9, v15, v42 :: v_dual_lshlrev_b32 v8, 8, v8
	s_trap 2
	ds_load_b64 v[10:11], v0
	s_mov_b32 s15, 0
	v_and_b32_e32 v9, 0x7fffffe0, v9
	v_sub_nc_u32_e32 v9, v15, v9
	s_delay_alu instid0(VALU_DEP_1) | instskip(NEXT) | instid1(VALU_DEP_1)
	v_lshlrev_b32_e32 v9, 1, v9
	v_add3_u32 v12, v9, v14, v8
	s_delay_alu instid0(VALU_DEP_1) | instskip(NEXT) | instid1(VALU_DEP_1)
	v_ashrrev_i32_e32 v13, 31, v12
	v_add_nc_u64_e32 v[8:9], v[12:13], v[118:119]
	s_wait_dscnt 0x0
	v_add_nc_u64_e32 v[10:11], v[10:11], v[12:13]
	v_add_nc_u64_e32 v[12:13], v[12:13], v[40:41]
	s_branch .LBB2_858
.LBB2_857:                              ;   in Loop: Header=BB2_858 Depth=3
	s_or_b32 exec_lo, exec_lo, s40
	v_sub_nc_u32_e32 v115, v115, v36
	s_clause 0x3
	flat_store_d16_hi_b16 v[12:13], v44 th:TH_STORE_NT
	flat_store_d16_hi_b16 v[12:13], v47 offset:64 th:TH_STORE_NT
	flat_store_d16_hi_b16 v[12:13], v56 offset:128 th:TH_STORE_NT
	;; [unrolled: 1-line block ×3, first 2 shown]
	v_add_nc_u64_e32 v[8:9], v[8:9], v[66:67]
	v_add_nc_u64_e32 v[10:11], v[10:11], v[66:67]
	s_wait_xcnt 0x0
	v_add_nc_u64_e32 v[12:13], v[12:13], v[66:67]
	v_cmp_gt_i32_e32 vcc_lo, 1, v115
	s_or_b32 s15, vcc_lo, s15
	s_delay_alu instid0(SALU_CYCLE_1)
	s_and_not1_b32 exec_lo, exec_lo, s15
	s_cbranch_execz .LBB2_874
.LBB2_858:                              ;   Parent Loop BB2_47 Depth=1
                                        ;     Parent Loop BB2_583 Depth=2
                                        ; =>    This Inner Loop Header: Depth=3
	s_clause 0x2
	flat_load_u16 v56, v[8:9] offset:128 th:TH_LOAD_NT
	flat_load_u16 v45, v[8:9] offset:192 th:TH_LOAD_NT
	flat_load_u16 v44, v[8:9] th:TH_LOAD_NT
	s_clause 0x2
	flat_load_u16 v57, v[10:11] offset:128 th:TH_LOAD_NT
	flat_load_u16 v46, v[10:11] offset:192 th:TH_LOAD_NT
	flat_load_u16 v59, v[10:11] th:TH_LOAD_NT
	flat_load_u16 v47, v[8:9] offset:64 th:TH_LOAD_NT
	flat_load_u16 v58, v[10:11] offset:64 th:TH_LOAD_NT
	s_wait_loadcnt_dscnt 0x202
	v_dual_lshlrev_b32 v44, 16, v44 :: v_dual_lshlrev_b32 v59, 16, v59
	s_delay_alu instid0(VALU_DEP_1) | instskip(NEXT) | instid1(VALU_DEP_1)
	v_mul_f32_e32 v59, v59, v44
	v_and_b32_e32 v44, 0x7f800000, v59
	s_delay_alu instid0(VALU_DEP_1) | instskip(SKIP_2) | instid1(SALU_CYCLE_1)
	v_cmp_ne_u32_e32 vcc_lo, 0x7f800000, v44
                                        ; implicit-def: $vgpr44
	s_wait_xcnt 0x0
	s_and_saveexec_b32 s40, vcc_lo
	s_xor_b32 s40, exec_lo, s40
; %bb.859:                              ;   in Loop: Header=BB2_858 Depth=3
	v_bfe_u32 v44, v59, 16, 1
	s_delay_alu instid0(VALU_DEP_1)
	v_add3_u32 v44, v59, v44, 0x7fff
                                        ; implicit-def: $vgpr59
; %bb.860:                              ;   in Loop: Header=BB2_858 Depth=3
	s_and_not1_saveexec_b32 s40, s40
; %bb.861:                              ;   in Loop: Header=BB2_858 Depth=3
	v_and_b32_e32 v44, 0xffff, v59
	v_or_b32_e32 v76, 0x10000, v59
	s_delay_alu instid0(VALU_DEP_2) | instskip(NEXT) | instid1(VALU_DEP_2)
	v_cmp_eq_u32_e32 vcc_lo, 0, v44
	v_cndmask_b32_e32 v44, v76, v59, vcc_lo
; %bb.862:                              ;   in Loop: Header=BB2_858 Depth=3
	s_or_b32 exec_lo, exec_lo, s40
	s_wait_loadcnt_dscnt 0x0
	v_dual_lshlrev_b32 v47, 16, v47 :: v_dual_lshlrev_b32 v58, 16, v58
	s_delay_alu instid0(VALU_DEP_1) | instskip(NEXT) | instid1(VALU_DEP_1)
	v_mul_f32_e32 v58, v58, v47
	v_and_b32_e32 v47, 0x7f800000, v58
	s_delay_alu instid0(VALU_DEP_1) | instskip(SKIP_1) | instid1(SALU_CYCLE_1)
	v_cmp_ne_u32_e32 vcc_lo, 0x7f800000, v47
                                        ; implicit-def: $vgpr47
	s_and_saveexec_b32 s40, vcc_lo
	s_xor_b32 s40, exec_lo, s40
; %bb.863:                              ;   in Loop: Header=BB2_858 Depth=3
	v_bfe_u32 v47, v58, 16, 1
	s_delay_alu instid0(VALU_DEP_1)
	v_add3_u32 v47, v58, v47, 0x7fff
                                        ; implicit-def: $vgpr58
; %bb.864:                              ;   in Loop: Header=BB2_858 Depth=3
	s_and_not1_saveexec_b32 s40, s40
; %bb.865:                              ;   in Loop: Header=BB2_858 Depth=3
	v_and_b32_e32 v47, 0xffff, v58
	v_or_b32_e32 v59, 0x10000, v58
	s_delay_alu instid0(VALU_DEP_2) | instskip(NEXT) | instid1(VALU_DEP_2)
	v_cmp_eq_u32_e32 vcc_lo, 0, v47
	v_cndmask_b32_e32 v47, v59, v58, vcc_lo
; %bb.866:                              ;   in Loop: Header=BB2_858 Depth=3
	s_or_b32 exec_lo, exec_lo, s40
	v_dual_lshlrev_b32 v56, 16, v56 :: v_dual_lshlrev_b32 v57, 16, v57
	s_delay_alu instid0(VALU_DEP_1) | instskip(NEXT) | instid1(VALU_DEP_1)
	v_mul_f32_e32 v57, v57, v56
	v_and_b32_e32 v56, 0x7f800000, v57
	s_delay_alu instid0(VALU_DEP_1) | instskip(SKIP_1) | instid1(SALU_CYCLE_1)
	v_cmp_ne_u32_e32 vcc_lo, 0x7f800000, v56
                                        ; implicit-def: $vgpr56
	s_and_saveexec_b32 s40, vcc_lo
	s_xor_b32 s40, exec_lo, s40
; %bb.867:                              ;   in Loop: Header=BB2_858 Depth=3
	v_bfe_u32 v56, v57, 16, 1
	s_delay_alu instid0(VALU_DEP_1)
	v_add3_u32 v56, v57, v56, 0x7fff
                                        ; implicit-def: $vgpr57
; %bb.868:                              ;   in Loop: Header=BB2_858 Depth=3
	s_and_not1_saveexec_b32 s40, s40
; %bb.869:                              ;   in Loop: Header=BB2_858 Depth=3
	v_and_b32_e32 v56, 0xffff, v57
	v_or_b32_e32 v58, 0x10000, v57
	s_delay_alu instid0(VALU_DEP_2) | instskip(NEXT) | instid1(VALU_DEP_2)
	v_cmp_eq_u32_e32 vcc_lo, 0, v56
	v_cndmask_b32_e32 v56, v58, v57, vcc_lo
; %bb.870:                              ;   in Loop: Header=BB2_858 Depth=3
	s_or_b32 exec_lo, exec_lo, s40
	v_dual_lshlrev_b32 v45, 16, v45 :: v_dual_lshlrev_b32 v46, 16, v46
	s_delay_alu instid0(VALU_DEP_1) | instskip(NEXT) | instid1(VALU_DEP_1)
	v_mul_f32_e32 v46, v46, v45
	v_and_b32_e32 v45, 0x7f800000, v46
	s_delay_alu instid0(VALU_DEP_1) | instskip(SKIP_1) | instid1(SALU_CYCLE_1)
	v_cmp_ne_u32_e32 vcc_lo, 0x7f800000, v45
                                        ; implicit-def: $vgpr45
	s_and_saveexec_b32 s40, vcc_lo
	s_xor_b32 s40, exec_lo, s40
; %bb.871:                              ;   in Loop: Header=BB2_858 Depth=3
	v_bfe_u32 v45, v46, 16, 1
	s_delay_alu instid0(VALU_DEP_1)
	v_add3_u32 v45, v46, v45, 0x7fff
                                        ; implicit-def: $vgpr46
; %bb.872:                              ;   in Loop: Header=BB2_858 Depth=3
	s_and_not1_saveexec_b32 s40, s40
	s_cbranch_execz .LBB2_857
; %bb.873:                              ;   in Loop: Header=BB2_858 Depth=3
	v_and_b32_e32 v45, 0xffff, v46
	v_or_b32_e32 v57, 0x10000, v46
	s_delay_alu instid0(VALU_DEP_2) | instskip(NEXT) | instid1(VALU_DEP_2)
	v_cmp_eq_u32_e32 vcc_lo, 0, v45
	v_cndmask_b32_e32 v45, v57, v46, vcc_lo
	s_branch .LBB2_857
.LBB2_874:                              ;   in Loop: Header=BB2_583 Depth=2
	s_or_b32 exec_lo, exec_lo, s15
.LBB2_875:                              ;   in Loop: Header=BB2_583 Depth=2
	s_delay_alu instid0(SALU_CYCLE_1) | instskip(SKIP_1) | instid1(VALU_DEP_1)
	s_or_b32 exec_lo, exec_lo, s14
	v_lshlrev_b32_e32 v8, 8, v43
	v_cmp_ne_u32_e32 vcc_lo, v113, v8
	s_and_b32 exec_lo, exec_lo, vcc_lo
	s_cbranch_execz .LBB2_883
; %bb.876:                              ;   in Loop: Header=BB2_583 Depth=2
	v_dual_add_nc_u32 v9, v15, v42 :: v_dual_lshlrev_b32 v10, 5, v115
	s_delay_alu instid0(VALU_DEP_1) | instskip(NEXT) | instid1(VALU_DEP_1)
	v_and_b32_e32 v9, 0xffffffe0, v9
	v_sub_nc_u32_e32 v9, v15, v9
	s_delay_alu instid0(VALU_DEP_1) | instskip(NEXT) | instid1(VALU_DEP_1)
	v_sub_nc_u32_e32 v9, v9, v10
	v_ashrrev_i32_e32 v10, 31, v9
	s_delay_alu instid0(VALU_DEP_1) | instskip(NEXT) | instid1(VALU_DEP_1)
	v_lshrrev_b32_e32 v10, 27, v10
	v_add_nc_u32_e32 v10, v9, v10
	s_delay_alu instid0(VALU_DEP_1) | instskip(NEXT) | instid1(VALU_DEP_1)
	v_and_b32_e32 v11, 0x7fffffe0, v10
	v_dual_lshlrev_b32 v10, 1, v10 :: v_dual_sub_nc_u32 v9, v9, v11
	s_delay_alu instid0(VALU_DEP_1) | instskip(NEXT) | instid1(VALU_DEP_2)
	v_and_b32_e32 v10, 0xffffffc0, v10
	v_lshlrev_b32_e32 v9, 1, v9
	s_delay_alu instid0(VALU_DEP_1) | instskip(NEXT) | instid1(VALU_DEP_1)
	v_add3_u32 v8, v10, v9, v8
	v_sub_nc_u32_e32 v15, v113, v8
	s_delay_alu instid0(VALU_DEP_1)
	v_cmp_lt_i32_e32 vcc_lo, 1, v15
	s_and_b32 exec_lo, exec_lo, vcc_lo
	s_cbranch_execz .LBB2_883
; %bb.877:                              ;   in Loop: Header=BB2_583 Depth=2
	s_trap 2
	ds_load_b64 v[10:11], v0
	v_add_nc_u32_e32 v12, v8, v14
	s_mov_b32 s14, 0
	s_delay_alu instid0(VALU_DEP_1) | instskip(NEXT) | instid1(VALU_DEP_1)
	v_ashrrev_i32_e32 v13, 31, v12
	v_add_nc_u64_e32 v[8:9], v[12:13], v[118:119]
	s_wait_dscnt 0x0
	v_add_nc_u64_e32 v[10:11], v[10:11], v[12:13]
	v_add_nc_u64_e32 v[12:13], v[12:13], v[40:41]
	s_branch .LBB2_879
.LBB2_878:                              ;   in Loop: Header=BB2_879 Depth=3
	s_or_b32 exec_lo, exec_lo, s15
	v_sub_nc_u32_e32 v15, v15, v68
	flat_store_d16_hi_b16 v[12:13], v14 th:TH_STORE_NT
	v_add_nc_u64_e32 v[8:9], v[8:9], v[68:69]
	v_add_nc_u64_e32 v[10:11], v[10:11], v[68:69]
	s_wait_xcnt 0x0
	v_add_nc_u64_e32 v[12:13], v[12:13], v[68:69]
	v_cmp_gt_i32_e32 vcc_lo, 2, v15
	s_or_b32 s14, vcc_lo, s14
	s_delay_alu instid0(SALU_CYCLE_1)
	s_and_not1_b32 exec_lo, exec_lo, s14
	s_cbranch_execz .LBB2_883
.LBB2_879:                              ;   Parent Loop BB2_47 Depth=1
                                        ;     Parent Loop BB2_583 Depth=2
                                        ; =>    This Inner Loop Header: Depth=3
	flat_load_u16 v14, v[8:9] th:TH_LOAD_NT
	flat_load_u16 v113, v[10:11] th:TH_LOAD_NT
	s_wait_loadcnt_dscnt 0x0
	v_dual_lshlrev_b32 v14, 16, v14 :: v_dual_lshlrev_b32 v113, 16, v113
	s_delay_alu instid0(VALU_DEP_1) | instskip(NEXT) | instid1(VALU_DEP_1)
	v_mul_f32_e32 v113, v113, v14
	v_and_b32_e32 v14, 0x7f800000, v113
	s_delay_alu instid0(VALU_DEP_1) | instskip(SKIP_2) | instid1(SALU_CYCLE_1)
	v_cmp_ne_u32_e32 vcc_lo, 0x7f800000, v14
                                        ; implicit-def: $vgpr14
	s_wait_xcnt 0x0
	s_and_saveexec_b32 s15, vcc_lo
	s_xor_b32 s15, exec_lo, s15
; %bb.880:                              ;   in Loop: Header=BB2_879 Depth=3
	v_bfe_u32 v14, v113, 16, 1
	s_delay_alu instid0(VALU_DEP_1)
	v_add3_u32 v14, v113, v14, 0x7fff
                                        ; implicit-def: $vgpr113
; %bb.881:                              ;   in Loop: Header=BB2_879 Depth=3
	s_and_not1_saveexec_b32 s15, s15
	s_cbranch_execz .LBB2_878
; %bb.882:                              ;   in Loop: Header=BB2_879 Depth=3
	v_and_b32_e32 v14, 0xffff, v113
	v_or_b32_e32 v115, 0x10000, v113
	s_delay_alu instid0(VALU_DEP_2) | instskip(NEXT) | instid1(VALU_DEP_2)
	v_cmp_eq_u32_e32 vcc_lo, 0, v14
	v_cndmask_b32_e32 v14, v115, v113, vcc_lo
	s_branch .LBB2_878
.LBB2_883:                              ;   in Loop: Header=BB2_583 Depth=2
	s_or_b32 exec_lo, exec_lo, s13
.LBB2_884:                              ;   in Loop: Header=BB2_583 Depth=2
	v_cmp_lt_i32_e64 s13, 0, v2
	s_and_saveexec_b32 s14, s2
	s_cbranch_execz .LBB2_903
.LBB2_885:                              ;   in Loop: Header=BB2_583 Depth=2
	s_and_saveexec_b32 s15, s3
	s_delay_alu instid0(SALU_CYCLE_1)
	s_xor_b32 s15, exec_lo, s15
	s_cbranch_execz .LBB2_900
; %bb.886:                              ;   in Loop: Header=BB2_583 Depth=2
	s_and_saveexec_b32 s40, s6
	s_cbranch_execz .LBB2_899
; %bb.887:                              ;   in Loop: Header=BB2_583 Depth=2
	s_mov_b32 s62, exec_lo
	s_mov_b32 s41, exec_lo
	v_mbcnt_lo_u32_b32 v2, s62, 0
	global_wb scope:SCOPE_DEV
	s_wait_storecnt 0x0
	s_wait_loadcnt_dscnt 0x0
	global_inv scope:SCOPE_DEV
	v_cmpx_eq_u32_e32 0, v2
	s_cbranch_execz .LBB2_889
; %bb.888:                              ;   in Loop: Header=BB2_583 Depth=2
	s_bcnt1_i32_b32 s62, s62
	s_delay_alu instid0(SALU_CYCLE_1)
	v_mov_b32_e32 v2, s62
	s_wait_loadcnt 0x0
	ds_add_u64 v0, v[2:3]
	s_trap 2
.LBB2_889:                              ;   in Loop: Header=BB2_583 Depth=2
	s_or_b32 exec_lo, exec_lo, s41
	s_trap 2
	ds_load_b64 v[8:9], v0
	s_wait_dscnt 0x0
	v_add_nc_u64_e32 v[32:33], v[32:33], v[36:37]
	s_mov_b32 s41, exec_lo
	s_delay_alu instid0(VALU_DEP_1)
	v_cmpx_lt_u64_e64 v[8:9], v[32:33]
	s_cbranch_execz .LBB2_898
; %bb.890:                              ;   in Loop: Header=BB2_583 Depth=2
	s_mov_b32 s62, 0
	s_mov_b32 s73, 0
                                        ; implicit-def: $sgpr63
                                        ; implicit-def: $sgpr72
	s_branch .LBB2_892
.LBB2_891:                              ;   in Loop: Header=BB2_892 Depth=3
	s_or_b32 exec_lo, exec_lo, s75
	s_delay_alu instid0(SALU_CYCLE_1) | instskip(NEXT) | instid1(SALU_CYCLE_1)
	s_and_b32 s74, exec_lo, s76
	s_or_b32 s62, s74, s62
	s_and_not1_b32 s63, s63, exec_lo
	s_and_b32 s74, s72, exec_lo
	s_delay_alu instid0(SALU_CYCLE_1)
	s_or_b32 s63, s63, s74
	s_and_not1_b32 exec_lo, exec_lo, s62
	s_cbranch_execz .LBB2_896
.LBB2_892:                              ;   Parent Loop BB2_47 Depth=1
                                        ;     Parent Loop BB2_583 Depth=2
                                        ; =>    This Inner Loop Header: Depth=3
	s_add_co_i32 s73, s73, 1
	s_delay_alu instid0(SALU_CYCLE_1) | instskip(SKIP_1) | instid1(SALU_CYCLE_1)
	s_cmp_lg_u32 s73, 0x2710
	s_cselect_b32 s74, -1, 0
	s_and_b32 vcc_lo, exec_lo, s74
	s_cbranch_vccz .LBB2_894
; %bb.893:                              ;   in Loop: Header=BB2_892 Depth=3
	s_mov_b32 s76, -1
	s_or_b32 s72, s72, exec_lo
	s_and_saveexec_b32 s75, s74
	s_cbranch_execz .LBB2_891
	s_branch .LBB2_895
.LBB2_894:                              ;   in Loop: Header=BB2_892 Depth=3
	s_trap 2
	ds_load_b64 v[8:9], v0
	s_and_not1_b32 s74, s74, exec_lo
	s_mov_b32 s73, 0
	s_wait_loadcnt_dscnt 0x0
	flat_load_b32 v2, v[8:9] scope:SCOPE_SYS
	s_wait_loadcnt_dscnt 0x0
	global_inv scope:SCOPE_SYS
	v_cmp_eq_u32_e32 vcc_lo, 0, v2
	s_and_b32 s75, vcc_lo, exec_lo
	s_delay_alu instid0(SALU_CYCLE_1)
	s_or_b32 s74, s74, s75
	s_mov_b32 s76, -1
	s_or_b32 s72, s72, exec_lo
	s_and_saveexec_b32 s75, s74
	s_cbranch_execz .LBB2_891
.LBB2_895:                              ;   in Loop: Header=BB2_892 Depth=3
	s_sleep 1
	s_trap 2
	ds_load_b64 v[8:9], v0
	s_wait_dscnt 0x0
	s_and_not1_b32 s72, s72, exec_lo
	v_cmp_ge_u64_e32 vcc_lo, v[8:9], v[32:33]
	s_or_not1_b32 s76, vcc_lo, exec_lo
	s_branch .LBB2_891
.LBB2_896:                              ;   in Loop: Header=BB2_583 Depth=2
	s_or_b32 exec_lo, exec_lo, s62
	s_and_saveexec_b32 s62, s63
	s_delay_alu instid0(SALU_CYCLE_1)
	s_xor_b32 s62, exec_lo, s62
	s_cbranch_execz .LBB2_898
; %bb.897:                              ;   in Loop: Header=BB2_583 Depth=2
	ds_store_b32 v0, v61
	s_trap 2
.LBB2_898:                              ;   in Loop: Header=BB2_583 Depth=2
	s_or_b32 exec_lo, exec_lo, s41
	;;#ASMSTART
	s_wakeup
	;;#ASMEND
.LBB2_899:                              ;   in Loop: Header=BB2_583 Depth=2
	s_or_b32 exec_lo, exec_lo, s40
.LBB2_900:                              ;   in Loop: Header=BB2_583 Depth=2
	s_and_not1_saveexec_b32 s15, s15
	s_cbranch_execz .LBB2_902
; %bb.901:                              ;   in Loop: Header=BB2_583 Depth=2
	global_wb scope:SCOPE_DEV
	s_wait_storecnt 0x0
	s_wait_loadcnt_dscnt 0x0
	global_inv scope:SCOPE_DEV
	s_barrier_signal -1
	s_barrier_wait -1
.LBB2_902:                              ;   in Loop: Header=BB2_583 Depth=2
	s_or_b32 exec_lo, exec_lo, s15
.LBB2_903:                              ;   in Loop: Header=BB2_583 Depth=2
	s_delay_alu instid0(SALU_CYCLE_1) | instskip(SKIP_2) | instid1(SALU_CYCLE_1)
	s_or_b32 exec_lo, exec_lo, s14
	v_and_b32_e32 v8, 16, v30
	s_and_saveexec_b32 s14, s7
	s_xor_b32 s14, exec_lo, s14
	s_cbranch_execz .LBB2_907
; %bb.904:                              ;   in Loop: Header=BB2_583 Depth=2
	v_and_b32_e32 v2, 16, v30
	v_and_b32_e32 v8, 16, v30
	s_delay_alu instid0(VALU_DEP_2) | instskip(SKIP_1) | instid1(SALU_CYCLE_1)
	v_cmp_ne_u32_e32 vcc_lo, 0, v2
	s_and_b32 s15, vcc_lo, s13
	s_and_saveexec_b32 s13, s15
	s_cbranch_execz .LBB2_906
; %bb.905:                              ;   in Loop: Header=BB2_583 Depth=2
	v_mov_b32_e32 v8, 1
	global_wb scope:SCOPE_SYS
	s_wait_storecnt 0x0
	s_wait_loadcnt_dscnt 0x0
	global_inv scope:SCOPE_SYS
.LBB2_906:                              ;   in Loop: Header=BB2_583 Depth=2
	s_or_b32 exec_lo, exec_lo, s13
.LBB2_907:                              ;   in Loop: Header=BB2_583 Depth=2
	s_and_not1_saveexec_b32 s13, s14
	s_cbranch_execz .LBB2_926
; %bb.908:                              ;   in Loop: Header=BB2_583 Depth=2
	s_and_saveexec_b32 s14, s3
	s_delay_alu instid0(SALU_CYCLE_1)
	s_xor_b32 s14, exec_lo, s14
	s_cbranch_execz .LBB2_923
; %bb.909:                              ;   in Loop: Header=BB2_583 Depth=2
	s_and_saveexec_b32 s15, s6
	s_cbranch_execz .LBB2_922
; %bb.910:                              ;   in Loop: Header=BB2_583 Depth=2
	s_mov_b32 s41, exec_lo
	s_mov_b32 s40, exec_lo
	v_mbcnt_lo_u32_b32 v2, s41, 0
	;;#ASMSTART
	s_waitcnt lgkmcnt(0) vmcnt(0)
	;;#ASMEND
	s_delay_alu instid0(VALU_DEP_1)
	v_cmpx_eq_u32_e32 0, v2
	s_cbranch_execz .LBB2_912
; %bb.911:                              ;   in Loop: Header=BB2_583 Depth=2
	s_bcnt1_i32_b32 s41, s41
	s_delay_alu instid0(SALU_CYCLE_1)
	v_mov_b32_e32 v2, s41
	s_wait_storecnt 0x0
	s_wait_loadcnt_dscnt 0x0
	ds_add_u64 v0, v[2:3]
	s_trap 2
.LBB2_912:                              ;   in Loop: Header=BB2_583 Depth=2
	s_or_b32 exec_lo, exec_lo, s40
	s_trap 2
	ds_load_b64 v[10:11], v0
	s_wait_dscnt 0x0
	v_add_nc_u64_e32 v[32:33], v[32:33], v[36:37]
	s_mov_b32 s40, exec_lo
	s_delay_alu instid0(VALU_DEP_1)
	v_cmpx_lt_u64_e64 v[10:11], v[32:33]
	s_cbranch_execz .LBB2_921
; %bb.913:                              ;   in Loop: Header=BB2_583 Depth=2
	s_mov_b32 s41, 0
	s_mov_b32 s72, 0
                                        ; implicit-def: $sgpr62
                                        ; implicit-def: $sgpr63
	s_branch .LBB2_915
.LBB2_914:                              ;   in Loop: Header=BB2_915 Depth=3
	s_or_b32 exec_lo, exec_lo, s74
	s_delay_alu instid0(SALU_CYCLE_1) | instskip(NEXT) | instid1(SALU_CYCLE_1)
	s_and_b32 s73, exec_lo, s75
	s_or_b32 s41, s73, s41
	s_and_not1_b32 s62, s62, exec_lo
	s_and_b32 s73, s63, exec_lo
	s_delay_alu instid0(SALU_CYCLE_1)
	s_or_b32 s62, s62, s73
	s_and_not1_b32 exec_lo, exec_lo, s41
	s_cbranch_execz .LBB2_919
.LBB2_915:                              ;   Parent Loop BB2_47 Depth=1
                                        ;     Parent Loop BB2_583 Depth=2
                                        ; =>    This Inner Loop Header: Depth=3
	s_add_co_i32 s72, s72, 1
	s_delay_alu instid0(SALU_CYCLE_1) | instskip(SKIP_1) | instid1(SALU_CYCLE_1)
	s_cmp_lg_u32 s72, 0x2710
	s_cselect_b32 s73, -1, 0
	s_and_b32 vcc_lo, exec_lo, s73
	s_cbranch_vccz .LBB2_917
; %bb.916:                              ;   in Loop: Header=BB2_915 Depth=3
	s_mov_b32 s75, -1
	s_or_b32 s63, s63, exec_lo
	s_and_saveexec_b32 s74, s73
	s_cbranch_execz .LBB2_914
	s_branch .LBB2_918
.LBB2_917:                              ;   in Loop: Header=BB2_915 Depth=3
	s_trap 2
	ds_load_b64 v[10:11], v0
	s_and_not1_b32 s73, s73, exec_lo
	s_mov_b32 s72, 0
	s_wait_storecnt 0x0
	s_wait_loadcnt_dscnt 0x0
	flat_load_b32 v2, v[10:11] scope:SCOPE_SYS
	s_wait_loadcnt_dscnt 0x0
	global_inv scope:SCOPE_SYS
	v_cmp_eq_u32_e32 vcc_lo, 0, v2
	s_and_b32 s74, vcc_lo, exec_lo
	s_delay_alu instid0(SALU_CYCLE_1)
	s_or_b32 s73, s73, s74
	s_mov_b32 s75, -1
	s_or_b32 s63, s63, exec_lo
	s_and_saveexec_b32 s74, s73
	s_cbranch_execz .LBB2_914
.LBB2_918:                              ;   in Loop: Header=BB2_915 Depth=3
	s_sleep 1
	s_trap 2
	ds_load_b64 v[10:11], v0
	s_wait_dscnt 0x0
	s_and_not1_b32 s63, s63, exec_lo
	v_cmp_ge_u64_e32 vcc_lo, v[10:11], v[32:33]
	s_or_not1_b32 s75, vcc_lo, exec_lo
	s_branch .LBB2_914
.LBB2_919:                              ;   in Loop: Header=BB2_583 Depth=2
	s_or_b32 exec_lo, exec_lo, s41
	s_and_saveexec_b32 s41, s62
	s_delay_alu instid0(SALU_CYCLE_1)
	s_xor_b32 s41, exec_lo, s41
	s_cbranch_execz .LBB2_921
; %bb.920:                              ;   in Loop: Header=BB2_583 Depth=2
	ds_store_b32 v0, v61
	s_trap 2
.LBB2_921:                              ;   in Loop: Header=BB2_583 Depth=2
	s_or_b32 exec_lo, exec_lo, s40
	;;#ASMSTART
	s_wakeup
	;;#ASMEND
.LBB2_922:                              ;   in Loop: Header=BB2_583 Depth=2
	s_or_b32 exec_lo, exec_lo, s15
.LBB2_923:                              ;   in Loop: Header=BB2_583 Depth=2
	s_and_not1_saveexec_b32 s14, s14
	s_cbranch_execz .LBB2_925
; %bb.924:                              ;   in Loop: Header=BB2_583 Depth=2
	;;#ASMSTART
	s_waitcnt lgkmcnt(0) vmcnt(0)
	;;#ASMEND
	s_barrier_signal -1
	s_barrier_wait -1
.LBB2_925:                              ;   in Loop: Header=BB2_583 Depth=2
	s_or_b32 exec_lo, exec_lo, s14
.LBB2_926:                              ;   in Loop: Header=BB2_583 Depth=2
	s_delay_alu instid0(SALU_CYCLE_1) | instskip(SKIP_2) | instid1(SALU_CYCLE_1)
	s_or_b32 exec_lo, exec_lo, s13
	v_cmp_ne_u32_e32 vcc_lo, 0, v8
	s_xor_b32 s13, s4, -1
	s_and_b32 s14, vcc_lo, s13
	s_delay_alu instid0(SALU_CYCLE_1)
	s_and_saveexec_b32 s13, s14
	s_cbranch_execz .LBB2_928
; %bb.927:                              ;   in Loop: Header=BB2_583 Depth=2
	global_wb scope:SCOPE_SYS
	s_wait_storecnt 0x0
	s_wait_loadcnt_dscnt 0x0
	flat_store_b32 v[28:29], v61 scope:SCOPE_SYS
.LBB2_928:                              ;   in Loop: Header=BB2_583 Depth=2
	s_wait_xcnt 0x0
	s_or_b32 exec_lo, exec_lo, s13
	v_and_b32_e32 v2, 48, v30
	s_mov_b32 s13, exec_lo
	s_delay_alu instid0(VALU_DEP_1)
	v_cmpx_ne_u32_e32 0, v2
	s_cbranch_execz .LBB2_582
; %bb.929:                              ;   in Loop: Header=BB2_583 Depth=2
	v_add_nc_u64_e32 v[98:99], 2, v[98:99]
	global_wb scope:SCOPE_SYS
	s_wait_storecnt 0x0
	s_wait_loadcnt_dscnt 0x0
	flat_store_b64 v[22:23], v[98:99] scope:SCOPE_SYS
	s_branch .LBB2_582
.LBB2_930:                              ;   in Loop: Header=BB2_47 Depth=1
	s_or_b32 exec_lo, exec_lo, s27
.LBB2_931:                              ;   in Loop: Header=BB2_47 Depth=1
	s_delay_alu instid0(SALU_CYCLE_1) | instskip(NEXT) | instid1(SALU_CYCLE_1)
	s_or_b32 exec_lo, exec_lo, s18
	s_mov_b32 s14, exec_lo
	v_cmpx_gt_i32_e32 2, v2
	s_cbranch_execz .LBB2_1007
; %bb.932:                              ;   in Loop: Header=BB2_47 Depth=1
	v_cmp_eq_u32_e64 s18, 0, v2
	s_mov_b32 s15, 0
	s_branch .LBB2_934
.LBB2_933:                              ;   in Loop: Header=BB2_934 Depth=2
	s_wait_xcnt 0x0
	s_or_b32 exec_lo, exec_lo, s13
	v_add_nc_u32_e32 v114, v112, v114
	s_mov_b32 s18, 0
	s_and_not1_b32 exec_lo, exec_lo, s15
	s_cbranch_execz .LBB2_1006
.LBB2_934:                              ;   Parent Loop BB2_47 Depth=1
                                        ; =>  This Loop Header: Depth=2
                                        ;       Child Loop BB2_940 Depth 3
                                        ;       Child Loop BB2_968 Depth 3
                                        ;       Child Loop BB2_991 Depth 3
	s_delay_alu instid0(VALU_DEP_1) | instskip(SKIP_2) | instid1(VALU_DEP_2)
	v_sub_nc_u32_e32 v2, v75, v114
	v_and_b32_e32 v8, 12, v30
	s_mov_b32 s27, exec_lo
	v_min_i32_e32 v112, v112, v2
	s_delay_alu instid0(VALU_DEP_2)
	v_cmpx_ne_u32_e32 0, v8
	s_cbranch_execz .LBB2_960
; %bb.935:                              ;   in Loop: Header=BB2_934 Depth=2
	v_and_b32_e32 v2, 8, v30
	v_add_nc_u64_e32 v[8:9], 2, v[98:99]
	s_mov_b32 s40, exec_lo
	s_wait_loadcnt_dscnt 0x1
	s_delay_alu instid0(VALU_DEP_2) | instskip(NEXT) | instid1(VALU_DEP_1)
	v_add_nc_u64_e32 v[10:11], v[34:35], v[2:3]
	v_cmpx_lt_u64_e64 v[10:11], v[8:9]
	s_cbranch_execz .LBB2_947
; %bb.936:                              ;   in Loop: Header=BB2_934 Depth=2
	v_and_b32_e32 v10, 64, v30
	s_mov_b32 s41, 0
	s_mov_b32 s63, 0
                                        ; implicit-def: $sgpr60
                                        ; implicit-def: $sgpr61
                                        ; implicit-def: $sgpr62
	s_delay_alu instid0(VALU_DEP_1)
	v_cmp_eq_u32_e32 vcc_lo, 0, v10
	s_branch .LBB2_940
.LBB2_937:                              ;   in Loop: Header=BB2_940 Depth=3
	s_wait_loadcnt_dscnt 0x0
	v_add_nc_u64_e32 v[12:13], v[34:35], v[2:3]
	s_or_b32 s74, s74, exec_lo
	s_delay_alu instid0(VALU_DEP_1)
	v_cmp_ge_u64_e64 s13, v[12:13], v[8:9]
	s_or_not1_b32 s73, s13, exec_lo
.LBB2_938:                              ;   in Loop: Header=BB2_940 Depth=3
	s_or_b32 exec_lo, exec_lo, s76
	s_delay_alu instid0(SALU_CYCLE_1)
	s_and_not1_b32 s13, s62, exec_lo
	s_and_b32 s62, s74, exec_lo
	s_and_not1_b32 s61, s61, exec_lo
	s_and_b32 s73, s73, exec_lo
	s_or_b32 s62, s13, s62
	s_or_b32 s61, s61, s73
.LBB2_939:                              ;   in Loop: Header=BB2_940 Depth=3
	s_or_b32 exec_lo, exec_lo, s72
	s_delay_alu instid0(SALU_CYCLE_1) | instskip(NEXT) | instid1(SALU_CYCLE_1)
	s_and_b32 s13, exec_lo, s61
	s_or_b32 s41, s13, s41
	s_and_not1_b32 s13, s60, exec_lo
	s_and_b32 s60, s62, exec_lo
	s_delay_alu instid0(SALU_CYCLE_1)
	s_or_b32 s60, s13, s60
	s_and_not1_b32 exec_lo, exec_lo, s41
	s_cbranch_execz .LBB2_944
.LBB2_940:                              ;   Parent Loop BB2_47 Depth=1
                                        ;     Parent Loop BB2_934 Depth=2
                                        ; =>    This Inner Loop Header: Depth=3
	s_sleep 1
	s_wait_loadcnt_dscnt 0x0
	flat_load_b64 v[34:35], v[22:23] scope:SCOPE_SYS
	s_or_b32 s62, s62, exec_lo
	s_or_b32 s61, s61, exec_lo
                                        ; implicit-def: $vgpr10
	s_wait_xcnt 0x0
	s_and_saveexec_b32 s72, vcc_lo
	s_cbranch_execz .LBB2_939
; %bb.941:                              ;   in Loop: Header=BB2_940 Depth=3
	s_cmp_lt_i32 s63, 0x270f
	s_mov_b32 s73, -1
	s_cselect_b32 s75, -1, 0
	s_cmp_gt_i32 s63, 0x270e
	s_cbranch_scc0 .LBB2_943
; %bb.942:                              ;   in Loop: Header=BB2_940 Depth=3
	s_trap 2
	ds_load_b64 v[10:11], v0
	s_and_not1_b32 s63, s75, exec_lo
	s_mov_b32 s74, 0
	s_wait_storecnt 0x0
	s_wait_loadcnt_dscnt 0x0
	flat_load_b32 v10, v[10:11] scope:SCOPE_SYS
	s_wait_loadcnt_dscnt 0x0
	global_inv scope:SCOPE_SYS
	v_cmp_eq_u32_e64 s13, 0, v10
	s_and_b32 s13, s13, exec_lo
	s_delay_alu instid0(SALU_CYCLE_1)
	s_or_b32 s75, s63, s13
	s_mov_b32 s63, 0
	s_and_saveexec_b32 s76, s75
	s_cbranch_execz .LBB2_938
	s_branch .LBB2_937
.LBB2_943:                              ;   in Loop: Header=BB2_940 Depth=3
	s_add_co_i32 s63, s63, 1
	s_mov_b32 s74, -1
                                        ; implicit-def: $vgpr10
	s_and_saveexec_b32 s76, s75
	s_cbranch_execz .LBB2_938
	s_branch .LBB2_937
.LBB2_944:                              ;   in Loop: Header=BB2_934 Depth=2
	s_or_b32 exec_lo, exec_lo, s41
	s_xor_b32 s13, s60, -1
	s_delay_alu instid0(SALU_CYCLE_1) | instskip(NEXT) | instid1(SALU_CYCLE_1)
	s_and_saveexec_b32 s41, s13
	s_xor_b32 s13, exec_lo, s41
	s_cbranch_execz .LBB2_946
; %bb.945:                              ;   in Loop: Header=BB2_934 Depth=2
	v_or_b32_e32 v30, 64, v30
	s_wait_storecnt 0x0
	s_wait_loadcnt_dscnt 0x0
	ds_store_b32 v0, v10
	s_trap 2
.LBB2_946:                              ;   in Loop: Header=BB2_934 Depth=2
	s_or_b32 exec_lo, exec_lo, s13
.LBB2_947:                              ;   in Loop: Header=BB2_934 Depth=2
	s_delay_alu instid0(SALU_CYCLE_1) | instskip(SKIP_2) | instid1(VALU_DEP_1)
	s_or_b32 exec_lo, exec_lo, s40
	v_and_b32_e32 v10, 0x108, v30
	;;#ASMSTART
	s_wakeup
	;;#ASMEND
	v_cmp_ne_u32_e32 vcc_lo, 0x108, v10
                                        ; implicit-def: $vgpr10_vgpr11
	s_and_saveexec_b32 s13, vcc_lo
	s_delay_alu instid0(SALU_CYCLE_1)
	s_xor_b32 s13, exec_lo, s13
; %bb.948:                              ;   in Loop: Header=BB2_934 Depth=2
	v_dual_mov_b32 v11, v3 :: v_dual_bitop2_b32 v10, 7, v98 bitop3:0x40
                                        ; implicit-def: $vgpr98_vgpr99
; %bb.949:                              ;   in Loop: Header=BB2_934 Depth=2
	s_and_not1_saveexec_b32 s13, s13
	s_cbranch_execz .LBB2_951
; %bb.950:                              ;   in Loop: Header=BB2_934 Depth=2
	v_dual_ashrrev_i32 v113, 31, v112 :: v_dual_bitop2_b32 v10, 7, v98 bitop3:0x40
	v_mov_b32_e32 v11, v3
	s_delay_alu instid0(VALU_DEP_2) | instskip(NEXT) | instid1(VALU_DEP_3)
	v_mad_nc_u64_u32 v[12:13], v10, 24, v[6:7]
	v_lshlrev_b64_e32 v[14:15], 1, v[112:113]
	flat_store_b64 v[12:13], v[14:15] offset:8
.LBB2_951:                              ;   in Loop: Header=BB2_934 Depth=2
	s_wait_xcnt 0x0
	s_or_b32 exec_lo, exec_lo, s13
	v_and_b32_e32 v12, 0x100, v30
	s_mov_b32 s13, -1
	s_delay_alu instid0(VALU_DEP_1)
	v_cmp_ne_u32_e32 vcc_lo, 0, v12
                                        ; implicit-def: $vgpr12_vgpr13
	s_and_saveexec_b32 s40, vcc_lo
	s_cbranch_execz .LBB2_955
; %bb.952:                              ;   in Loop: Header=BB2_934 Depth=2
	v_mad_nc_u64_u32 v[14:15], v10, 24, v[6:7]
	s_delay_alu instid0(VALU_DEP_1)
	v_mad_u32 v15, v11, 24, v15
	flat_load_b32 v12, v[14:15]
	s_wait_loadcnt_dscnt 0x0
	v_cmp_eq_u32_e64 s13, 1, v12
	v_cmp_ne_u32_e32 vcc_lo, 1, v12
                                        ; implicit-def: $vgpr12_vgpr13
	s_wait_xcnt 0x0
	s_and_saveexec_b32 s41, s13
	s_cbranch_execz .LBB2_954
; %bb.953:                              ;   in Loop: Header=BB2_934 Depth=2
	flat_load_b32 v12, v[14:15] offset:4 scope:SCOPE_SYS
	s_wait_loadcnt_dscnt 0x0
	v_ashrrev_i32_e32 v13, 31, v12
	s_delay_alu instid0(VALU_DEP_1)
	v_lshrrev_b64 v[12:13], 1, v[12:13]
.LBB2_954:                              ;   in Loop: Header=BB2_934 Depth=2
	s_wait_xcnt 0x0
	s_or_b32 exec_lo, exec_lo, s41
	s_delay_alu instid0(SALU_CYCLE_1)
	s_or_not1_b32 s13, vcc_lo, exec_lo
.LBB2_955:                              ;   in Loop: Header=BB2_934 Depth=2
	s_or_b32 exec_lo, exec_lo, s40
	s_and_saveexec_b32 s40, s13
; %bb.956:                              ;   in Loop: Header=BB2_934 Depth=2
	v_mul_u64_e32 v[12:13], v[10:11], v[24:25]
; %bb.957:                              ;   in Loop: Header=BB2_934 Depth=2
	s_or_b32 exec_lo, exec_lo, s40
	v_cmp_eq_u32_e32 vcc_lo, 0, v2
	v_and_b32_e32 v14, 0x2000, v30
	s_delay_alu instid0(VALU_DEP_3) | instskip(SKIP_2) | instid1(VALU_DEP_1)
	v_lshl_add_u64 v[10:11], v[12:13], 1, v[26:27]
	s_mov_b32 s13, exec_lo
	v_cndmask_b32_e32 v2, 0xd0, v62, vcc_lo
	v_add_nc_u32_e32 v2, v0, v2
	ds_store_b64 v2, v[10:11] offset:584
	v_cmpx_ne_u32_e32 0, v14
	s_cbranch_execz .LBB2_959
; %bb.958:                              ;   in Loop: Header=BB2_934 Depth=2
	ds_load_b64 v[10:11], v0 offset:872
	s_wait_dscnt 0x0
	v_add_nc_u64_e32 v[10:11], 1, v[10:11]
	ds_store_b64 v0, v[10:11] offset:872
.LBB2_959:                              ;   in Loop: Header=BB2_934 Depth=2
	s_or_b32 exec_lo, exec_lo, s13
	v_mov_b64_e32 v[98:99], v[8:9]
.LBB2_960:                              ;   in Loop: Header=BB2_934 Depth=2
	s_or_b32 exec_lo, exec_lo, s27
	s_xor_b32 s13, s18, -1
	s_delay_alu instid0(SALU_CYCLE_1) | instskip(NEXT) | instid1(SALU_CYCLE_1)
	s_and_b32 s13, exec_lo, s13
	s_or_b32 s15, s13, s15
	s_and_saveexec_b32 s13, s2
	s_cbranch_execz .LBB2_979
; %bb.961:                              ;   in Loop: Header=BB2_934 Depth=2
	s_and_saveexec_b32 s18, s3
	s_delay_alu instid0(SALU_CYCLE_1)
	s_xor_b32 s18, exec_lo, s18
	s_cbranch_execz .LBB2_976
; %bb.962:                              ;   in Loop: Header=BB2_934 Depth=2
	s_and_saveexec_b32 s27, s6
	s_cbranch_execz .LBB2_975
; %bb.963:                              ;   in Loop: Header=BB2_934 Depth=2
	s_mov_b32 s41, exec_lo
	s_mov_b32 s40, exec_lo
	v_mbcnt_lo_u32_b32 v2, s41, 0
	global_wb scope:SCOPE_DEV
	s_wait_storecnt 0x0
	s_wait_loadcnt_dscnt 0x0
	global_inv scope:SCOPE_DEV
	v_cmpx_eq_u32_e32 0, v2
	s_cbranch_execz .LBB2_965
; %bb.964:                              ;   in Loop: Header=BB2_934 Depth=2
	s_bcnt1_i32_b32 s41, s41
	s_delay_alu instid0(SALU_CYCLE_1)
	v_mov_b32_e32 v2, s41
	s_wait_loadcnt 0x0
	ds_add_u64 v0, v[2:3]
	s_trap 2
.LBB2_965:                              ;   in Loop: Header=BB2_934 Depth=2
	s_or_b32 exec_lo, exec_lo, s40
	s_trap 2
	ds_load_b64 v[8:9], v0
	s_wait_dscnt 0x0
	v_add_nc_u64_e32 v[32:33], v[32:33], v[36:37]
	s_mov_b32 s40, exec_lo
	s_delay_alu instid0(VALU_DEP_1)
	v_cmpx_lt_u64_e64 v[8:9], v[32:33]
	s_cbranch_execz .LBB2_974
; %bb.966:                              ;   in Loop: Header=BB2_934 Depth=2
	s_mov_b32 s41, 0
	s_mov_b32 s62, 0
                                        ; implicit-def: $sgpr60
                                        ; implicit-def: $sgpr61
	s_branch .LBB2_968
.LBB2_967:                              ;   in Loop: Header=BB2_968 Depth=3
	s_or_b32 exec_lo, exec_lo, s72
	s_delay_alu instid0(SALU_CYCLE_1) | instskip(NEXT) | instid1(SALU_CYCLE_1)
	s_and_b32 s63, exec_lo, s73
	s_or_b32 s41, s63, s41
	s_and_not1_b32 s60, s60, exec_lo
	s_and_b32 s63, s61, exec_lo
	s_delay_alu instid0(SALU_CYCLE_1)
	s_or_b32 s60, s60, s63
	s_and_not1_b32 exec_lo, exec_lo, s41
	s_cbranch_execz .LBB2_972
.LBB2_968:                              ;   Parent Loop BB2_47 Depth=1
                                        ;     Parent Loop BB2_934 Depth=2
                                        ; =>    This Inner Loop Header: Depth=3
	s_add_co_i32 s62, s62, 1
	s_delay_alu instid0(SALU_CYCLE_1) | instskip(SKIP_1) | instid1(SALU_CYCLE_1)
	s_cmp_lg_u32 s62, 0x2710
	s_cselect_b32 s63, -1, 0
	s_and_b32 vcc_lo, exec_lo, s63
	s_cbranch_vccz .LBB2_970
; %bb.969:                              ;   in Loop: Header=BB2_968 Depth=3
	s_mov_b32 s73, -1
	s_or_b32 s61, s61, exec_lo
	s_and_saveexec_b32 s72, s63
	s_cbranch_execz .LBB2_967
	s_branch .LBB2_971
.LBB2_970:                              ;   in Loop: Header=BB2_968 Depth=3
	s_trap 2
	ds_load_b64 v[8:9], v0
	s_and_not1_b32 s63, s63, exec_lo
	s_mov_b32 s62, 0
	s_wait_loadcnt_dscnt 0x0
	flat_load_b32 v2, v[8:9] scope:SCOPE_SYS
	s_wait_loadcnt_dscnt 0x0
	global_inv scope:SCOPE_SYS
	v_cmp_eq_u32_e32 vcc_lo, 0, v2
	s_and_b32 s72, vcc_lo, exec_lo
	s_delay_alu instid0(SALU_CYCLE_1)
	s_or_b32 s63, s63, s72
	s_mov_b32 s73, -1
	s_or_b32 s61, s61, exec_lo
	s_and_saveexec_b32 s72, s63
	s_cbranch_execz .LBB2_967
.LBB2_971:                              ;   in Loop: Header=BB2_968 Depth=3
	s_sleep 1
	s_trap 2
	ds_load_b64 v[8:9], v0
	s_wait_dscnt 0x0
	s_and_not1_b32 s61, s61, exec_lo
	v_cmp_ge_u64_e32 vcc_lo, v[8:9], v[32:33]
	s_or_not1_b32 s73, vcc_lo, exec_lo
	s_branch .LBB2_967
.LBB2_972:                              ;   in Loop: Header=BB2_934 Depth=2
	s_or_b32 exec_lo, exec_lo, s41
	s_and_saveexec_b32 s41, s60
	s_delay_alu instid0(SALU_CYCLE_1)
	s_xor_b32 s41, exec_lo, s41
	s_cbranch_execz .LBB2_974
; %bb.973:                              ;   in Loop: Header=BB2_934 Depth=2
	ds_store_b32 v0, v61
	s_trap 2
.LBB2_974:                              ;   in Loop: Header=BB2_934 Depth=2
	s_or_b32 exec_lo, exec_lo, s40
	;;#ASMSTART
	s_wakeup
	;;#ASMEND
.LBB2_975:                              ;   in Loop: Header=BB2_934 Depth=2
	s_or_b32 exec_lo, exec_lo, s27
.LBB2_976:                              ;   in Loop: Header=BB2_934 Depth=2
	s_and_not1_saveexec_b32 s18, s18
	s_cbranch_execz .LBB2_978
; %bb.977:                              ;   in Loop: Header=BB2_934 Depth=2
	global_wb scope:SCOPE_DEV
	s_wait_storecnt 0x0
	s_wait_loadcnt_dscnt 0x0
	global_inv scope:SCOPE_DEV
	s_barrier_signal -1
	s_barrier_wait -1
.LBB2_978:                              ;   in Loop: Header=BB2_934 Depth=2
	s_or_b32 exec_lo, exec_lo, s18
.LBB2_979:                              ;   in Loop: Header=BB2_934 Depth=2
	s_delay_alu instid0(SALU_CYCLE_1) | instskip(SKIP_2) | instid1(SALU_CYCLE_1)
	s_or_b32 exec_lo, exec_lo, s13
	v_and_b32_e32 v8, 16, v30
	s_and_saveexec_b32 s13, s7
	s_xor_b32 s18, exec_lo, s13
	s_cbranch_execz .LBB2_983
; %bb.980:                              ;   in Loop: Header=BB2_934 Depth=2
	s_trap 2
	ds_load_b32 v2, v0
	v_cmp_lt_i32_e32 vcc_lo, 0, v112
	v_and_b32_e32 v8, 16, v30
	s_wait_dscnt 0x0
	v_readfirstlane_b32 s13, v2
	v_and_b32_e32 v2, 16, v30
	s_cmp_eq_u32 s13, 0
	s_delay_alu instid0(VALU_DEP_1) | instskip(SKIP_1) | instid1(SALU_CYCLE_1)
	v_cmp_ne_u32_e64 s13, 0, v2
	s_cselect_b32 s27, -1, 0
	s_and_b32 s27, vcc_lo, s27
	s_delay_alu instid0(SALU_CYCLE_1) | instskip(NEXT) | instid1(SALU_CYCLE_1)
	s_and_b32 s27, s13, s27
	s_and_saveexec_b32 s13, s27
	s_cbranch_execz .LBB2_982
; %bb.981:                              ;   in Loop: Header=BB2_934 Depth=2
	v_mov_b32_e32 v8, 1
	global_wb scope:SCOPE_SYS
	s_wait_loadcnt 0x0
	s_wait_storecnt 0x0
	global_inv scope:SCOPE_SYS
.LBB2_982:                              ;   in Loop: Header=BB2_934 Depth=2
	s_or_b32 exec_lo, exec_lo, s13
.LBB2_983:                              ;   in Loop: Header=BB2_934 Depth=2
	s_and_not1_saveexec_b32 s13, s18
	s_cbranch_execz .LBB2_1002
; %bb.984:                              ;   in Loop: Header=BB2_934 Depth=2
	s_and_saveexec_b32 s18, s3
	s_delay_alu instid0(SALU_CYCLE_1)
	s_xor_b32 s18, exec_lo, s18
	s_cbranch_execz .LBB2_999
; %bb.985:                              ;   in Loop: Header=BB2_934 Depth=2
	s_and_saveexec_b32 s27, s6
	s_cbranch_execz .LBB2_998
; %bb.986:                              ;   in Loop: Header=BB2_934 Depth=2
	s_mov_b32 s41, exec_lo
	s_mov_b32 s40, exec_lo
	v_mbcnt_lo_u32_b32 v2, s41, 0
	;;#ASMSTART
	s_waitcnt lgkmcnt(0) vmcnt(0)
	;;#ASMEND
	s_delay_alu instid0(VALU_DEP_1)
	v_cmpx_eq_u32_e32 0, v2
	s_cbranch_execz .LBB2_988
; %bb.987:                              ;   in Loop: Header=BB2_934 Depth=2
	s_bcnt1_i32_b32 s41, s41
	s_delay_alu instid0(SALU_CYCLE_1)
	v_mov_b32_e32 v2, s41
	s_wait_storecnt 0x0
	s_wait_loadcnt_dscnt 0x0
	ds_add_u64 v0, v[2:3]
	s_trap 2
.LBB2_988:                              ;   in Loop: Header=BB2_934 Depth=2
	s_or_b32 exec_lo, exec_lo, s40
	s_trap 2
	ds_load_b64 v[10:11], v0
	s_wait_dscnt 0x0
	v_add_nc_u64_e32 v[32:33], v[32:33], v[36:37]
	s_mov_b32 s40, exec_lo
	s_delay_alu instid0(VALU_DEP_1)
	v_cmpx_lt_u64_e64 v[10:11], v[32:33]
	s_cbranch_execz .LBB2_997
; %bb.989:                              ;   in Loop: Header=BB2_934 Depth=2
	s_mov_b32 s41, 0
	s_mov_b32 s62, 0
                                        ; implicit-def: $sgpr60
                                        ; implicit-def: $sgpr61
	s_branch .LBB2_991
.LBB2_990:                              ;   in Loop: Header=BB2_991 Depth=3
	s_or_b32 exec_lo, exec_lo, s72
	s_delay_alu instid0(SALU_CYCLE_1) | instskip(NEXT) | instid1(SALU_CYCLE_1)
	s_and_b32 s63, exec_lo, s73
	s_or_b32 s41, s63, s41
	s_and_not1_b32 s60, s60, exec_lo
	s_and_b32 s63, s61, exec_lo
	s_delay_alu instid0(SALU_CYCLE_1)
	s_or_b32 s60, s60, s63
	s_and_not1_b32 exec_lo, exec_lo, s41
	s_cbranch_execz .LBB2_995
.LBB2_991:                              ;   Parent Loop BB2_47 Depth=1
                                        ;     Parent Loop BB2_934 Depth=2
                                        ; =>    This Inner Loop Header: Depth=3
	s_add_co_i32 s62, s62, 1
	s_delay_alu instid0(SALU_CYCLE_1) | instskip(SKIP_1) | instid1(SALU_CYCLE_1)
	s_cmp_lg_u32 s62, 0x2710
	s_cselect_b32 s63, -1, 0
	s_and_b32 vcc_lo, exec_lo, s63
	s_cbranch_vccz .LBB2_993
; %bb.992:                              ;   in Loop: Header=BB2_991 Depth=3
	s_mov_b32 s73, -1
	s_or_b32 s61, s61, exec_lo
	s_and_saveexec_b32 s72, s63
	s_cbranch_execz .LBB2_990
	s_branch .LBB2_994
.LBB2_993:                              ;   in Loop: Header=BB2_991 Depth=3
	s_trap 2
	ds_load_b64 v[10:11], v0
	s_and_not1_b32 s63, s63, exec_lo
	s_mov_b32 s62, 0
	s_wait_storecnt 0x0
	s_wait_loadcnt_dscnt 0x0
	flat_load_b32 v2, v[10:11] scope:SCOPE_SYS
	s_wait_loadcnt_dscnt 0x0
	global_inv scope:SCOPE_SYS
	v_cmp_eq_u32_e32 vcc_lo, 0, v2
	s_and_b32 s72, vcc_lo, exec_lo
	s_delay_alu instid0(SALU_CYCLE_1)
	s_or_b32 s63, s63, s72
	s_mov_b32 s73, -1
	s_or_b32 s61, s61, exec_lo
	s_and_saveexec_b32 s72, s63
	s_cbranch_execz .LBB2_990
.LBB2_994:                              ;   in Loop: Header=BB2_991 Depth=3
	s_sleep 1
	s_trap 2
	ds_load_b64 v[10:11], v0
	s_wait_dscnt 0x0
	s_and_not1_b32 s61, s61, exec_lo
	v_cmp_ge_u64_e32 vcc_lo, v[10:11], v[32:33]
	s_or_not1_b32 s73, vcc_lo, exec_lo
	s_branch .LBB2_990
.LBB2_995:                              ;   in Loop: Header=BB2_934 Depth=2
	s_or_b32 exec_lo, exec_lo, s41
	s_and_saveexec_b32 s41, s60
	s_delay_alu instid0(SALU_CYCLE_1)
	s_xor_b32 s41, exec_lo, s41
	s_cbranch_execz .LBB2_997
; %bb.996:                              ;   in Loop: Header=BB2_934 Depth=2
	ds_store_b32 v0, v61
	s_trap 2
.LBB2_997:                              ;   in Loop: Header=BB2_934 Depth=2
	s_or_b32 exec_lo, exec_lo, s40
	;;#ASMSTART
	s_wakeup
	;;#ASMEND
.LBB2_998:                              ;   in Loop: Header=BB2_934 Depth=2
	s_or_b32 exec_lo, exec_lo, s27
.LBB2_999:                              ;   in Loop: Header=BB2_934 Depth=2
	s_and_not1_saveexec_b32 s18, s18
	s_cbranch_execz .LBB2_1001
; %bb.1000:                             ;   in Loop: Header=BB2_934 Depth=2
	;;#ASMSTART
	s_waitcnt lgkmcnt(0) vmcnt(0)
	;;#ASMEND
	s_barrier_signal -1
	s_barrier_wait -1
.LBB2_1001:                             ;   in Loop: Header=BB2_934 Depth=2
	s_or_b32 exec_lo, exec_lo, s18
.LBB2_1002:                             ;   in Loop: Header=BB2_934 Depth=2
	s_delay_alu instid0(SALU_CYCLE_1) | instskip(SKIP_2) | instid1(SALU_CYCLE_1)
	s_or_b32 exec_lo, exec_lo, s13
	v_cmp_ne_u32_e32 vcc_lo, 0, v8
	s_xor_b32 s13, s4, -1
	s_and_b32 s18, vcc_lo, s13
	s_delay_alu instid0(SALU_CYCLE_1)
	s_and_saveexec_b32 s13, s18
	s_cbranch_execz .LBB2_1004
; %bb.1003:                             ;   in Loop: Header=BB2_934 Depth=2
	global_wb scope:SCOPE_SYS
	s_wait_storecnt 0x0
	s_wait_loadcnt_dscnt 0x0
	flat_store_b32 v[28:29], v61 scope:SCOPE_SYS
.LBB2_1004:                             ;   in Loop: Header=BB2_934 Depth=2
	s_wait_xcnt 0x0
	s_or_b32 exec_lo, exec_lo, s13
	v_and_b32_e32 v2, 48, v30
	s_mov_b32 s13, exec_lo
	s_delay_alu instid0(VALU_DEP_1)
	v_cmpx_ne_u32_e32 0, v2
	s_cbranch_execz .LBB2_933
; %bb.1005:                             ;   in Loop: Header=BB2_934 Depth=2
	v_add_nc_u64_e32 v[98:99], 2, v[98:99]
	global_wb scope:SCOPE_SYS
	s_wait_storecnt 0x0
	s_wait_loadcnt_dscnt 0x0
	flat_store_b64 v[22:23], v[98:99] scope:SCOPE_SYS
	s_branch .LBB2_933
.LBB2_1006:                             ;   in Loop: Header=BB2_47 Depth=1
	s_or_b32 exec_lo, exec_lo, s15
.LBB2_1007:                             ;   in Loop: Header=BB2_47 Depth=1
	s_delay_alu instid0(SALU_CYCLE_1) | instskip(NEXT) | instid1(SALU_CYCLE_1)
	s_or_b32 exec_lo, exec_lo, s14
	s_and_not1_b32 vcc_lo, exec_lo, s46
	s_cbranch_vccnz .LBB2_1270
; %bb.1008:                             ;   in Loop: Header=BB2_47 Depth=1
	s_mov_b32 s18, 1
.LBB2_1009:                             ;   Parent Loop BB2_47 Depth=1
                                        ; =>  This Loop Header: Depth=2
                                        ;       Child Loop BB2_1012 Depth 3
                                        ;         Child Loop BB2_1020 Depth 4
                                        ;         Child Loop BB2_1048 Depth 4
	;; [unrolled: 1-line block ×4, first 2 shown]
                                        ;           Child Loop BB2_1091 Depth 5
                                        ;         Child Loop BB2_1097 Depth 4
                                        ;           Child Loop BB2_1098 Depth 5
                                        ;         Child Loop BB2_1107 Depth 4
                                        ;         Child Loop BB2_1112 Depth 4
                                        ;           Child Loop BB2_1113 Depth 5
                                        ;         Child Loop BB2_1125 Depth 4
                                        ;         Child Loop BB2_1130 Depth 4
	;; [unrolled: 1-line block ×6, first 2 shown]
                                        ;       Child Loop BB2_1195 Depth 3
                                        ;         Child Loop BB2_1201 Depth 4
                                        ;         Child Loop BB2_1229 Depth 4
	;; [unrolled: 1-line block ×3, first 2 shown]
	s_delay_alu instid0(SALU_CYCLE_1) | instskip(SKIP_4) | instid1(SALU_CYCLE_1)
	s_sub_co_i32 s13, s44, s18
	s_mov_b32 s60, 0
	s_cmp_ge_i32 s13, s16
	v_mov_b32_e32 v14, 0
	s_cselect_b32 s14, s16, 0
	s_sub_co_i32 s14, s13, s14
	s_delay_alu instid0(SALU_CYCLE_1) | instskip(NEXT) | instid1(SALU_CYCLE_1)
	s_ashr_i32 s15, s14, 31
	v_mul_u64_e32 v[8:9], s[14:15], v[96:97]
	s_delay_alu instid0(VALU_DEP_1) | instskip(NEXT) | instid1(VALU_DEP_1)
	v_sub_nc_u64_e32 v[10:11], v[100:101], v[8:9]
	v_min_i64 v[10:11], v[96:97], v[10:11]
	s_delay_alu instid0(VALU_DEP_1) | instskip(SKIP_1) | instid1(VALU_DEP_2)
	v_max_i32_e32 v46, 0, v10
	v_cmp_lt_i32_e32 vcc_lo, 0, v10
	v_add_nc_u32_e32 v2, 31, v46
	s_and_b32 s13, s57, vcc_lo
	s_delay_alu instid0(VALU_DEP_1) | instskip(NEXT) | instid1(VALU_DEP_1)
	v_lshrrev_b32_e32 v2, 1, v2
	v_and_b32_e32 v11, 0x3ffffff0, v2
	s_delay_alu instid0(VALU_DEP_1)
	v_dual_mov_b32 v2, 0 :: v_dual_max_i32 v12, s45, v11
	s_and_saveexec_b32 s27, s13
	s_cbranch_execz .LBB2_1192
; %bb.1010:                             ;   in Loop: Header=BB2_1009 Depth=2
	v_add_nc_u64_e32 v[8:9], v[8:9], v[102:103]
	v_mov_b32_e32 v14, 0
	s_mov_b32 s62, 1
	s_mov_b32 s61, -1
	s_delay_alu instid0(VALU_DEP_2)
	v_lshlrev_b64_e32 v[112:113], 1, v[8:9]
	s_branch .LBB2_1012
.LBB2_1011:                             ;   in Loop: Header=BB2_1012 Depth=3
	s_wait_xcnt 0x0
	s_or_b32 exec_lo, exec_lo, s13
	v_dual_add_nc_u32 v14, v12, v14 :: v_dual_mov_b32 v2, s62
	s_xor_b32 s13, s61, -1
	s_mov_b32 s61, 0
	s_mov_b32 s62, 2
	s_delay_alu instid0(VALU_DEP_1) | instskip(SKIP_1) | instid1(SALU_CYCLE_1)
	v_cmp_ge_i32_e32 vcc_lo, v14, v46
	s_or_b32 s13, s13, vcc_lo
	s_and_b32 s13, exec_lo, s13
	s_delay_alu instid0(SALU_CYCLE_1) | instskip(NEXT) | instid1(SALU_CYCLE_1)
	s_or_b32 s60, s13, s60
	s_and_not1_b32 exec_lo, exec_lo, s60
	s_cbranch_execz .LBB2_1191
.LBB2_1012:                             ;   Parent Loop BB2_47 Depth=1
                                        ;     Parent Loop BB2_1009 Depth=2
                                        ; =>    This Loop Header: Depth=3
                                        ;         Child Loop BB2_1020 Depth 4
                                        ;         Child Loop BB2_1048 Depth 4
	;; [unrolled: 1-line block ×4, first 2 shown]
                                        ;           Child Loop BB2_1091 Depth 5
                                        ;         Child Loop BB2_1097 Depth 4
                                        ;           Child Loop BB2_1098 Depth 5
                                        ;         Child Loop BB2_1107 Depth 4
                                        ;         Child Loop BB2_1112 Depth 4
                                        ;           Child Loop BB2_1113 Depth 5
                                        ;         Child Loop BB2_1125 Depth 4
                                        ;         Child Loop BB2_1130 Depth 4
	;; [unrolled: 1-line block ×6, first 2 shown]
	s_and_saveexec_b32 s13, s0
	s_cbranch_execz .LBB2_1014
; %bb.1013:                             ;   in Loop: Header=BB2_1012 Depth=3
	s_trap 2
	ds_load_b128 v[8:11], v0
	s_wait_dscnt 0x0
	v_cmp_ne_u64_e32 vcc_lo, 0, v[10:11]
	v_ashrrev_i32_e32 v15, 31, v14
	v_add_nc_u64_e32 v[116:117], v[10:11], v[112:113]
	v_add_nc_u64_e32 v[8:9], v[8:9], v[112:113]
	s_delay_alu instid0(VALU_DEP_3) | instskip(NEXT) | instid1(VALU_DEP_1)
	v_lshlrev_b64_e32 v[114:115], 1, v[14:15]
	v_add_nc_u64_e32 v[116:117], v[116:117], v[114:115]
	s_delay_alu instid0(VALU_DEP_3) | instskip(NEXT) | instid1(VALU_DEP_2)
	v_add_nc_u64_e32 v[8:9], v[8:9], v[114:115]
	v_dual_cndmask_b32 v11, 0, v117 :: v_dual_cndmask_b32 v10, 0, v116
	ds_store_b64 v0, v[8:9]
	ds_store_b64 v0, v[10:11]
.LBB2_1014:                             ;   in Loop: Header=BB2_1012 Depth=3
	s_or_b32 exec_lo, exec_lo, s13
	v_sub_nc_u32_e32 v2, v46, v14
	v_and_b32_e32 v8, 12, v30
	s_mov_b32 s14, exec_lo
	s_delay_alu instid0(VALU_DEP_2) | instskip(NEXT) | instid1(VALU_DEP_2)
	v_min_i32_e32 v12, v12, v2
	v_cmpx_ne_u32_e32 0, v8
	s_cbranch_execz .LBB2_1040
; %bb.1015:                             ;   in Loop: Header=BB2_1012 Depth=3
	v_and_b32_e32 v2, 8, v30
	v_add_nc_u64_e32 v[8:9], 2, v[98:99]
	s_mov_b32 s15, exec_lo
	s_wait_loadcnt_dscnt 0x1
	s_delay_alu instid0(VALU_DEP_2) | instskip(NEXT) | instid1(VALU_DEP_1)
	v_add_nc_u64_e32 v[10:11], v[34:35], v[2:3]
	v_cmpx_lt_u64_e64 v[10:11], v[8:9]
	s_cbranch_execz .LBB2_1027
; %bb.1016:                             ;   in Loop: Header=BB2_1012 Depth=3
	v_and_b32_e32 v10, 64, v30
	s_mov_b32 s40, 0
	s_mov_b32 s73, 0
                                        ; implicit-def: $sgpr41
                                        ; implicit-def: $sgpr63
                                        ; implicit-def: $sgpr72
	s_delay_alu instid0(VALU_DEP_1)
	v_cmp_eq_u32_e32 vcc_lo, 0, v10
	s_branch .LBB2_1020
.LBB2_1017:                             ;   in Loop: Header=BB2_1020 Depth=4
	s_wait_loadcnt_dscnt 0x0
	v_add_nc_u64_e32 v[114:115], v[34:35], v[2:3]
	s_or_b32 s76, s76, exec_lo
	s_delay_alu instid0(VALU_DEP_1)
	v_cmp_ge_u64_e64 s13, v[114:115], v[8:9]
	s_or_not1_b32 s75, s13, exec_lo
.LBB2_1018:                             ;   in Loop: Header=BB2_1020 Depth=4
	s_or_b32 exec_lo, exec_lo, s78
	s_delay_alu instid0(SALU_CYCLE_1)
	s_and_not1_b32 s13, s72, exec_lo
	s_and_b32 s72, s76, exec_lo
	s_and_not1_b32 s63, s63, exec_lo
	s_and_b32 s75, s75, exec_lo
	s_or_b32 s72, s13, s72
	s_or_b32 s63, s63, s75
.LBB2_1019:                             ;   in Loop: Header=BB2_1020 Depth=4
	s_or_b32 exec_lo, exec_lo, s74
	s_delay_alu instid0(SALU_CYCLE_1) | instskip(NEXT) | instid1(SALU_CYCLE_1)
	s_and_b32 s13, exec_lo, s63
	s_or_b32 s40, s13, s40
	s_and_not1_b32 s13, s41, exec_lo
	s_and_b32 s41, s72, exec_lo
	s_delay_alu instid0(SALU_CYCLE_1)
	s_or_b32 s41, s13, s41
	s_and_not1_b32 exec_lo, exec_lo, s40
	s_cbranch_execz .LBB2_1024
.LBB2_1020:                             ;   Parent Loop BB2_47 Depth=1
                                        ;     Parent Loop BB2_1009 Depth=2
                                        ;       Parent Loop BB2_1012 Depth=3
                                        ; =>      This Inner Loop Header: Depth=4
	s_sleep 1
	s_wait_loadcnt_dscnt 0x0
	flat_load_b64 v[34:35], v[22:23] scope:SCOPE_SYS
	s_or_b32 s72, s72, exec_lo
	s_or_b32 s63, s63, exec_lo
                                        ; implicit-def: $vgpr10
	s_wait_xcnt 0x0
	s_and_saveexec_b32 s74, vcc_lo
	s_cbranch_execz .LBB2_1019
; %bb.1021:                             ;   in Loop: Header=BB2_1020 Depth=4
	s_cmp_lt_i32 s73, 0x270f
	s_mov_b32 s75, -1
	s_cselect_b32 s77, -1, 0
	s_cmp_gt_i32 s73, 0x270e
	s_cbranch_scc0 .LBB2_1023
; %bb.1022:                             ;   in Loop: Header=BB2_1020 Depth=4
	s_trap 2
	ds_load_b64 v[10:11], v0
	s_and_not1_b32 s73, s77, exec_lo
	s_mov_b32 s76, 0
	s_wait_storecnt 0x0
	s_wait_loadcnt_dscnt 0x0
	flat_load_b32 v10, v[10:11] scope:SCOPE_SYS
	s_wait_loadcnt_dscnt 0x0
	global_inv scope:SCOPE_SYS
	v_cmp_eq_u32_e64 s13, 0, v10
	s_and_b32 s13, s13, exec_lo
	s_delay_alu instid0(SALU_CYCLE_1)
	s_or_b32 s77, s73, s13
	s_mov_b32 s73, 0
	s_and_saveexec_b32 s78, s77
	s_cbranch_execz .LBB2_1018
	s_branch .LBB2_1017
.LBB2_1023:                             ;   in Loop: Header=BB2_1020 Depth=4
	s_add_co_i32 s73, s73, 1
	s_mov_b32 s76, -1
                                        ; implicit-def: $vgpr10
	s_and_saveexec_b32 s78, s77
	s_cbranch_execz .LBB2_1018
	s_branch .LBB2_1017
.LBB2_1024:                             ;   in Loop: Header=BB2_1012 Depth=3
	s_or_b32 exec_lo, exec_lo, s40
	s_xor_b32 s13, s41, -1
	s_delay_alu instid0(SALU_CYCLE_1) | instskip(NEXT) | instid1(SALU_CYCLE_1)
	s_and_saveexec_b32 s40, s13
	s_xor_b32 s13, exec_lo, s40
	s_cbranch_execz .LBB2_1026
; %bb.1025:                             ;   in Loop: Header=BB2_1012 Depth=3
	v_or_b32_e32 v30, 64, v30
	s_wait_storecnt 0x0
	s_wait_loadcnt_dscnt 0x0
	ds_store_b32 v0, v10
	s_trap 2
.LBB2_1026:                             ;   in Loop: Header=BB2_1012 Depth=3
	s_or_b32 exec_lo, exec_lo, s13
.LBB2_1027:                             ;   in Loop: Header=BB2_1012 Depth=3
	s_delay_alu instid0(SALU_CYCLE_1) | instskip(SKIP_2) | instid1(VALU_DEP_1)
	s_or_b32 exec_lo, exec_lo, s15
	v_and_b32_e32 v10, 0x108, v30
	;;#ASMSTART
	s_wakeup
	;;#ASMEND
	v_cmp_ne_u32_e32 vcc_lo, 0x108, v10
                                        ; implicit-def: $vgpr10_vgpr11
	s_and_saveexec_b32 s13, vcc_lo
	s_delay_alu instid0(SALU_CYCLE_1)
	s_xor_b32 s13, exec_lo, s13
; %bb.1028:                             ;   in Loop: Header=BB2_1012 Depth=3
	v_dual_mov_b32 v11, v3 :: v_dual_bitop2_b32 v10, 7, v98 bitop3:0x40
                                        ; implicit-def: $vgpr98_vgpr99
; %bb.1029:                             ;   in Loop: Header=BB2_1012 Depth=3
	s_and_not1_saveexec_b32 s13, s13
	s_cbranch_execz .LBB2_1031
; %bb.1030:                             ;   in Loop: Header=BB2_1012 Depth=3
	v_dual_ashrrev_i32 v13, 31, v12 :: v_dual_bitop2_b32 v10, 7, v98 bitop3:0x40
	v_mov_b32_e32 v11, v3
	s_delay_alu instid0(VALU_DEP_2) | instskip(NEXT) | instid1(VALU_DEP_3)
	v_mad_nc_u64_u32 v[98:99], v10, 24, v[6:7]
	v_lshlrev_b64_e32 v[114:115], 1, v[12:13]
	flat_store_b64 v[98:99], v[114:115] offset:8
.LBB2_1031:                             ;   in Loop: Header=BB2_1012 Depth=3
	s_wait_xcnt 0x0
	s_or_b32 exec_lo, exec_lo, s13
	v_and_b32_e32 v13, 0x100, v30
	s_mov_b32 s13, -1
	s_mov_b32 s15, exec_lo
                                        ; implicit-def: $vgpr98_vgpr99
	s_delay_alu instid0(VALU_DEP_1)
	v_cmpx_ne_u32_e32 0, v13
	s_cbranch_execz .LBB2_1035
; %bb.1032:                             ;   in Loop: Header=BB2_1012 Depth=3
	v_mad_nc_u64_u32 v[114:115], v10, 24, v[6:7]
	s_mov_b32 s40, exec_lo
                                        ; implicit-def: $vgpr98_vgpr99
	s_delay_alu instid0(VALU_DEP_1)
	v_mad_u32 v115, v11, 24, v115
	flat_load_b32 v13, v[114:115]
	s_wait_loadcnt_dscnt 0x0
	v_cmp_ne_u32_e32 vcc_lo, 1, v13
	s_wait_xcnt 0x0
	v_cmpx_eq_u32_e32 1, v13
	s_cbranch_execz .LBB2_1034
; %bb.1033:                             ;   in Loop: Header=BB2_1012 Depth=3
	flat_load_b32 v98, v[114:115] offset:4 scope:SCOPE_SYS
	s_wait_loadcnt_dscnt 0x0
	v_ashrrev_i32_e32 v99, 31, v98
	s_delay_alu instid0(VALU_DEP_1)
	v_lshrrev_b64 v[98:99], 1, v[98:99]
.LBB2_1034:                             ;   in Loop: Header=BB2_1012 Depth=3
	s_wait_xcnt 0x0
	s_or_b32 exec_lo, exec_lo, s40
	s_delay_alu instid0(SALU_CYCLE_1)
	s_or_not1_b32 s13, vcc_lo, exec_lo
.LBB2_1035:                             ;   in Loop: Header=BB2_1012 Depth=3
	s_or_b32 exec_lo, exec_lo, s15
	s_and_saveexec_b32 s15, s13
; %bb.1036:                             ;   in Loop: Header=BB2_1012 Depth=3
	v_mul_u64_e32 v[98:99], v[10:11], v[24:25]
; %bb.1037:                             ;   in Loop: Header=BB2_1012 Depth=3
	s_or_b32 exec_lo, exec_lo, s15
	v_cmp_eq_u32_e32 vcc_lo, 0, v2
	v_and_b32_e32 v13, 0x2000, v30
	s_delay_alu instid0(VALU_DEP_3) | instskip(SKIP_2) | instid1(VALU_DEP_1)
	v_lshl_add_u64 v[10:11], v[98:99], 1, v[26:27]
	s_mov_b32 s13, exec_lo
	v_cndmask_b32_e32 v2, 0xd0, v63, vcc_lo
	v_add_nc_u32_e32 v2, v0, v2
	ds_store_b64 v2, v[10:11] offset:584
	v_cmpx_ne_u32_e32 0, v13
	s_cbranch_execz .LBB2_1039
; %bb.1038:                             ;   in Loop: Header=BB2_1012 Depth=3
	ds_load_b64 v[10:11], v0 offset:872
	s_wait_dscnt 0x0
	v_add_nc_u64_e32 v[10:11], 1, v[10:11]
	ds_store_b64 v0, v[10:11] offset:872
.LBB2_1039:                             ;   in Loop: Header=BB2_1012 Depth=3
	s_or_b32 exec_lo, exec_lo, s13
	v_mov_b64_e32 v[98:99], v[8:9]
.LBB2_1040:                             ;   in Loop: Header=BB2_1012 Depth=3
	s_or_b32 exec_lo, exec_lo, s14
	s_and_saveexec_b32 s13, s2
	s_cbranch_execz .LBB2_1059
; %bb.1041:                             ;   in Loop: Header=BB2_1012 Depth=3
	s_and_saveexec_b32 s14, s3
	s_delay_alu instid0(SALU_CYCLE_1)
	s_xor_b32 s14, exec_lo, s14
	s_cbranch_execz .LBB2_1056
; %bb.1042:                             ;   in Loop: Header=BB2_1012 Depth=3
	s_and_saveexec_b32 s15, s6
	s_cbranch_execz .LBB2_1055
; %bb.1043:                             ;   in Loop: Header=BB2_1012 Depth=3
	s_mov_b32 s41, exec_lo
	s_mov_b32 s40, exec_lo
	v_mbcnt_lo_u32_b32 v2, s41, 0
	global_wb scope:SCOPE_DEV
	s_wait_storecnt 0x0
	s_wait_loadcnt_dscnt 0x0
	global_inv scope:SCOPE_DEV
	v_cmpx_eq_u32_e32 0, v2
	s_cbranch_execz .LBB2_1045
; %bb.1044:                             ;   in Loop: Header=BB2_1012 Depth=3
	s_bcnt1_i32_b32 s41, s41
	s_delay_alu instid0(SALU_CYCLE_1)
	v_mov_b32_e32 v2, s41
	s_wait_loadcnt 0x0
	ds_add_u64 v0, v[2:3]
	s_trap 2
.LBB2_1045:                             ;   in Loop: Header=BB2_1012 Depth=3
	s_or_b32 exec_lo, exec_lo, s40
	s_trap 2
	ds_load_b64 v[8:9], v0
	s_wait_dscnt 0x0
	v_add_nc_u64_e32 v[32:33], v[32:33], v[36:37]
	s_mov_b32 s40, exec_lo
	s_delay_alu instid0(VALU_DEP_1)
	v_cmpx_lt_u64_e64 v[8:9], v[32:33]
	s_cbranch_execz .LBB2_1054
; %bb.1046:                             ;   in Loop: Header=BB2_1012 Depth=3
	s_mov_b32 s41, 0
	s_mov_b32 s73, 0
                                        ; implicit-def: $sgpr63
                                        ; implicit-def: $sgpr72
	s_branch .LBB2_1048
.LBB2_1047:                             ;   in Loop: Header=BB2_1048 Depth=4
	s_or_b32 exec_lo, exec_lo, s75
	s_delay_alu instid0(SALU_CYCLE_1) | instskip(NEXT) | instid1(SALU_CYCLE_1)
	s_and_b32 s74, exec_lo, s76
	s_or_b32 s41, s74, s41
	s_and_not1_b32 s63, s63, exec_lo
	s_and_b32 s74, s72, exec_lo
	s_delay_alu instid0(SALU_CYCLE_1)
	s_or_b32 s63, s63, s74
	s_and_not1_b32 exec_lo, exec_lo, s41
	s_cbranch_execz .LBB2_1052
.LBB2_1048:                             ;   Parent Loop BB2_47 Depth=1
                                        ;     Parent Loop BB2_1009 Depth=2
                                        ;       Parent Loop BB2_1012 Depth=3
                                        ; =>      This Inner Loop Header: Depth=4
	s_add_co_i32 s73, s73, 1
	s_delay_alu instid0(SALU_CYCLE_1) | instskip(SKIP_1) | instid1(SALU_CYCLE_1)
	s_cmp_lg_u32 s73, 0x2710
	s_cselect_b32 s74, -1, 0
	s_and_b32 vcc_lo, exec_lo, s74
	s_cbranch_vccz .LBB2_1050
; %bb.1049:                             ;   in Loop: Header=BB2_1048 Depth=4
	s_mov_b32 s76, -1
	s_or_b32 s72, s72, exec_lo
	s_and_saveexec_b32 s75, s74
	s_cbranch_execz .LBB2_1047
	s_branch .LBB2_1051
.LBB2_1050:                             ;   in Loop: Header=BB2_1048 Depth=4
	s_trap 2
	ds_load_b64 v[8:9], v0
	s_and_not1_b32 s74, s74, exec_lo
	s_mov_b32 s73, 0
	s_wait_loadcnt_dscnt 0x0
	flat_load_b32 v2, v[8:9] scope:SCOPE_SYS
	s_wait_loadcnt_dscnt 0x0
	global_inv scope:SCOPE_SYS
	v_cmp_eq_u32_e32 vcc_lo, 0, v2
	s_and_b32 s75, vcc_lo, exec_lo
	s_delay_alu instid0(SALU_CYCLE_1)
	s_or_b32 s74, s74, s75
	s_mov_b32 s76, -1
	s_or_b32 s72, s72, exec_lo
	s_and_saveexec_b32 s75, s74
	s_cbranch_execz .LBB2_1047
.LBB2_1051:                             ;   in Loop: Header=BB2_1048 Depth=4
	s_sleep 1
	s_trap 2
	ds_load_b64 v[8:9], v0
	s_wait_dscnt 0x0
	s_and_not1_b32 s72, s72, exec_lo
	v_cmp_ge_u64_e32 vcc_lo, v[8:9], v[32:33]
	s_or_not1_b32 s76, vcc_lo, exec_lo
	s_branch .LBB2_1047
.LBB2_1052:                             ;   in Loop: Header=BB2_1012 Depth=3
	s_or_b32 exec_lo, exec_lo, s41
	s_and_saveexec_b32 s41, s63
	s_delay_alu instid0(SALU_CYCLE_1)
	s_xor_b32 s41, exec_lo, s41
	s_cbranch_execz .LBB2_1054
; %bb.1053:                             ;   in Loop: Header=BB2_1012 Depth=3
	ds_store_b32 v0, v61
	s_trap 2
.LBB2_1054:                             ;   in Loop: Header=BB2_1012 Depth=3
	s_or_b32 exec_lo, exec_lo, s40
	;;#ASMSTART
	s_wakeup
	;;#ASMEND
.LBB2_1055:                             ;   in Loop: Header=BB2_1012 Depth=3
	s_or_b32 exec_lo, exec_lo, s15
.LBB2_1056:                             ;   in Loop: Header=BB2_1012 Depth=3
	s_and_not1_saveexec_b32 s14, s14
	s_cbranch_execz .LBB2_1058
; %bb.1057:                             ;   in Loop: Header=BB2_1012 Depth=3
	global_wb scope:SCOPE_DEV
	s_wait_storecnt 0x0
	s_wait_loadcnt_dscnt 0x0
	global_inv scope:SCOPE_DEV
	s_barrier_signal -1
	s_barrier_wait -1
.LBB2_1058:                             ;   in Loop: Header=BB2_1012 Depth=3
	s_or_b32 exec_lo, exec_lo, s14
.LBB2_1059:                             ;   in Loop: Header=BB2_1012 Depth=3
	s_delay_alu instid0(SALU_CYCLE_1) | instskip(SKIP_4) | instid1(VALU_DEP_1)
	s_or_b32 exec_lo, exec_lo, s13
	s_trap 2
	ds_load_b32 v8, v0
	v_and_b32_e32 v2, 0x4000, v30
	s_xor_b32 s13, s1, -1
	v_cmp_ne_u32_e32 vcc_lo, 0, v2
	s_and_b32 s14, s13, vcc_lo
	s_delay_alu instid0(SALU_CYCLE_1)
	s_and_saveexec_b32 s13, s14
	s_cbranch_execz .LBB2_1078
; %bb.1060:                             ;   in Loop: Header=BB2_1012 Depth=3
	s_and_saveexec_b32 s14, s3
	s_delay_alu instid0(SALU_CYCLE_1)
	s_xor_b32 s14, exec_lo, s14
	s_cbranch_execz .LBB2_1075
; %bb.1061:                             ;   in Loop: Header=BB2_1012 Depth=3
	s_and_saveexec_b32 s15, s6
	s_cbranch_execz .LBB2_1074
; %bb.1062:                             ;   in Loop: Header=BB2_1012 Depth=3
	s_mov_b32 s41, exec_lo
	s_mov_b32 s40, exec_lo
	v_mbcnt_lo_u32_b32 v2, s41, 0
	global_wb scope:SCOPE_DEV
	s_wait_storecnt 0x0
	s_wait_loadcnt_dscnt 0x0
	global_inv scope:SCOPE_DEV
	v_cmpx_eq_u32_e32 0, v2
	s_cbranch_execz .LBB2_1064
; %bb.1063:                             ;   in Loop: Header=BB2_1012 Depth=3
	s_bcnt1_i32_b32 s41, s41
	s_delay_alu instid0(SALU_CYCLE_1)
	v_mov_b32_e32 v2, s41
	s_wait_loadcnt 0x0
	ds_add_u64 v0, v[2:3]
	s_trap 2
.LBB2_1064:                             ;   in Loop: Header=BB2_1012 Depth=3
	s_or_b32 exec_lo, exec_lo, s40
	s_trap 2
	ds_load_b64 v[10:11], v0
	s_wait_dscnt 0x0
	v_add_nc_u64_e32 v[32:33], v[32:33], v[36:37]
	s_mov_b32 s40, exec_lo
	s_delay_alu instid0(VALU_DEP_1)
	v_cmpx_lt_u64_e64 v[10:11], v[32:33]
	s_cbranch_execz .LBB2_1073
; %bb.1065:                             ;   in Loop: Header=BB2_1012 Depth=3
	s_mov_b32 s41, 0
	s_mov_b32 s73, 0
                                        ; implicit-def: $sgpr63
                                        ; implicit-def: $sgpr72
	s_branch .LBB2_1067
.LBB2_1066:                             ;   in Loop: Header=BB2_1067 Depth=4
	s_or_b32 exec_lo, exec_lo, s75
	s_delay_alu instid0(SALU_CYCLE_1) | instskip(NEXT) | instid1(SALU_CYCLE_1)
	s_and_b32 s74, exec_lo, s76
	s_or_b32 s41, s74, s41
	s_and_not1_b32 s63, s63, exec_lo
	s_and_b32 s74, s72, exec_lo
	s_delay_alu instid0(SALU_CYCLE_1)
	s_or_b32 s63, s63, s74
	s_and_not1_b32 exec_lo, exec_lo, s41
	s_cbranch_execz .LBB2_1071
.LBB2_1067:                             ;   Parent Loop BB2_47 Depth=1
                                        ;     Parent Loop BB2_1009 Depth=2
                                        ;       Parent Loop BB2_1012 Depth=3
                                        ; =>      This Inner Loop Header: Depth=4
	s_add_co_i32 s73, s73, 1
	s_delay_alu instid0(SALU_CYCLE_1) | instskip(SKIP_1) | instid1(SALU_CYCLE_1)
	s_cmp_lg_u32 s73, 0x2710
	s_cselect_b32 s74, -1, 0
	s_and_b32 vcc_lo, exec_lo, s74
	s_cbranch_vccz .LBB2_1069
; %bb.1068:                             ;   in Loop: Header=BB2_1067 Depth=4
	s_mov_b32 s76, -1
	s_or_b32 s72, s72, exec_lo
	s_and_saveexec_b32 s75, s74
	s_cbranch_execz .LBB2_1066
	s_branch .LBB2_1070
.LBB2_1069:                             ;   in Loop: Header=BB2_1067 Depth=4
	s_trap 2
	ds_load_b64 v[10:11], v0
	s_and_not1_b32 s74, s74, exec_lo
	s_mov_b32 s73, 0
	s_wait_loadcnt_dscnt 0x0
	flat_load_b32 v2, v[10:11] scope:SCOPE_SYS
	s_wait_loadcnt_dscnt 0x0
	global_inv scope:SCOPE_SYS
	v_cmp_eq_u32_e32 vcc_lo, 0, v2
	s_and_b32 s75, vcc_lo, exec_lo
	s_delay_alu instid0(SALU_CYCLE_1)
	s_or_b32 s74, s74, s75
	s_mov_b32 s76, -1
	s_or_b32 s72, s72, exec_lo
	s_and_saveexec_b32 s75, s74
	s_cbranch_execz .LBB2_1066
.LBB2_1070:                             ;   in Loop: Header=BB2_1067 Depth=4
	s_sleep 1
	s_trap 2
	ds_load_b64 v[10:11], v0
	s_wait_dscnt 0x0
	s_and_not1_b32 s72, s72, exec_lo
	v_cmp_ge_u64_e32 vcc_lo, v[10:11], v[32:33]
	s_or_not1_b32 s76, vcc_lo, exec_lo
	s_branch .LBB2_1066
.LBB2_1071:                             ;   in Loop: Header=BB2_1012 Depth=3
	s_or_b32 exec_lo, exec_lo, s41
	s_and_saveexec_b32 s41, s63
	s_delay_alu instid0(SALU_CYCLE_1)
	s_xor_b32 s41, exec_lo, s41
	s_cbranch_execz .LBB2_1073
; %bb.1072:                             ;   in Loop: Header=BB2_1012 Depth=3
	ds_store_b32 v0, v61
	s_trap 2
.LBB2_1073:                             ;   in Loop: Header=BB2_1012 Depth=3
	s_or_b32 exec_lo, exec_lo, s40
	;;#ASMSTART
	s_wakeup
	;;#ASMEND
.LBB2_1074:                             ;   in Loop: Header=BB2_1012 Depth=3
	s_or_b32 exec_lo, exec_lo, s15
.LBB2_1075:                             ;   in Loop: Header=BB2_1012 Depth=3
	s_and_not1_saveexec_b32 s14, s14
	s_cbranch_execz .LBB2_1077
; %bb.1076:                             ;   in Loop: Header=BB2_1012 Depth=3
	global_wb scope:SCOPE_DEV
	s_wait_storecnt 0x0
	s_wait_loadcnt_dscnt 0x0
	global_inv scope:SCOPE_DEV
	s_barrier_signal -1
	s_barrier_wait -1
.LBB2_1077:                             ;   in Loop: Header=BB2_1012 Depth=3
	s_or_b32 exec_lo, exec_lo, s14
.LBB2_1078:                             ;   in Loop: Header=BB2_1012 Depth=3
	s_delay_alu instid0(SALU_CYCLE_1)
	s_or_b32 exec_lo, exec_lo, s13
	s_trap 2
	ds_load_b64 v[114:115], v0
	s_wait_dscnt 0x0
	v_cmp_eq_u64_e32 vcc_lo, 0, v[114:115]
	s_cbranch_vccnz .LBB2_1087
; %bb.1079:                             ;   in Loop: Header=BB2_1012 Depth=3
	s_trap 2
	ds_load_b64 v[116:117], v0
	s_wait_dscnt 0x0
	v_cmp_eq_u64_e32 vcc_lo, 0, v[116:117]
	s_cbranch_vccnz .LBB2_1087
; %bb.1080:                             ;   in Loop: Header=BB2_1012 Depth=3
	s_trap 2
	ds_load_b64 v[118:119], v0
	v_cmp_eq_u32_e32 vcc_lo, 0, v8
	s_mov_b32 s13, -1
	v_cndmask_b32_e32 v2, 0, v12, vcc_lo
	s_delay_alu instid0(VALU_DEP_1)
	v_lshlrev_b32_e32 v13, 1, v2
	s_wait_dscnt 0x0
	v_cmp_ne_u64_e32 vcc_lo, 0, v[118:119]
	s_cbranch_vccz .LBB2_1116
; %bb.1081:                             ;   in Loop: Header=BB2_1012 Depth=3
	s_and_saveexec_b32 s14, s11
	s_cbranch_execz .LBB2_1083
; %bb.1082:                             ;   in Loop: Header=BB2_1012 Depth=3
	ds_load_b32 v8, v0 offset:720
	s_wait_dscnt 0x0
	v_and_b32_e32 v8, 15, v8
	s_delay_alu instid0(VALU_DEP_1)
	v_cmp_eq_u32_e32 vcc_lo, 0, v8
	s_or_not1_b32 s13, vcc_lo, exec_lo
.LBB2_1083:                             ;   in Loop: Header=BB2_1012 Depth=3
	s_or_b32 exec_lo, exec_lo, s14
	s_and_saveexec_b32 s14, s12
	s_cbranch_execz .LBB2_1085
; %bb.1084:                             ;   in Loop: Header=BB2_1012 Depth=3
	ds_load_b32 v8, v0 offset:784
	s_wait_dscnt 0x0
	v_and_b32_e32 v8, 15, v8
	s_delay_alu instid0(VALU_DEP_1) | instskip(SKIP_3) | instid1(SALU_CYCLE_1)
	v_cmp_eq_u32_e32 vcc_lo, 0, v8
	s_and_b32 s15, s13, vcc_lo
	s_and_not1_b32 s13, s13, exec_lo
	s_and_b32 s15, s15, exec_lo
	s_or_b32 s13, s13, s15
.LBB2_1085:                             ;   in Loop: Header=BB2_1012 Depth=3
	s_or_b32 exec_lo, exec_lo, s14
	s_xor_b32 s13, s13, -1
	v_dual_mov_b32 v15, 0 :: v_dual_mov_b32 v42, v13
	v_cndmask_b32_e64 v8, 0, 1, s13
	v_mov_b32_e32 v43, v0
	s_mov_b32 s14, -1
	s_delay_alu instid0(VALU_DEP_2)
	v_cmp_ne_u32_e32 vcc_lo, 0, v8
	v_mov_b32_e32 v8, v72
	s_cbranch_vccz .LBB2_1088
; %bb.1086:                             ;   in Loop: Header=BB2_1012 Depth=3
	s_and_saveexec_b32 s15, s14
	s_cbranch_execnz .LBB2_1105
	s_branch .LBB2_1115
.LBB2_1087:                             ;   in Loop: Header=BB2_1012 Depth=3
	s_mov_b32 s13, 0
	s_and_saveexec_b32 s14, s2
	s_cbranch_execnz .LBB2_1146
	s_branch .LBB2_1164
.LBB2_1088:                             ;   in Loop: Header=BB2_1012 Depth=3
	v_dual_ashrrev_i32 v8, 31, v13 :: v_dual_sub_nc_u32 v15, v13, v48
	s_mov_b32 s63, exec_lo
	s_delay_alu instid0(VALU_DEP_1) | instskip(NEXT) | instid1(VALU_DEP_1)
	v_lshrrev_b32_e32 v8, 23, v8
	v_add_nc_u32_e32 v8, v13, v8
	s_delay_alu instid0(VALU_DEP_1) | instskip(NEXT) | instid1(VALU_DEP_1)
	v_and_b32_e32 v47, 0xfffffe00, v8
	v_dual_ashrrev_i32 v8, 9, v8 :: v_dual_sub_nc_u32 v57, v13, v47
	s_delay_alu instid0(VALU_DEP_1) | instskip(NEXT) | instid1(VALU_DEP_1)
	v_cmp_lt_i32_e64 s13, 15, v57
	v_add_co_ci_u32_e64 v58, null, v8, v74, s13
	v_cmpx_lt_i32_e32 15, v15
	s_cbranch_execz .LBB2_1094
; %bb.1089:                             ;   in Loop: Header=BB2_1012 Depth=3
	v_add_nc_u64_e32 v[40:41], v[114:115], v[48:49]
	v_add_nc_u64_e32 v[42:43], v[116:117], v[48:49]
	;; [unrolled: 1-line block ×3, first 2 shown]
	s_mov_b32 s72, 0
.LBB2_1090:                             ;   Parent Loop BB2_47 Depth=1
                                        ;     Parent Loop BB2_1009 Depth=2
                                        ;       Parent Loop BB2_1012 Depth=3
                                        ; =>      This Loop Header: Depth=4
                                        ;           Child Loop BB2_1091 Depth 5
	global_load_b128 v[8:11], v[40:41], off th:TH_LOAD_NT
	s_mov_b64 s[40:41], 0
	s_mov_b32 s73, -1
.LBB2_1091:                             ;   Parent Loop BB2_47 Depth=1
                                        ;     Parent Loop BB2_1009 Depth=2
                                        ;       Parent Loop BB2_1012 Depth=3
                                        ;         Parent Loop BB2_1090 Depth=4
                                        ; =>        This Inner Loop Header: Depth=5
	s_cmp_eq_u32 s40, 1
	s_cselect_b32 vcc_lo, -1, 0
	s_cmp_eq_u32 s40, 0
	s_wait_xcnt 0x0
	v_dual_cndmask_b32 v77, v43, v45 :: v_dual_cndmask_b32 v76, v42, v44
	s_cselect_b32 s14, -1, 0
	s_and_b32 s15, exec_lo, s73
	s_mov_b64 s[40:41], 1
	s_mov_b32 s73, 0
	v_add_nc_u64_e32 v[78:79], 0x200, v[76:77]
	s_wait_loadcnt 0x0
	global_store_b128 v[76:77], v[8:11], off th:TH_STORE_NT
	v_dual_cndmask_b32 v45, v45, v79 :: v_dual_cndmask_b32 v44, v44, v78
	v_dual_cndmask_b32 v43, v43, v79, s14 :: v_dual_cndmask_b32 v42, v42, v78, s14
	s_mov_b32 vcc_lo, s15
	s_cbranch_vccnz .LBB2_1091
; %bb.1092:                             ;   in Loop: Header=BB2_1090 Depth=4
	v_sub_nc_u32_e32 v15, v15, v64
	s_delay_alu instid0(VALU_DEP_2)
	v_add_nc_u64_e32 v[42:43], v[42:43], v[70:71]
	v_add_nc_u64_e32 v[44:45], v[44:45], v[70:71]
	s_wait_xcnt 0x1
	v_add_nc_u64_e32 v[40:41], v[82:83], v[40:41]
	v_sub_nc_u32_e32 v58, v58, v36
	v_cmp_gt_i32_e32 vcc_lo, 16, v15
	s_or_b32 s72, vcc_lo, s72
	s_wait_xcnt 0x0
	s_and_not1_b32 exec_lo, exec_lo, s72
	s_cbranch_execnz .LBB2_1090
; %bb.1093:                             ;   in Loop: Header=BB2_1012 Depth=3
	s_or_b32 exec_lo, exec_lo, s72
.LBB2_1094:                             ;   in Loop: Header=BB2_1012 Depth=3
	s_delay_alu instid0(SALU_CYCLE_1) | instskip(SKIP_3) | instid1(VALU_DEP_1)
	s_or_b32 exec_lo, exec_lo, s63
	v_dual_mov_b32 v15, 0 :: v_dual_bitop2_b32 v9, 14, v13 bitop3:0x40
	s_mov_b32 s14, 0
	s_mov_b32 s63, exec_lo
                                        ; implicit-def: $vgpr42
                                        ; implicit-def: $vgpr43
                                        ; implicit-def: $vgpr8
	v_cndmask_b32_e64 v56, v57, v9, s13
	s_delay_alu instid0(VALU_DEP_1)
	v_cmpx_ne_u32_e32 0, v56
	s_cbranch_execz .LBB2_1104
; %bb.1095:                             ;   in Loop: Header=BB2_1012 Depth=3
	v_cmp_lt_i32_e32 vcc_lo, 0, v58
	s_mov_b32 s72, exec_lo
	v_dual_ashrrev_i32 v11, 31, v56 :: v_dual_sub_nc_u32 v9, v57, v9
	s_delay_alu instid0(VALU_DEP_1) | instskip(NEXT) | instid1(VALU_DEP_1)
	v_dual_cndmask_b32 v8, 0, v36 :: v_dual_lshrrev_b32 v11, 23, v11
	v_sub_nc_u32_e32 v8, v8, v58
	s_delay_alu instid0(VALU_DEP_1) | instskip(NEXT) | instid1(VALU_DEP_1)
	v_lshl_add_u32 v8, v8, 5, v73
	v_ashrrev_i32_e32 v10, 31, v8
	s_delay_alu instid0(VALU_DEP_1) | instskip(NEXT) | instid1(VALU_DEP_1)
	v_lshrrev_b32_e32 v10, 27, v10
	v_add_nc_u32_e32 v10, v8, v10
	s_delay_alu instid0(VALU_DEP_1) | instskip(NEXT) | instid1(VALU_DEP_1)
	v_and_b32_e32 v15, 0xffffffe0, v10
	v_sub_nc_u32_e32 v59, v8, v15
	v_dual_add_nc_u32 v11, v56, v11 :: v_dual_ashrrev_i32 v10, 5, v10
	s_delay_alu instid0(VALU_DEP_2) | instskip(NEXT) | instid1(VALU_DEP_2)
	v_lshlrev_b32_e32 v8, 4, v59
	v_and_b32_e32 v58, 0xfffffe00, v11
	v_ashrrev_i32_e32 v11, 9, v11
	s_delay_alu instid0(VALU_DEP_3) | instskip(NEXT) | instid1(VALU_DEP_3)
	v_lshl_add_u32 v8, v10, 9, v8
	v_dual_sub_nc_u32 v57, v56, v58 :: v_dual_cndmask_b32 v9, 0, v9, s13
	s_delay_alu instid0(VALU_DEP_2) | instskip(NEXT) | instid1(VALU_DEP_2)
	v_sub_nc_u32_e32 v15, v56, v8
	v_cmp_lt_i32_e64 s13, 15, v57
	s_delay_alu instid0(VALU_DEP_1) | instskip(NEXT) | instid1(VALU_DEP_1)
	v_add_co_ci_u32_e64 v11, null, 0, v11, s13
	v_dual_add_nc_u32 v47, v9, v47 :: v_dual_sub_nc_u32 v75, v11, v10
	s_delay_alu instid0(VALU_DEP_4)
	v_cmpx_lt_i32_e32 15, v15
	s_cbranch_execz .LBB2_1101
; %bb.1096:                             ;   in Loop: Header=BB2_1012 Depth=3
	s_delay_alu instid0(VALU_DEP_2) | instskip(SKIP_1) | instid1(VALU_DEP_1)
	v_add_nc_u32_e32 v8, v8, v47
	s_mov_b32 s73, 0
	v_ashrrev_i32_e32 v9, 31, v8
	s_delay_alu instid0(VALU_DEP_1)
	v_add_nc_u64_e32 v[40:41], v[8:9], v[114:115]
	v_add_nc_u64_e32 v[42:43], v[8:9], v[116:117]
	;; [unrolled: 1-line block ×3, first 2 shown]
.LBB2_1097:                             ;   Parent Loop BB2_47 Depth=1
                                        ;     Parent Loop BB2_1009 Depth=2
                                        ;       Parent Loop BB2_1012 Depth=3
                                        ; =>      This Loop Header: Depth=4
                                        ;           Child Loop BB2_1098 Depth 5
	global_load_b128 v[8:11], v[40:41], off th:TH_LOAD_NT
	s_mov_b64 s[40:41], 0
	s_mov_b32 s74, -1
.LBB2_1098:                             ;   Parent Loop BB2_47 Depth=1
                                        ;     Parent Loop BB2_1009 Depth=2
                                        ;       Parent Loop BB2_1012 Depth=3
                                        ;         Parent Loop BB2_1097 Depth=4
                                        ; =>        This Inner Loop Header: Depth=5
	s_cmp_eq_u32 s40, 1
	s_cselect_b32 vcc_lo, -1, 0
	s_cmp_eq_u32 s40, 0
	s_wait_xcnt 0x0
	v_dual_cndmask_b32 v77, v43, v45 :: v_dual_cndmask_b32 v76, v42, v44
	s_cselect_b32 s14, -1, 0
	s_and_b32 s15, exec_lo, s74
	s_mov_b64 s[40:41], 1
	s_mov_b32 s74, 0
	v_add_nc_u64_e32 v[78:79], 0x200, v[76:77]
	s_wait_loadcnt 0x0
	global_store_b128 v[76:77], v[8:11], off th:TH_STORE_NT
	v_dual_cndmask_b32 v45, v45, v79 :: v_dual_cndmask_b32 v44, v44, v78
	v_dual_cndmask_b32 v43, v43, v79, s14 :: v_dual_cndmask_b32 v42, v42, v78, s14
	s_mov_b32 vcc_lo, s15
	s_cbranch_vccnz .LBB2_1098
; %bb.1099:                             ;   in Loop: Header=BB2_1097 Depth=4
	v_sub_nc_u32_e32 v15, v15, v64
	s_delay_alu instid0(VALU_DEP_2)
	v_add_nc_u64_e32 v[42:43], v[42:43], v[70:71]
	v_add_nc_u64_e32 v[44:45], v[44:45], v[70:71]
	s_wait_xcnt 0x1
	v_add_nc_u64_e32 v[40:41], v[82:83], v[40:41]
	v_sub_nc_u32_e32 v75, v75, v36
	v_cmp_gt_i32_e32 vcc_lo, 16, v15
	s_or_b32 s73, vcc_lo, s73
	s_wait_xcnt 0x0
	s_and_not1_b32 exec_lo, exec_lo, s73
	s_cbranch_execnz .LBB2_1097
; %bb.1100:                             ;   in Loop: Header=BB2_1012 Depth=3
	s_or_b32 exec_lo, exec_lo, s73
.LBB2_1101:                             ;   in Loop: Header=BB2_1012 Depth=3
	s_delay_alu instid0(SALU_CYCLE_1) | instskip(SKIP_3) | instid1(VALU_DEP_1)
	s_or_b32 exec_lo, exec_lo, s72
	v_dual_mov_b32 v15, 0 :: v_dual_bitop2_b32 v9, 14, v56 bitop3:0x40
	s_mov_b32 s14, 0
	s_mov_b32 s15, exec_lo
                                        ; implicit-def: $vgpr43
                                        ; implicit-def: $vgpr8
	v_cndmask_b32_e64 v42, v57, v9, s13
	s_delay_alu instid0(VALU_DEP_1)
	v_cmpx_ne_u32_e32 0, v42
	s_cbranch_execz .LBB2_1103
; %bb.1102:                             ;   in Loop: Header=BB2_1012 Depth=3
	v_cmp_lt_i32_e32 vcc_lo, 0, v75
	s_mov_b32 s14, exec_lo
	v_dual_cndmask_b32 v8, 0, v36 :: v_dual_sub_nc_u32 v9, v57, v9
	s_delay_alu instid0(VALU_DEP_1) | instskip(NEXT) | instid1(VALU_DEP_1)
	v_dual_cndmask_b32 v9, 0, v9, s13 :: v_dual_sub_nc_u32 v8, v8, v75
	v_add3_u32 v15, v58, v47, v9
	s_delay_alu instid0(VALU_DEP_2) | instskip(NEXT) | instid1(VALU_DEP_1)
	v_lshl_add_u32 v43, v8, 5, v59
	v_ashrrev_i32_e32 v8, 31, v43
	s_delay_alu instid0(VALU_DEP_1) | instskip(NEXT) | instid1(VALU_DEP_1)
	v_lshrrev_b32_e32 v8, 27, v8
	v_add_nc_u32_e32 v8, v43, v8
	s_delay_alu instid0(VALU_DEP_1)
	v_ashrrev_i32_e32 v8, 5, v8
.LBB2_1103:                             ;   in Loop: Header=BB2_1012 Depth=3
	s_or_b32 exec_lo, exec_lo, s15
	s_delay_alu instid0(SALU_CYCLE_1)
	s_and_b32 s14, s14, exec_lo
.LBB2_1104:                             ;   in Loop: Header=BB2_1012 Depth=3
	s_or_b32 exec_lo, exec_lo, s63
	s_and_saveexec_b32 s15, s14
	s_cbranch_execz .LBB2_1115
.LBB2_1105:                             ;   in Loop: Header=BB2_1012 Depth=3
	v_ashrrev_i32_e32 v9, 31, v42
	s_mov_b32 s13, exec_lo
	s_delay_alu instid0(VALU_DEP_1) | instskip(NEXT) | instid1(VALU_DEP_1)
	v_lshrrev_b32_e32 v9, 24, v9
	v_add_nc_u32_e32 v9, v42, v9
	s_delay_alu instid0(VALU_DEP_1) | instskip(NEXT) | instid1(VALU_DEP_1)
	v_dual_ashrrev_i32 v47, 8, v9 :: v_dual_ashrrev_i32 v9, 31, v43
	v_dual_sub_nc_u32 v44, v47, v8 :: v_dual_lshrrev_b32 v45, 27, v9
	s_delay_alu instid0(VALU_DEP_1)
	v_cmpx_lt_i32_e32 0, v44
	s_cbranch_execz .LBB2_1109
; %bb.1106:                             ;   in Loop: Header=BB2_1012 Depth=3
	s_delay_alu instid0(VALU_DEP_2) | instskip(SKIP_1) | instid1(VALU_DEP_1)
	v_dual_add_nc_u32 v9, v43, v45 :: v_dual_lshlrev_b32 v8, 8, v8
	s_mov_b32 s14, 0
	v_and_b32_e32 v9, 0x7fffffe0, v9
	s_delay_alu instid0(VALU_DEP_1) | instskip(NEXT) | instid1(VALU_DEP_1)
	v_sub_nc_u32_e32 v9, v43, v9
	v_lshlrev_b32_e32 v9, 1, v9
	s_delay_alu instid0(VALU_DEP_1) | instskip(NEXT) | instid1(VALU_DEP_1)
	v_add3_u32 v40, v9, v15, v8
	v_ashrrev_i32_e32 v41, 31, v40
	s_delay_alu instid0(VALU_DEP_1)
	v_add_nc_u64_e32 v[8:9], v[40:41], v[114:115]
	v_add_nc_u64_e32 v[10:11], v[40:41], v[116:117]
	;; [unrolled: 1-line block ×3, first 2 shown]
.LBB2_1107:                             ;   Parent Loop BB2_47 Depth=1
                                        ;     Parent Loop BB2_1009 Depth=2
                                        ;       Parent Loop BB2_1012 Depth=3
                                        ; =>      This Inner Loop Header: Depth=4
	s_clause 0x3
	flat_load_u16 v56, v[8:9] th:TH_LOAD_NT
	flat_load_u16 v57, v[8:9] offset:64 th:TH_LOAD_NT
	flat_load_u16 v58, v[8:9] offset:128 th:TH_LOAD_NT
	;; [unrolled: 1-line block ×3, first 2 shown]
	v_sub_nc_u32_e32 v44, v44, v36
	s_wait_xcnt 0x0
	v_add_nc_u64_e32 v[8:9], v[8:9], v[66:67]
	s_wait_loadcnt_dscnt 0x303
	flat_store_b16 v[10:11], v56 th:TH_STORE_NT
	s_wait_loadcnt_dscnt 0x203
	flat_store_b16 v[10:11], v57 offset:64 th:TH_STORE_NT
	s_wait_loadcnt_dscnt 0x103
	flat_store_b16 v[10:11], v58 offset:128 th:TH_STORE_NT
	;; [unrolled: 2-line block ×3, first 2 shown]
	s_clause 0x3
	flat_store_b16 v[40:41], v56 th:TH_STORE_NT
	flat_store_b16 v[40:41], v57 offset:64 th:TH_STORE_NT
	flat_store_b16 v[40:41], v58 offset:128 th:TH_STORE_NT
	;; [unrolled: 1-line block ×3, first 2 shown]
	v_cmp_gt_i32_e32 vcc_lo, 1, v44
	s_wait_xcnt 0x4
	v_add_nc_u64_e32 v[10:11], v[10:11], v[66:67]
	s_wait_xcnt 0x0
	v_add_nc_u64_e32 v[40:41], v[40:41], v[66:67]
	s_or_b32 s14, vcc_lo, s14
	s_delay_alu instid0(SALU_CYCLE_1)
	s_and_not1_b32 exec_lo, exec_lo, s14
	s_cbranch_execnz .LBB2_1107
; %bb.1108:                             ;   in Loop: Header=BB2_1012 Depth=3
	s_or_b32 exec_lo, exec_lo, s14
.LBB2_1109:                             ;   in Loop: Header=BB2_1012 Depth=3
	s_delay_alu instid0(SALU_CYCLE_1) | instskip(SKIP_1) | instid1(VALU_DEP_1)
	s_or_b32 exec_lo, exec_lo, s13
	v_lshlrev_b32_e32 v8, 8, v47
	v_cmp_ne_u32_e32 vcc_lo, v42, v8
	s_and_b32 exec_lo, exec_lo, vcc_lo
	s_cbranch_execz .LBB2_1115
; %bb.1110:                             ;   in Loop: Header=BB2_1012 Depth=3
	v_dual_add_nc_u32 v9, v43, v45 :: v_dual_lshlrev_b32 v10, 5, v44
	s_delay_alu instid0(VALU_DEP_1) | instskip(NEXT) | instid1(VALU_DEP_1)
	v_and_b32_e32 v9, 0xffffffe0, v9
	v_sub_nc_u32_e32 v9, v43, v9
	s_delay_alu instid0(VALU_DEP_1) | instskip(NEXT) | instid1(VALU_DEP_1)
	v_sub_nc_u32_e32 v9, v9, v10
	v_ashrrev_i32_e32 v10, 31, v9
	s_delay_alu instid0(VALU_DEP_1) | instskip(NEXT) | instid1(VALU_DEP_1)
	v_lshrrev_b32_e32 v10, 27, v10
	v_add_nc_u32_e32 v10, v9, v10
	s_delay_alu instid0(VALU_DEP_1) | instskip(NEXT) | instid1(VALU_DEP_1)
	v_and_b32_e32 v11, 0x7fffffe0, v10
	v_dual_lshlrev_b32 v10, 1, v10 :: v_dual_sub_nc_u32 v9, v9, v11
	s_delay_alu instid0(VALU_DEP_1) | instskip(NEXT) | instid1(VALU_DEP_2)
	v_and_b32_e32 v10, 0xffffffc0, v10
	v_lshlrev_b32_e32 v9, 1, v9
	s_delay_alu instid0(VALU_DEP_1) | instskip(NEXT) | instid1(VALU_DEP_1)
	v_add3_u32 v8, v10, v9, v8
	v_sub_nc_u32_e32 v40, v42, v8
	s_delay_alu instid0(VALU_DEP_1)
	v_cmp_lt_i32_e32 vcc_lo, 1, v40
	s_and_b32 exec_lo, exec_lo, vcc_lo
	s_cbranch_execz .LBB2_1115
; %bb.1111:                             ;   in Loop: Header=BB2_1012 Depth=3
	v_add_nc_u32_e32 v42, v8, v15
	s_mov_b32 s63, 0
	s_delay_alu instid0(VALU_DEP_1) | instskip(NEXT) | instid1(VALU_DEP_1)
	v_ashrrev_i32_e32 v43, 31, v42
	v_add_nc_u64_e32 v[8:9], v[42:43], v[114:115]
	v_add_nc_u64_e32 v[10:11], v[42:43], v[116:117]
	v_add_nc_u64_e32 v[118:119], v[42:43], v[118:119]
.LBB2_1112:                             ;   Parent Loop BB2_47 Depth=1
                                        ;     Parent Loop BB2_1009 Depth=2
                                        ;       Parent Loop BB2_1012 Depth=3
                                        ; =>      This Loop Header: Depth=4
                                        ;           Child Loop BB2_1113 Depth 5
	flat_load_u16 v15, v[8:9] th:TH_LOAD_NT
	s_mov_b64 s[40:41], 0
	s_mov_b32 s72, -1
.LBB2_1113:                             ;   Parent Loop BB2_47 Depth=1
                                        ;     Parent Loop BB2_1009 Depth=2
                                        ;       Parent Loop BB2_1012 Depth=3
                                        ;         Parent Loop BB2_1112 Depth=4
                                        ; =>        This Inner Loop Header: Depth=5
	s_cmp_eq_u32 s40, 1
	s_cselect_b32 vcc_lo, -1, 0
	s_cmp_eq_u32 s40, 0
	s_wait_xcnt 0x0
	v_dual_cndmask_b32 v43, v11, v119 :: v_dual_cndmask_b32 v42, v10, v118
	s_cselect_b32 s13, -1, 0
	s_and_b32 s14, exec_lo, s72
	s_mov_b64 s[40:41], 1
	s_mov_b32 s72, 0
	v_add_nc_u64_e32 v[44:45], 64, v[42:43]
	s_wait_loadcnt_dscnt 0x0
	flat_store_b16 v[42:43], v15 th:TH_STORE_NT
	v_dual_cndmask_b32 v119, v119, v45 :: v_dual_cndmask_b32 v118, v118, v44
	v_dual_cndmask_b32 v11, v11, v45, s13 :: v_dual_cndmask_b32 v10, v10, v44, s13
	s_mov_b32 vcc_lo, s14
	s_cbranch_vccnz .LBB2_1113
; %bb.1114:                             ;   in Loop: Header=BB2_1112 Depth=4
	v_sub_nc_u32_e32 v40, v40, v68
	s_delay_alu instid0(VALU_DEP_2)
	v_add_nc_u64_e32 v[10:11], v[10:11], v[80:81]
	v_add_nc_u64_e32 v[118:119], v[118:119], v[80:81]
	s_wait_xcnt 0x1
	v_add_nc_u64_e32 v[8:9], v[84:85], v[8:9]
	v_cmp_gt_i32_e32 vcc_lo, 2, v40
	s_or_b32 s63, vcc_lo, s63
	s_wait_xcnt 0x0
	s_and_not1_b32 exec_lo, exec_lo, s63
	s_cbranch_execnz .LBB2_1112
.LBB2_1115:                             ;   in Loop: Header=BB2_1012 Depth=3
	s_or_b32 exec_lo, exec_lo, s15
	s_mov_b32 s13, 0
.LBB2_1116:                             ;   in Loop: Header=BB2_1012 Depth=3
	s_delay_alu instid0(SALU_CYCLE_1)
	s_and_b32 vcc_lo, exec_lo, s13
	s_cbranch_vccz .LBB2_1145
; %bb.1117:                             ;   in Loop: Header=BB2_1012 Depth=3
	s_mov_b32 s13, -1
	s_and_saveexec_b32 s14, s11
	s_cbranch_execz .LBB2_1119
; %bb.1118:                             ;   in Loop: Header=BB2_1012 Depth=3
	ds_load_b32 v8, v0 offset:720
	s_wait_dscnt 0x0
	v_and_b32_e32 v8, 15, v8
	s_delay_alu instid0(VALU_DEP_1)
	v_cmp_eq_u32_e32 vcc_lo, 0, v8
	s_or_not1_b32 s13, vcc_lo, exec_lo
.LBB2_1119:                             ;   in Loop: Header=BB2_1012 Depth=3
	s_or_b32 exec_lo, exec_lo, s14
	s_and_saveexec_b32 s14, s10
	s_cbranch_execz .LBB2_1121
; %bb.1120:                             ;   in Loop: Header=BB2_1012 Depth=3
	ds_load_b32 v8, v0 offset:784
	s_wait_dscnt 0x0
	v_and_b32_e32 v8, 15, v8
	s_delay_alu instid0(VALU_DEP_1) | instskip(SKIP_3) | instid1(SALU_CYCLE_1)
	v_cmp_eq_u32_e32 vcc_lo, 0, v8
	s_and_b32 s15, s13, vcc_lo
	s_and_not1_b32 s13, s13, exec_lo
	s_and_b32 s15, s15, exec_lo
	s_or_b32 s13, s13, s15
.LBB2_1121:                             ;   in Loop: Header=BB2_1012 Depth=3
	s_or_b32 exec_lo, exec_lo, s14
	s_xor_b32 s13, s13, -1
	v_mov_b32_e32 v15, 0
	v_cndmask_b32_e64 v8, 0, 1, s13
	s_mov_b32 s15, -1
	s_delay_alu instid0(VALU_DEP_1)
	v_cmp_ne_u32_e32 vcc_lo, 0, v8
	s_cbranch_vccz .LBB2_1123
; %bb.1122:                             ;   in Loop: Header=BB2_1012 Depth=3
	v_dual_mov_b32 v40, v0 :: v_dual_mov_b32 v8, v72
	s_and_saveexec_b32 s13, s15
	s_cbranch_execnz .LBB2_1136
	s_branch .LBB2_1144
.LBB2_1123:                             ;   in Loop: Header=BB2_1012 Depth=3
	v_ashrrev_i32_e32 v8, 31, v13
	s_mov_b32 s13, exec_lo
	s_delay_alu instid0(VALU_DEP_1) | instskip(NEXT) | instid1(VALU_DEP_1)
	v_lshrrev_b32_e32 v8, 22, v8
	v_add_nc_u32_e32 v8, v13, v8
	s_delay_alu instid0(VALU_DEP_1) | instskip(NEXT) | instid1(VALU_DEP_1)
	v_ashrrev_i32_e32 v10, 10, v8
	v_sub_nc_u32_e32 v11, v10, v72
	s_delay_alu instid0(VALU_DEP_1)
	v_cmpx_lt_i32_e32 0, v11
	s_cbranch_execz .LBB2_1127
; %bb.1124:                             ;   in Loop: Header=BB2_1012 Depth=3
	v_mov_b64_e32 v[8:9], v[86:87]
	s_mov_b32 s14, 0
.LBB2_1125:                             ;   Parent Loop BB2_47 Depth=1
                                        ;     Parent Loop BB2_1009 Depth=2
                                        ;       Parent Loop BB2_1012 Depth=3
                                        ; =>      This Inner Loop Header: Depth=4
	s_delay_alu instid0(VALU_DEP_1)
	v_add_nc_u64_e32 v[118:119], v[114:115], v[8:9]
	v_sub_nc_u32_e32 v11, v11, v36
	s_clause 0x1
	global_load_b128 v[40:43], v[118:119], off th:TH_LOAD_NT
	global_load_b128 v[56:59], v[118:119], off offset:512 th:TH_LOAD_NT
	s_wait_xcnt 0x0
	v_add_nc_u64_e32 v[118:119], v[116:117], v[8:9]
	v_cmp_gt_i32_e32 vcc_lo, 1, v11
	v_add_nc_u64_e32 v[8:9], v[8:9], v[54:55]
	s_wait_loadcnt 0x1
	global_store_b128 v[118:119], v[40:43], off th:TH_STORE_NT
	s_wait_loadcnt 0x0
	global_store_b128 v[118:119], v[56:59], off offset:512 th:TH_STORE_NT
	s_or_b32 s14, vcc_lo, s14
	s_wait_xcnt 0x0
	s_and_not1_b32 exec_lo, exec_lo, s14
	s_cbranch_execnz .LBB2_1125
; %bb.1126:                             ;   in Loop: Header=BB2_1012 Depth=3
	s_or_b32 exec_lo, exec_lo, s14
.LBB2_1127:                             ;   in Loop: Header=BB2_1012 Depth=3
	s_delay_alu instid0(SALU_CYCLE_1) | instskip(SKIP_3) | instid1(VALU_DEP_1)
	s_or_b32 exec_lo, exec_lo, s13
	v_dual_mov_b32 v15, 0 :: v_dual_lshlrev_b32 v10, 10, v10
	s_mov_b32 s15, 0
	s_mov_b32 s14, exec_lo
                                        ; implicit-def: $vgpr40
                                        ; implicit-def: $vgpr8
	v_cmpx_ne_u32_e64 v13, v10
	s_cbranch_execz .LBB2_1135
; %bb.1128:                             ;   in Loop: Header=BB2_1012 Depth=3
	v_dual_lshlrev_b32 v8, 5, v11 :: v_dual_sub_nc_u32 v15, v13, v10
	s_mov_b32 s15, exec_lo
	s_delay_alu instid0(VALU_DEP_1) | instskip(NEXT) | instid1(VALU_DEP_1)
	v_dual_sub_nc_u32 v8, v73, v8 :: v_dual_ashrrev_i32 v11, 31, v15
	v_dual_ashrrev_i32 v9, 31, v8 :: v_dual_lshrrev_b32 v11, 23, v11
	s_delay_alu instid0(VALU_DEP_1) | instskip(NEXT) | instid1(VALU_DEP_1)
	v_lshrrev_b32_e32 v9, 27, v9
	v_add_nc_u32_e32 v9, v8, v9
	s_delay_alu instid0(VALU_DEP_1) | instskip(NEXT) | instid1(VALU_DEP_1)
	v_and_b32_e32 v118, 0xffffffe0, v9
	v_dual_add_nc_u32 v40, v15, v11 :: v_dual_sub_nc_u32 v118, v8, v118
	s_delay_alu instid0(VALU_DEP_1) | instskip(SKIP_1) | instid1(VALU_DEP_2)
	v_and_b32_e32 v11, 0xfffffe00, v40
	v_dual_ashrrev_i32 v9, 5, v9 :: v_dual_ashrrev_i32 v40, 9, v40
	v_dual_lshlrev_b32 v8, 4, v118 :: v_dual_sub_nc_u32 v119, v15, v11
	s_delay_alu instid0(VALU_DEP_1) | instskip(NEXT) | instid1(VALU_DEP_2)
	v_lshl_add_u32 v8, v9, 9, v8
	v_cmp_lt_i32_e32 vcc_lo, 15, v119
	s_delay_alu instid0(VALU_DEP_4) | instskip(NEXT) | instid1(VALU_DEP_1)
	v_add_co_ci_u32_e64 v40, null, 0, v40, vcc_lo
	v_dual_sub_nc_u32 v15, v15, v8 :: v_dual_sub_nc_u32 v41, v40, v9
	s_delay_alu instid0(VALU_DEP_1)
	v_cmpx_lt_i32_e32 15, v15
	s_cbranch_execz .LBB2_1132
; %bb.1129:                             ;   in Loop: Header=BB2_1012 Depth=3
	v_add_nc_u32_e32 v8, v8, v10
	s_mov_b32 s40, 0
	s_delay_alu instid0(VALU_DEP_1)
	v_ashrrev_i32_e32 v9, 31, v8
.LBB2_1130:                             ;   Parent Loop BB2_47 Depth=1
                                        ;     Parent Loop BB2_1009 Depth=2
                                        ;       Parent Loop BB2_1012 Depth=3
                                        ; =>      This Inner Loop Header: Depth=4
	s_delay_alu instid0(VALU_DEP_1) | instskip(SKIP_4) | instid1(VALU_DEP_4)
	v_add_nc_u64_e32 v[42:43], v[114:115], v[8:9]
	v_sub_nc_u32_e32 v15, v15, v64
	v_add_nc_u64_e32 v[56:57], v[116:117], v[8:9]
	v_add_nc_u64_e32 v[8:9], v[8:9], v[64:65]
	v_sub_nc_u32_e32 v41, v41, v36
	v_cmp_gt_i32_e64 s13, 16, v15
	global_load_b128 v[42:45], v[42:43], off th:TH_LOAD_NT
	s_or_b32 s40, s13, s40
	s_wait_loadcnt 0x0
	global_store_b128 v[56:57], v[42:45], off th:TH_STORE_NT
	s_wait_xcnt 0x0
	s_and_not1_b32 exec_lo, exec_lo, s40
	s_cbranch_execnz .LBB2_1130
; %bb.1131:                             ;   in Loop: Header=BB2_1012 Depth=3
	s_or_b32 exec_lo, exec_lo, s40
.LBB2_1132:                             ;   in Loop: Header=BB2_1012 Depth=3
	s_delay_alu instid0(SALU_CYCLE_1) | instskip(SKIP_3) | instid1(VALU_DEP_1)
	s_or_b32 exec_lo, exec_lo, s15
	v_dual_mov_b32 v15, 0 :: v_dual_bitop2_b32 v9, 14, v13 bitop3:0x40
	s_mov_b32 s15, 0
	s_mov_b32 s40, exec_lo
                                        ; implicit-def: $vgpr40
                                        ; implicit-def: $vgpr8
	v_cndmask_b32_e32 v13, v119, v9, vcc_lo
	s_delay_alu instid0(VALU_DEP_1)
	v_cmpx_ne_u32_e32 0, v13
	s_cbranch_execz .LBB2_1134
; %bb.1133:                             ;   in Loop: Header=BB2_1012 Depth=3
	v_cmp_lt_i32_e64 s13, 0, v41
	s_mov_b32 s15, exec_lo
	v_dual_sub_nc_u32 v9, v119, v9 :: v_dual_cndmask_b32 v8, 0, v36, s13
	s_delay_alu instid0(VALU_DEP_1) | instskip(NEXT) | instid1(VALU_DEP_2)
	v_cndmask_b32_e32 v9, 0, v9, vcc_lo
	v_sub_nc_u32_e32 v8, v8, v41
	s_delay_alu instid0(VALU_DEP_2) | instskip(NEXT) | instid1(VALU_DEP_2)
	v_add3_u32 v15, v11, v10, v9
	v_lshl_add_u32 v40, v8, 5, v118
	s_delay_alu instid0(VALU_DEP_1) | instskip(NEXT) | instid1(VALU_DEP_1)
	v_ashrrev_i32_e32 v8, 31, v40
	v_lshrrev_b32_e32 v8, 27, v8
	s_delay_alu instid0(VALU_DEP_1) | instskip(NEXT) | instid1(VALU_DEP_1)
	v_add_nc_u32_e32 v8, v40, v8
	v_ashrrev_i32_e32 v8, 5, v8
.LBB2_1134:                             ;   in Loop: Header=BB2_1012 Depth=3
	s_or_b32 exec_lo, exec_lo, s40
	s_delay_alu instid0(SALU_CYCLE_1)
	s_and_b32 s15, s15, exec_lo
.LBB2_1135:                             ;   in Loop: Header=BB2_1012 Depth=3
	s_or_b32 exec_lo, exec_lo, s14
	s_and_saveexec_b32 s13, s15
	s_cbranch_execz .LBB2_1144
.LBB2_1136:                             ;   in Loop: Header=BB2_1012 Depth=3
	v_ashrrev_i32_e32 v9, 31, v13
	s_mov_b32 s14, exec_lo
	s_delay_alu instid0(VALU_DEP_1) | instskip(NEXT) | instid1(VALU_DEP_1)
	v_lshrrev_b32_e32 v9, 24, v9
	v_add_nc_u32_e32 v9, v13, v9
	s_delay_alu instid0(VALU_DEP_1) | instskip(NEXT) | instid1(VALU_DEP_1)
	v_dual_ashrrev_i32 v43, 8, v9 :: v_dual_ashrrev_i32 v9, 31, v40
	v_dual_sub_nc_u32 v41, v43, v8 :: v_dual_lshrrev_b32 v42, 27, v9
	s_delay_alu instid0(VALU_DEP_1)
	v_cmpx_lt_i32_e32 0, v41
	s_cbranch_execz .LBB2_1140
; %bb.1137:                             ;   in Loop: Header=BB2_1012 Depth=3
	s_delay_alu instid0(VALU_DEP_2) | instskip(SKIP_3) | instid1(VALU_DEP_3)
	v_dual_add_nc_u32 v9, v40, v42 :: v_dual_lshlrev_b32 v8, 8, v8
	v_mov_b64_e32 v[10:11], v[116:117]
	v_mov_b64_e32 v[118:119], v[114:115]
	s_mov_b32 s15, 0
	v_and_b32_e32 v9, 0x7fffffe0, v9
	s_delay_alu instid0(VALU_DEP_1) | instskip(NEXT) | instid1(VALU_DEP_1)
	v_sub_nc_u32_e32 v9, v40, v9
	v_lshlrev_b32_e32 v9, 1, v9
	s_delay_alu instid0(VALU_DEP_1) | instskip(NEXT) | instid1(VALU_DEP_1)
	v_add3_u32 v8, v9, v15, v8
	v_ashrrev_i32_e32 v9, 31, v8
.LBB2_1138:                             ;   Parent Loop BB2_47 Depth=1
                                        ;     Parent Loop BB2_1009 Depth=2
                                        ;       Parent Loop BB2_1012 Depth=3
                                        ; =>      This Inner Loop Header: Depth=4
	s_delay_alu instid0(VALU_DEP_1)
	v_add_nc_u64_e32 v[44:45], v[8:9], v[118:119]
	v_sub_nc_u32_e32 v41, v41, v36
	v_add_nc_u64_e32 v[118:119], v[118:119], v[66:67]
	s_clause 0x3
	flat_load_u16 v47, v[44:45] th:TH_LOAD_NT
	flat_load_u16 v56, v[44:45] offset:64 th:TH_LOAD_NT
	flat_load_u16 v57, v[44:45] offset:128 th:TH_LOAD_NT
	;; [unrolled: 1-line block ×3, first 2 shown]
	s_wait_xcnt 0x0
	v_add_nc_u64_e32 v[44:45], v[8:9], v[10:11]
	v_cmp_gt_i32_e32 vcc_lo, 1, v41
	v_add_nc_u64_e32 v[10:11], v[10:11], v[66:67]
	s_wait_loadcnt_dscnt 0x303
	flat_store_b16 v[44:45], v47 th:TH_STORE_NT
	s_wait_loadcnt_dscnt 0x203
	flat_store_b16 v[44:45], v56 offset:64 th:TH_STORE_NT
	s_wait_loadcnt_dscnt 0x103
	flat_store_b16 v[44:45], v57 offset:128 th:TH_STORE_NT
	;; [unrolled: 2-line block ×3, first 2 shown]
	s_or_b32 s15, vcc_lo, s15
	s_wait_xcnt 0x0
	s_and_not1_b32 exec_lo, exec_lo, s15
	s_cbranch_execnz .LBB2_1138
; %bb.1139:                             ;   in Loop: Header=BB2_1012 Depth=3
	s_or_b32 exec_lo, exec_lo, s15
.LBB2_1140:                             ;   in Loop: Header=BB2_1012 Depth=3
	s_delay_alu instid0(SALU_CYCLE_1) | instskip(SKIP_1) | instid1(VALU_DEP_1)
	s_or_b32 exec_lo, exec_lo, s14
	v_lshlrev_b32_e32 v8, 8, v43
	v_cmp_ne_u32_e32 vcc_lo, v13, v8
	s_and_b32 exec_lo, exec_lo, vcc_lo
	s_cbranch_execz .LBB2_1144
; %bb.1141:                             ;   in Loop: Header=BB2_1012 Depth=3
	v_dual_add_nc_u32 v9, v40, v42 :: v_dual_lshlrev_b32 v10, 5, v41
	s_delay_alu instid0(VALU_DEP_1) | instskip(NEXT) | instid1(VALU_DEP_1)
	v_and_b32_e32 v9, 0xffffffe0, v9
	v_sub_nc_u32_e32 v9, v40, v9
	s_delay_alu instid0(VALU_DEP_1) | instskip(NEXT) | instid1(VALU_DEP_1)
	v_sub_nc_u32_e32 v9, v9, v10
	v_ashrrev_i32_e32 v10, 31, v9
	s_delay_alu instid0(VALU_DEP_1) | instskip(NEXT) | instid1(VALU_DEP_1)
	v_lshrrev_b32_e32 v10, 27, v10
	v_add_nc_u32_e32 v10, v9, v10
	s_delay_alu instid0(VALU_DEP_1) | instskip(NEXT) | instid1(VALU_DEP_1)
	v_and_b32_e32 v11, 0x7fffffe0, v10
	v_dual_lshlrev_b32 v10, 1, v10 :: v_dual_sub_nc_u32 v9, v9, v11
	s_delay_alu instid0(VALU_DEP_1) | instskip(NEXT) | instid1(VALU_DEP_2)
	v_and_b32_e32 v10, 0xffffffc0, v10
	v_lshlrev_b32_e32 v9, 1, v9
	s_delay_alu instid0(VALU_DEP_1) | instskip(NEXT) | instid1(VALU_DEP_1)
	v_add3_u32 v8, v10, v9, v8
	v_sub_nc_u32_e32 v10, v13, v8
	s_delay_alu instid0(VALU_DEP_1)
	v_cmp_lt_i32_e32 vcc_lo, 1, v10
	s_and_b32 exec_lo, exec_lo, vcc_lo
	s_cbranch_execz .LBB2_1144
; %bb.1142:                             ;   in Loop: Header=BB2_1012 Depth=3
	v_add_nc_u32_e32 v8, v8, v15
	s_mov_b32 s14, 0
	s_delay_alu instid0(VALU_DEP_1)
	v_ashrrev_i32_e32 v9, 31, v8
.LBB2_1143:                             ;   Parent Loop BB2_47 Depth=1
                                        ;     Parent Loop BB2_1009 Depth=2
                                        ;       Parent Loop BB2_1012 Depth=3
                                        ; =>      This Inner Loop Header: Depth=4
	s_delay_alu instid0(VALU_DEP_1) | instskip(SKIP_1) | instid1(VALU_DEP_1)
	v_add_nc_u64_e32 v[118:119], v[114:115], v[8:9]
	v_sub_nc_u32_e32 v10, v10, v68
	v_cmp_gt_i32_e32 vcc_lo, 2, v10
	flat_load_u16 v11, v[118:119] th:TH_LOAD_NT
	s_wait_xcnt 0x0
	v_add_nc_u64_e32 v[118:119], v[116:117], v[8:9]
	v_add_nc_u64_e32 v[8:9], v[8:9], v[68:69]
	s_or_b32 s14, vcc_lo, s14
	s_wait_loadcnt_dscnt 0x0
	flat_store_b16 v[118:119], v11 th:TH_STORE_NT
	s_wait_xcnt 0x0
	s_and_not1_b32 exec_lo, exec_lo, s14
	s_cbranch_execnz .LBB2_1143
.LBB2_1144:                             ;   in Loop: Header=BB2_1012 Depth=3
	s_or_b32 exec_lo, exec_lo, s13
.LBB2_1145:                             ;   in Loop: Header=BB2_1012 Depth=3
	v_cmp_lt_i32_e64 s13, 0, v2
	s_and_saveexec_b32 s14, s2
	s_cbranch_execz .LBB2_1164
.LBB2_1146:                             ;   in Loop: Header=BB2_1012 Depth=3
	s_and_saveexec_b32 s15, s3
	s_delay_alu instid0(SALU_CYCLE_1)
	s_xor_b32 s15, exec_lo, s15
	s_cbranch_execz .LBB2_1161
; %bb.1147:                             ;   in Loop: Header=BB2_1012 Depth=3
	s_and_saveexec_b32 s40, s6
	s_cbranch_execz .LBB2_1160
; %bb.1148:                             ;   in Loop: Header=BB2_1012 Depth=3
	s_mov_b32 s63, exec_lo
	s_mov_b32 s41, exec_lo
	v_mbcnt_lo_u32_b32 v2, s63, 0
	global_wb scope:SCOPE_DEV
	s_wait_storecnt 0x0
	s_wait_loadcnt_dscnt 0x0
	global_inv scope:SCOPE_DEV
	v_cmpx_eq_u32_e32 0, v2
	s_cbranch_execz .LBB2_1150
; %bb.1149:                             ;   in Loop: Header=BB2_1012 Depth=3
	s_bcnt1_i32_b32 s63, s63
	s_delay_alu instid0(SALU_CYCLE_1)
	v_mov_b32_e32 v2, s63
	s_wait_loadcnt 0x0
	ds_add_u64 v0, v[2:3]
	s_trap 2
.LBB2_1150:                             ;   in Loop: Header=BB2_1012 Depth=3
	s_or_b32 exec_lo, exec_lo, s41
	s_trap 2
	ds_load_b64 v[8:9], v0
	s_wait_dscnt 0x0
	v_add_nc_u64_e32 v[32:33], v[32:33], v[36:37]
	s_mov_b32 s41, exec_lo
	s_delay_alu instid0(VALU_DEP_1)
	v_cmpx_lt_u64_e64 v[8:9], v[32:33]
	s_cbranch_execz .LBB2_1159
; %bb.1151:                             ;   in Loop: Header=BB2_1012 Depth=3
	s_mov_b32 s63, 0
	s_mov_b32 s74, 0
                                        ; implicit-def: $sgpr72
                                        ; implicit-def: $sgpr73
	s_branch .LBB2_1153
.LBB2_1152:                             ;   in Loop: Header=BB2_1153 Depth=4
	s_or_b32 exec_lo, exec_lo, s76
	s_delay_alu instid0(SALU_CYCLE_1) | instskip(NEXT) | instid1(SALU_CYCLE_1)
	s_and_b32 s75, exec_lo, s77
	s_or_b32 s63, s75, s63
	s_and_not1_b32 s72, s72, exec_lo
	s_and_b32 s75, s73, exec_lo
	s_delay_alu instid0(SALU_CYCLE_1)
	s_or_b32 s72, s72, s75
	s_and_not1_b32 exec_lo, exec_lo, s63
	s_cbranch_execz .LBB2_1157
.LBB2_1153:                             ;   Parent Loop BB2_47 Depth=1
                                        ;     Parent Loop BB2_1009 Depth=2
                                        ;       Parent Loop BB2_1012 Depth=3
                                        ; =>      This Inner Loop Header: Depth=4
	s_add_co_i32 s74, s74, 1
	s_delay_alu instid0(SALU_CYCLE_1) | instskip(SKIP_1) | instid1(SALU_CYCLE_1)
	s_cmp_lg_u32 s74, 0x2710
	s_cselect_b32 s75, -1, 0
	s_and_b32 vcc_lo, exec_lo, s75
	s_cbranch_vccz .LBB2_1155
; %bb.1154:                             ;   in Loop: Header=BB2_1153 Depth=4
	s_mov_b32 s77, -1
	s_or_b32 s73, s73, exec_lo
	s_and_saveexec_b32 s76, s75
	s_cbranch_execz .LBB2_1152
	s_branch .LBB2_1156
.LBB2_1155:                             ;   in Loop: Header=BB2_1153 Depth=4
	s_trap 2
	ds_load_b64 v[8:9], v0
	s_and_not1_b32 s75, s75, exec_lo
	s_mov_b32 s74, 0
	s_wait_loadcnt_dscnt 0x0
	flat_load_b32 v2, v[8:9] scope:SCOPE_SYS
	s_wait_loadcnt_dscnt 0x0
	global_inv scope:SCOPE_SYS
	v_cmp_eq_u32_e32 vcc_lo, 0, v2
	s_and_b32 s76, vcc_lo, exec_lo
	s_delay_alu instid0(SALU_CYCLE_1)
	s_or_b32 s75, s75, s76
	s_mov_b32 s77, -1
	s_or_b32 s73, s73, exec_lo
	s_and_saveexec_b32 s76, s75
	s_cbranch_execz .LBB2_1152
.LBB2_1156:                             ;   in Loop: Header=BB2_1153 Depth=4
	s_sleep 1
	s_trap 2
	ds_load_b64 v[8:9], v0
	s_wait_dscnt 0x0
	s_and_not1_b32 s73, s73, exec_lo
	v_cmp_ge_u64_e32 vcc_lo, v[8:9], v[32:33]
	s_or_not1_b32 s77, vcc_lo, exec_lo
	s_branch .LBB2_1152
.LBB2_1157:                             ;   in Loop: Header=BB2_1012 Depth=3
	s_or_b32 exec_lo, exec_lo, s63
	s_and_saveexec_b32 s63, s72
	s_delay_alu instid0(SALU_CYCLE_1)
	s_xor_b32 s63, exec_lo, s63
	s_cbranch_execz .LBB2_1159
; %bb.1158:                             ;   in Loop: Header=BB2_1012 Depth=3
	ds_store_b32 v0, v61
	s_trap 2
.LBB2_1159:                             ;   in Loop: Header=BB2_1012 Depth=3
	s_or_b32 exec_lo, exec_lo, s41
	;;#ASMSTART
	s_wakeup
	;;#ASMEND
.LBB2_1160:                             ;   in Loop: Header=BB2_1012 Depth=3
	s_or_b32 exec_lo, exec_lo, s40
.LBB2_1161:                             ;   in Loop: Header=BB2_1012 Depth=3
	s_and_not1_saveexec_b32 s15, s15
	s_cbranch_execz .LBB2_1163
; %bb.1162:                             ;   in Loop: Header=BB2_1012 Depth=3
	global_wb scope:SCOPE_DEV
	s_wait_storecnt 0x0
	s_wait_loadcnt_dscnt 0x0
	global_inv scope:SCOPE_DEV
	s_barrier_signal -1
	s_barrier_wait -1
.LBB2_1163:                             ;   in Loop: Header=BB2_1012 Depth=3
	s_or_b32 exec_lo, exec_lo, s15
.LBB2_1164:                             ;   in Loop: Header=BB2_1012 Depth=3
	s_delay_alu instid0(SALU_CYCLE_1) | instskip(SKIP_2) | instid1(SALU_CYCLE_1)
	s_or_b32 exec_lo, exec_lo, s14
	v_and_b32_e32 v8, 16, v30
	s_and_saveexec_b32 s14, s7
	s_xor_b32 s14, exec_lo, s14
	s_cbranch_execz .LBB2_1168
; %bb.1165:                             ;   in Loop: Header=BB2_1012 Depth=3
	v_and_b32_e32 v2, 16, v30
	v_and_b32_e32 v8, 16, v30
	s_delay_alu instid0(VALU_DEP_2) | instskip(SKIP_1) | instid1(SALU_CYCLE_1)
	v_cmp_ne_u32_e32 vcc_lo, 0, v2
	s_and_b32 s15, vcc_lo, s13
	s_and_saveexec_b32 s13, s15
	s_cbranch_execz .LBB2_1167
; %bb.1166:                             ;   in Loop: Header=BB2_1012 Depth=3
	v_mov_b32_e32 v8, 1
	global_wb scope:SCOPE_SYS
	s_wait_storecnt 0x0
	s_wait_loadcnt_dscnt 0x0
	global_inv scope:SCOPE_SYS
.LBB2_1167:                             ;   in Loop: Header=BB2_1012 Depth=3
	s_or_b32 exec_lo, exec_lo, s13
.LBB2_1168:                             ;   in Loop: Header=BB2_1012 Depth=3
	s_and_not1_saveexec_b32 s13, s14
	s_cbranch_execz .LBB2_1187
; %bb.1169:                             ;   in Loop: Header=BB2_1012 Depth=3
	s_and_saveexec_b32 s14, s3
	s_delay_alu instid0(SALU_CYCLE_1)
	s_xor_b32 s14, exec_lo, s14
	s_cbranch_execz .LBB2_1184
; %bb.1170:                             ;   in Loop: Header=BB2_1012 Depth=3
	s_and_saveexec_b32 s15, s6
	s_cbranch_execz .LBB2_1183
; %bb.1171:                             ;   in Loop: Header=BB2_1012 Depth=3
	s_mov_b32 s41, exec_lo
	s_mov_b32 s40, exec_lo
	v_mbcnt_lo_u32_b32 v2, s41, 0
	;;#ASMSTART
	s_waitcnt lgkmcnt(0) vmcnt(0)
	;;#ASMEND
	s_delay_alu instid0(VALU_DEP_1)
	v_cmpx_eq_u32_e32 0, v2
	s_cbranch_execz .LBB2_1173
; %bb.1172:                             ;   in Loop: Header=BB2_1012 Depth=3
	s_bcnt1_i32_b32 s41, s41
	s_delay_alu instid0(SALU_CYCLE_1)
	v_mov_b32_e32 v2, s41
	s_wait_storecnt 0x0
	s_wait_loadcnt_dscnt 0x0
	ds_add_u64 v0, v[2:3]
	s_trap 2
.LBB2_1173:                             ;   in Loop: Header=BB2_1012 Depth=3
	s_or_b32 exec_lo, exec_lo, s40
	s_trap 2
	ds_load_b64 v[10:11], v0
	s_wait_dscnt 0x0
	v_add_nc_u64_e32 v[32:33], v[32:33], v[36:37]
	s_mov_b32 s40, exec_lo
	s_delay_alu instid0(VALU_DEP_1)
	v_cmpx_lt_u64_e64 v[10:11], v[32:33]
	s_cbranch_execz .LBB2_1182
; %bb.1174:                             ;   in Loop: Header=BB2_1012 Depth=3
	s_mov_b32 s41, 0
	s_mov_b32 s73, 0
                                        ; implicit-def: $sgpr63
                                        ; implicit-def: $sgpr72
	s_branch .LBB2_1176
.LBB2_1175:                             ;   in Loop: Header=BB2_1176 Depth=4
	s_or_b32 exec_lo, exec_lo, s75
	s_delay_alu instid0(SALU_CYCLE_1) | instskip(NEXT) | instid1(SALU_CYCLE_1)
	s_and_b32 s74, exec_lo, s76
	s_or_b32 s41, s74, s41
	s_and_not1_b32 s63, s63, exec_lo
	s_and_b32 s74, s72, exec_lo
	s_delay_alu instid0(SALU_CYCLE_1)
	s_or_b32 s63, s63, s74
	s_and_not1_b32 exec_lo, exec_lo, s41
	s_cbranch_execz .LBB2_1180
.LBB2_1176:                             ;   Parent Loop BB2_47 Depth=1
                                        ;     Parent Loop BB2_1009 Depth=2
                                        ;       Parent Loop BB2_1012 Depth=3
                                        ; =>      This Inner Loop Header: Depth=4
	s_add_co_i32 s73, s73, 1
	s_delay_alu instid0(SALU_CYCLE_1) | instskip(SKIP_1) | instid1(SALU_CYCLE_1)
	s_cmp_lg_u32 s73, 0x2710
	s_cselect_b32 s74, -1, 0
	s_and_b32 vcc_lo, exec_lo, s74
	s_cbranch_vccz .LBB2_1178
; %bb.1177:                             ;   in Loop: Header=BB2_1176 Depth=4
	s_mov_b32 s76, -1
	s_or_b32 s72, s72, exec_lo
	s_and_saveexec_b32 s75, s74
	s_cbranch_execz .LBB2_1175
	s_branch .LBB2_1179
.LBB2_1178:                             ;   in Loop: Header=BB2_1176 Depth=4
	s_trap 2
	ds_load_b64 v[10:11], v0
	s_and_not1_b32 s74, s74, exec_lo
	s_mov_b32 s73, 0
	s_wait_storecnt 0x0
	s_wait_loadcnt_dscnt 0x0
	flat_load_b32 v2, v[10:11] scope:SCOPE_SYS
	s_wait_loadcnt_dscnt 0x0
	global_inv scope:SCOPE_SYS
	v_cmp_eq_u32_e32 vcc_lo, 0, v2
	s_and_b32 s75, vcc_lo, exec_lo
	s_delay_alu instid0(SALU_CYCLE_1)
	s_or_b32 s74, s74, s75
	s_mov_b32 s76, -1
	s_or_b32 s72, s72, exec_lo
	s_and_saveexec_b32 s75, s74
	s_cbranch_execz .LBB2_1175
.LBB2_1179:                             ;   in Loop: Header=BB2_1176 Depth=4
	s_sleep 1
	s_trap 2
	ds_load_b64 v[10:11], v0
	s_wait_dscnt 0x0
	s_and_not1_b32 s72, s72, exec_lo
	v_cmp_ge_u64_e32 vcc_lo, v[10:11], v[32:33]
	s_or_not1_b32 s76, vcc_lo, exec_lo
	s_branch .LBB2_1175
.LBB2_1180:                             ;   in Loop: Header=BB2_1012 Depth=3
	s_or_b32 exec_lo, exec_lo, s41
	s_and_saveexec_b32 s41, s63
	s_delay_alu instid0(SALU_CYCLE_1)
	s_xor_b32 s41, exec_lo, s41
	s_cbranch_execz .LBB2_1182
; %bb.1181:                             ;   in Loop: Header=BB2_1012 Depth=3
	ds_store_b32 v0, v61
	s_trap 2
.LBB2_1182:                             ;   in Loop: Header=BB2_1012 Depth=3
	s_or_b32 exec_lo, exec_lo, s40
	;;#ASMSTART
	s_wakeup
	;;#ASMEND
.LBB2_1183:                             ;   in Loop: Header=BB2_1012 Depth=3
	s_or_b32 exec_lo, exec_lo, s15
.LBB2_1184:                             ;   in Loop: Header=BB2_1012 Depth=3
	s_and_not1_saveexec_b32 s14, s14
	s_cbranch_execz .LBB2_1186
; %bb.1185:                             ;   in Loop: Header=BB2_1012 Depth=3
	;;#ASMSTART
	s_waitcnt lgkmcnt(0) vmcnt(0)
	;;#ASMEND
	s_barrier_signal -1
	s_barrier_wait -1
.LBB2_1186:                             ;   in Loop: Header=BB2_1012 Depth=3
	s_or_b32 exec_lo, exec_lo, s14
.LBB2_1187:                             ;   in Loop: Header=BB2_1012 Depth=3
	s_delay_alu instid0(SALU_CYCLE_1) | instskip(SKIP_2) | instid1(SALU_CYCLE_1)
	s_or_b32 exec_lo, exec_lo, s13
	v_cmp_ne_u32_e32 vcc_lo, 0, v8
	s_xor_b32 s13, s4, -1
	s_and_b32 s14, vcc_lo, s13
	s_delay_alu instid0(SALU_CYCLE_1)
	s_and_saveexec_b32 s13, s14
	s_cbranch_execz .LBB2_1189
; %bb.1188:                             ;   in Loop: Header=BB2_1012 Depth=3
	global_wb scope:SCOPE_SYS
	s_wait_storecnt 0x0
	s_wait_loadcnt_dscnt 0x0
	flat_store_b32 v[28:29], v61 scope:SCOPE_SYS
.LBB2_1189:                             ;   in Loop: Header=BB2_1012 Depth=3
	s_wait_xcnt 0x0
	s_or_b32 exec_lo, exec_lo, s13
	v_and_b32_e32 v2, 48, v30
	s_mov_b32 s13, exec_lo
	s_delay_alu instid0(VALU_DEP_1)
	v_cmpx_ne_u32_e32 0, v2
	s_cbranch_execz .LBB2_1011
; %bb.1190:                             ;   in Loop: Header=BB2_1012 Depth=3
	v_add_nc_u64_e32 v[98:99], 2, v[98:99]
	global_wb scope:SCOPE_SYS
	s_wait_storecnt 0x0
	s_wait_loadcnt_dscnt 0x0
	flat_store_b64 v[22:23], v[98:99] scope:SCOPE_SYS
	s_branch .LBB2_1011
.LBB2_1191:                             ;   in Loop: Header=BB2_1009 Depth=2
	s_or_b32 exec_lo, exec_lo, s60
.LBB2_1192:                             ;   in Loop: Header=BB2_1009 Depth=2
	s_delay_alu instid0(SALU_CYCLE_1) | instskip(NEXT) | instid1(SALU_CYCLE_1)
	s_or_b32 exec_lo, exec_lo, s27
	s_mov_b32 s14, exec_lo
	v_cmpx_gt_i32_e32 2, v2
	s_cbranch_execz .LBB2_1268
; %bb.1193:                             ;   in Loop: Header=BB2_1009 Depth=2
	v_cmp_eq_u32_e64 s27, 0, v2
	s_mov_b32 s15, 0
	s_branch .LBB2_1195
.LBB2_1194:                             ;   in Loop: Header=BB2_1195 Depth=3
	s_wait_xcnt 0x0
	s_or_b32 exec_lo, exec_lo, s13
	v_add_nc_u32_e32 v14, v12, v14
	s_mov_b32 s27, 0
	s_and_not1_b32 exec_lo, exec_lo, s15
	s_cbranch_execz .LBB2_1267
.LBB2_1195:                             ;   Parent Loop BB2_47 Depth=1
                                        ;     Parent Loop BB2_1009 Depth=2
                                        ; =>    This Loop Header: Depth=3
                                        ;         Child Loop BB2_1201 Depth 4
                                        ;         Child Loop BB2_1229 Depth 4
	;; [unrolled: 1-line block ×3, first 2 shown]
	s_delay_alu instid0(VALU_DEP_1) | instskip(SKIP_2) | instid1(VALU_DEP_2)
	v_sub_nc_u32_e32 v2, v46, v14
	v_and_b32_e32 v8, 12, v30
	s_mov_b32 s40, exec_lo
	v_min_i32_e32 v12, v12, v2
	s_delay_alu instid0(VALU_DEP_2)
	v_cmpx_ne_u32_e32 0, v8
	s_cbranch_execz .LBB2_1221
; %bb.1196:                             ;   in Loop: Header=BB2_1195 Depth=3
	v_and_b32_e32 v2, 8, v30
	v_add_nc_u64_e32 v[8:9], 2, v[98:99]
	s_mov_b32 s41, exec_lo
	s_wait_loadcnt_dscnt 0x1
	s_delay_alu instid0(VALU_DEP_2) | instskip(NEXT) | instid1(VALU_DEP_1)
	v_add_nc_u64_e32 v[10:11], v[34:35], v[2:3]
	v_cmpx_lt_u64_e64 v[10:11], v[8:9]
	s_cbranch_execz .LBB2_1208
; %bb.1197:                             ;   in Loop: Header=BB2_1195 Depth=3
	v_and_b32_e32 v10, 64, v30
	s_mov_b32 s60, 0
	s_mov_b32 s72, 0
                                        ; implicit-def: $sgpr61
                                        ; implicit-def: $sgpr62
                                        ; implicit-def: $sgpr63
	s_delay_alu instid0(VALU_DEP_1)
	v_cmp_eq_u32_e32 vcc_lo, 0, v10
	s_branch .LBB2_1201
.LBB2_1198:                             ;   in Loop: Header=BB2_1201 Depth=4
	s_wait_loadcnt_dscnt 0x0
	v_add_nc_u64_e32 v[112:113], v[34:35], v[2:3]
	s_or_b32 s75, s75, exec_lo
	s_delay_alu instid0(VALU_DEP_1)
	v_cmp_ge_u64_e64 s13, v[112:113], v[8:9]
	s_or_not1_b32 s74, s13, exec_lo
.LBB2_1199:                             ;   in Loop: Header=BB2_1201 Depth=4
	s_or_b32 exec_lo, exec_lo, s77
	s_delay_alu instid0(SALU_CYCLE_1)
	s_and_not1_b32 s13, s63, exec_lo
	s_and_b32 s63, s75, exec_lo
	s_and_not1_b32 s62, s62, exec_lo
	s_and_b32 s74, s74, exec_lo
	s_or_b32 s63, s13, s63
	s_or_b32 s62, s62, s74
.LBB2_1200:                             ;   in Loop: Header=BB2_1201 Depth=4
	s_or_b32 exec_lo, exec_lo, s73
	s_delay_alu instid0(SALU_CYCLE_1) | instskip(NEXT) | instid1(SALU_CYCLE_1)
	s_and_b32 s13, exec_lo, s62
	s_or_b32 s60, s13, s60
	s_and_not1_b32 s13, s61, exec_lo
	s_and_b32 s61, s63, exec_lo
	s_delay_alu instid0(SALU_CYCLE_1)
	s_or_b32 s61, s13, s61
	s_and_not1_b32 exec_lo, exec_lo, s60
	s_cbranch_execz .LBB2_1205
.LBB2_1201:                             ;   Parent Loop BB2_47 Depth=1
                                        ;     Parent Loop BB2_1009 Depth=2
                                        ;       Parent Loop BB2_1195 Depth=3
                                        ; =>      This Inner Loop Header: Depth=4
	s_sleep 1
	s_wait_loadcnt_dscnt 0x0
	flat_load_b64 v[34:35], v[22:23] scope:SCOPE_SYS
	s_or_b32 s63, s63, exec_lo
	s_or_b32 s62, s62, exec_lo
                                        ; implicit-def: $vgpr10
	s_wait_xcnt 0x0
	s_and_saveexec_b32 s73, vcc_lo
	s_cbranch_execz .LBB2_1200
; %bb.1202:                             ;   in Loop: Header=BB2_1201 Depth=4
	s_cmp_lt_i32 s72, 0x270f
	s_mov_b32 s74, -1
	s_cselect_b32 s76, -1, 0
	s_cmp_gt_i32 s72, 0x270e
	s_cbranch_scc0 .LBB2_1204
; %bb.1203:                             ;   in Loop: Header=BB2_1201 Depth=4
	s_trap 2
	ds_load_b64 v[10:11], v0
	s_and_not1_b32 s72, s76, exec_lo
	s_mov_b32 s75, 0
	s_wait_storecnt 0x0
	s_wait_loadcnt_dscnt 0x0
	flat_load_b32 v10, v[10:11] scope:SCOPE_SYS
	s_wait_loadcnt_dscnt 0x0
	global_inv scope:SCOPE_SYS
	v_cmp_eq_u32_e64 s13, 0, v10
	s_and_b32 s13, s13, exec_lo
	s_delay_alu instid0(SALU_CYCLE_1)
	s_or_b32 s76, s72, s13
	s_mov_b32 s72, 0
	s_and_saveexec_b32 s77, s76
	s_cbranch_execz .LBB2_1199
	s_branch .LBB2_1198
.LBB2_1204:                             ;   in Loop: Header=BB2_1201 Depth=4
	s_add_co_i32 s72, s72, 1
	s_mov_b32 s75, -1
                                        ; implicit-def: $vgpr10
	s_and_saveexec_b32 s77, s76
	s_cbranch_execz .LBB2_1199
	s_branch .LBB2_1198
.LBB2_1205:                             ;   in Loop: Header=BB2_1195 Depth=3
	s_or_b32 exec_lo, exec_lo, s60
	s_xor_b32 s13, s61, -1
	s_delay_alu instid0(SALU_CYCLE_1) | instskip(NEXT) | instid1(SALU_CYCLE_1)
	s_and_saveexec_b32 s60, s13
	s_xor_b32 s13, exec_lo, s60
	s_cbranch_execz .LBB2_1207
; %bb.1206:                             ;   in Loop: Header=BB2_1195 Depth=3
	v_or_b32_e32 v30, 64, v30
	s_wait_storecnt 0x0
	s_wait_loadcnt_dscnt 0x0
	ds_store_b32 v0, v10
	s_trap 2
.LBB2_1207:                             ;   in Loop: Header=BB2_1195 Depth=3
	s_or_b32 exec_lo, exec_lo, s13
.LBB2_1208:                             ;   in Loop: Header=BB2_1195 Depth=3
	s_delay_alu instid0(SALU_CYCLE_1) | instskip(SKIP_2) | instid1(VALU_DEP_1)
	s_or_b32 exec_lo, exec_lo, s41
	v_and_b32_e32 v10, 0x108, v30
	;;#ASMSTART
	s_wakeup
	;;#ASMEND
	v_cmp_ne_u32_e32 vcc_lo, 0x108, v10
                                        ; implicit-def: $vgpr10_vgpr11
	s_and_saveexec_b32 s13, vcc_lo
	s_delay_alu instid0(SALU_CYCLE_1)
	s_xor_b32 s13, exec_lo, s13
; %bb.1209:                             ;   in Loop: Header=BB2_1195 Depth=3
	v_dual_mov_b32 v11, v3 :: v_dual_bitop2_b32 v10, 7, v98 bitop3:0x40
                                        ; implicit-def: $vgpr98_vgpr99
; %bb.1210:                             ;   in Loop: Header=BB2_1195 Depth=3
	s_and_not1_saveexec_b32 s13, s13
	s_cbranch_execz .LBB2_1212
; %bb.1211:                             ;   in Loop: Header=BB2_1195 Depth=3
	v_dual_ashrrev_i32 v13, 31, v12 :: v_dual_bitop2_b32 v10, 7, v98 bitop3:0x40
	v_mov_b32_e32 v11, v3
	s_delay_alu instid0(VALU_DEP_2) | instskip(NEXT) | instid1(VALU_DEP_3)
	v_mad_nc_u64_u32 v[98:99], v10, 24, v[6:7]
	v_lshlrev_b64_e32 v[112:113], 1, v[12:13]
	flat_store_b64 v[98:99], v[112:113] offset:8
.LBB2_1212:                             ;   in Loop: Header=BB2_1195 Depth=3
	s_wait_xcnt 0x0
	s_or_b32 exec_lo, exec_lo, s13
	v_and_b32_e32 v13, 0x100, v30
	s_mov_b32 s13, -1
	s_mov_b32 s41, exec_lo
                                        ; implicit-def: $vgpr98_vgpr99
	s_delay_alu instid0(VALU_DEP_1)
	v_cmpx_ne_u32_e32 0, v13
	s_cbranch_execz .LBB2_1216
; %bb.1213:                             ;   in Loop: Header=BB2_1195 Depth=3
	v_mad_nc_u64_u32 v[112:113], v10, 24, v[6:7]
	s_mov_b32 s60, exec_lo
                                        ; implicit-def: $vgpr98_vgpr99
	s_delay_alu instid0(VALU_DEP_1)
	v_mad_u32 v113, v11, 24, v113
	flat_load_b32 v13, v[112:113]
	s_wait_loadcnt_dscnt 0x0
	v_cmp_ne_u32_e32 vcc_lo, 1, v13
	s_wait_xcnt 0x0
	v_cmpx_eq_u32_e32 1, v13
	s_cbranch_execz .LBB2_1215
; %bb.1214:                             ;   in Loop: Header=BB2_1195 Depth=3
	flat_load_b32 v98, v[112:113] offset:4 scope:SCOPE_SYS
	s_wait_loadcnt_dscnt 0x0
	v_ashrrev_i32_e32 v99, 31, v98
	s_delay_alu instid0(VALU_DEP_1)
	v_lshrrev_b64 v[98:99], 1, v[98:99]
.LBB2_1215:                             ;   in Loop: Header=BB2_1195 Depth=3
	s_wait_xcnt 0x0
	s_or_b32 exec_lo, exec_lo, s60
	s_delay_alu instid0(SALU_CYCLE_1)
	s_or_not1_b32 s13, vcc_lo, exec_lo
.LBB2_1216:                             ;   in Loop: Header=BB2_1195 Depth=3
	s_or_b32 exec_lo, exec_lo, s41
	s_and_saveexec_b32 s41, s13
; %bb.1217:                             ;   in Loop: Header=BB2_1195 Depth=3
	v_mul_u64_e32 v[98:99], v[10:11], v[24:25]
; %bb.1218:                             ;   in Loop: Header=BB2_1195 Depth=3
	s_or_b32 exec_lo, exec_lo, s41
	v_cmp_eq_u32_e32 vcc_lo, 0, v2
	v_and_b32_e32 v13, 0x2000, v30
	s_delay_alu instid0(VALU_DEP_3) | instskip(SKIP_2) | instid1(VALU_DEP_1)
	v_lshl_add_u64 v[10:11], v[98:99], 1, v[26:27]
	s_mov_b32 s13, exec_lo
	v_cndmask_b32_e32 v2, 0xd0, v63, vcc_lo
	v_add_nc_u32_e32 v2, v0, v2
	ds_store_b64 v2, v[10:11] offset:584
	v_cmpx_ne_u32_e32 0, v13
	s_cbranch_execz .LBB2_1220
; %bb.1219:                             ;   in Loop: Header=BB2_1195 Depth=3
	ds_load_b64 v[10:11], v0 offset:872
	s_wait_dscnt 0x0
	v_add_nc_u64_e32 v[10:11], 1, v[10:11]
	ds_store_b64 v0, v[10:11] offset:872
.LBB2_1220:                             ;   in Loop: Header=BB2_1195 Depth=3
	s_or_b32 exec_lo, exec_lo, s13
	v_mov_b64_e32 v[98:99], v[8:9]
.LBB2_1221:                             ;   in Loop: Header=BB2_1195 Depth=3
	s_or_b32 exec_lo, exec_lo, s40
	s_xor_b32 s13, s27, -1
	s_delay_alu instid0(SALU_CYCLE_1) | instskip(NEXT) | instid1(SALU_CYCLE_1)
	s_and_b32 s13, exec_lo, s13
	s_or_b32 s15, s13, s15
	s_and_saveexec_b32 s13, s2
	s_cbranch_execz .LBB2_1240
; %bb.1222:                             ;   in Loop: Header=BB2_1195 Depth=3
	s_and_saveexec_b32 s27, s3
	s_delay_alu instid0(SALU_CYCLE_1)
	s_xor_b32 s27, exec_lo, s27
	s_cbranch_execz .LBB2_1237
; %bb.1223:                             ;   in Loop: Header=BB2_1195 Depth=3
	s_and_saveexec_b32 s40, s6
	s_cbranch_execz .LBB2_1236
; %bb.1224:                             ;   in Loop: Header=BB2_1195 Depth=3
	s_mov_b32 s60, exec_lo
	s_mov_b32 s41, exec_lo
	v_mbcnt_lo_u32_b32 v2, s60, 0
	global_wb scope:SCOPE_DEV
	s_wait_storecnt 0x0
	s_wait_loadcnt_dscnt 0x0
	global_inv scope:SCOPE_DEV
	v_cmpx_eq_u32_e32 0, v2
	s_cbranch_execz .LBB2_1226
; %bb.1225:                             ;   in Loop: Header=BB2_1195 Depth=3
	s_bcnt1_i32_b32 s60, s60
	s_delay_alu instid0(SALU_CYCLE_1)
	v_mov_b32_e32 v2, s60
	s_wait_loadcnt 0x0
	ds_add_u64 v0, v[2:3]
	s_trap 2
.LBB2_1226:                             ;   in Loop: Header=BB2_1195 Depth=3
	s_or_b32 exec_lo, exec_lo, s41
	s_trap 2
	ds_load_b64 v[8:9], v0
	s_wait_dscnt 0x0
	v_add_nc_u64_e32 v[32:33], v[32:33], v[36:37]
	s_mov_b32 s41, exec_lo
	s_delay_alu instid0(VALU_DEP_1)
	v_cmpx_lt_u64_e64 v[8:9], v[32:33]
	s_cbranch_execz .LBB2_1235
; %bb.1227:                             ;   in Loop: Header=BB2_1195 Depth=3
	s_mov_b32 s60, 0
	s_mov_b32 s63, 0
                                        ; implicit-def: $sgpr61
                                        ; implicit-def: $sgpr62
	s_branch .LBB2_1229
.LBB2_1228:                             ;   in Loop: Header=BB2_1229 Depth=4
	s_or_b32 exec_lo, exec_lo, s73
	s_delay_alu instid0(SALU_CYCLE_1) | instskip(NEXT) | instid1(SALU_CYCLE_1)
	s_and_b32 s72, exec_lo, s74
	s_or_b32 s60, s72, s60
	s_and_not1_b32 s61, s61, exec_lo
	s_and_b32 s72, s62, exec_lo
	s_delay_alu instid0(SALU_CYCLE_1)
	s_or_b32 s61, s61, s72
	s_and_not1_b32 exec_lo, exec_lo, s60
	s_cbranch_execz .LBB2_1233
.LBB2_1229:                             ;   Parent Loop BB2_47 Depth=1
                                        ;     Parent Loop BB2_1009 Depth=2
                                        ;       Parent Loop BB2_1195 Depth=3
                                        ; =>      This Inner Loop Header: Depth=4
	s_add_co_i32 s63, s63, 1
	s_delay_alu instid0(SALU_CYCLE_1) | instskip(SKIP_1) | instid1(SALU_CYCLE_1)
	s_cmp_lg_u32 s63, 0x2710
	s_cselect_b32 s72, -1, 0
	s_and_b32 vcc_lo, exec_lo, s72
	s_cbranch_vccz .LBB2_1231
; %bb.1230:                             ;   in Loop: Header=BB2_1229 Depth=4
	s_mov_b32 s74, -1
	s_or_b32 s62, s62, exec_lo
	s_and_saveexec_b32 s73, s72
	s_cbranch_execz .LBB2_1228
	s_branch .LBB2_1232
.LBB2_1231:                             ;   in Loop: Header=BB2_1229 Depth=4
	s_trap 2
	ds_load_b64 v[8:9], v0
	s_and_not1_b32 s72, s72, exec_lo
	s_mov_b32 s63, 0
	s_wait_loadcnt_dscnt 0x0
	flat_load_b32 v2, v[8:9] scope:SCOPE_SYS
	s_wait_loadcnt_dscnt 0x0
	global_inv scope:SCOPE_SYS
	v_cmp_eq_u32_e32 vcc_lo, 0, v2
	s_and_b32 s73, vcc_lo, exec_lo
	s_delay_alu instid0(SALU_CYCLE_1)
	s_or_b32 s72, s72, s73
	s_mov_b32 s74, -1
	s_or_b32 s62, s62, exec_lo
	s_and_saveexec_b32 s73, s72
	s_cbranch_execz .LBB2_1228
.LBB2_1232:                             ;   in Loop: Header=BB2_1229 Depth=4
	s_sleep 1
	s_trap 2
	ds_load_b64 v[8:9], v0
	s_wait_dscnt 0x0
	s_and_not1_b32 s62, s62, exec_lo
	v_cmp_ge_u64_e32 vcc_lo, v[8:9], v[32:33]
	s_or_not1_b32 s74, vcc_lo, exec_lo
	s_branch .LBB2_1228
.LBB2_1233:                             ;   in Loop: Header=BB2_1195 Depth=3
	s_or_b32 exec_lo, exec_lo, s60
	s_and_saveexec_b32 s60, s61
	s_delay_alu instid0(SALU_CYCLE_1)
	s_xor_b32 s60, exec_lo, s60
	s_cbranch_execz .LBB2_1235
; %bb.1234:                             ;   in Loop: Header=BB2_1195 Depth=3
	ds_store_b32 v0, v61
	s_trap 2
.LBB2_1235:                             ;   in Loop: Header=BB2_1195 Depth=3
	s_or_b32 exec_lo, exec_lo, s41
	;;#ASMSTART
	s_wakeup
	;;#ASMEND
.LBB2_1236:                             ;   in Loop: Header=BB2_1195 Depth=3
	s_or_b32 exec_lo, exec_lo, s40
.LBB2_1237:                             ;   in Loop: Header=BB2_1195 Depth=3
	s_and_not1_saveexec_b32 s27, s27
	s_cbranch_execz .LBB2_1239
; %bb.1238:                             ;   in Loop: Header=BB2_1195 Depth=3
	global_wb scope:SCOPE_DEV
	s_wait_storecnt 0x0
	s_wait_loadcnt_dscnt 0x0
	global_inv scope:SCOPE_DEV
	s_barrier_signal -1
	s_barrier_wait -1
.LBB2_1239:                             ;   in Loop: Header=BB2_1195 Depth=3
	s_or_b32 exec_lo, exec_lo, s27
.LBB2_1240:                             ;   in Loop: Header=BB2_1195 Depth=3
	s_delay_alu instid0(SALU_CYCLE_1) | instskip(SKIP_2) | instid1(SALU_CYCLE_1)
	s_or_b32 exec_lo, exec_lo, s13
	v_and_b32_e32 v8, 16, v30
	s_and_saveexec_b32 s13, s7
	s_xor_b32 s27, exec_lo, s13
	s_cbranch_execz .LBB2_1244
; %bb.1241:                             ;   in Loop: Header=BB2_1195 Depth=3
	s_trap 2
	ds_load_b32 v2, v0
	v_cmp_lt_i32_e32 vcc_lo, 0, v12
	v_and_b32_e32 v8, 16, v30
	s_wait_dscnt 0x0
	v_readfirstlane_b32 s13, v2
	v_and_b32_e32 v2, 16, v30
	s_cmp_eq_u32 s13, 0
	s_delay_alu instid0(VALU_DEP_1) | instskip(SKIP_1) | instid1(SALU_CYCLE_1)
	v_cmp_ne_u32_e64 s13, 0, v2
	s_cselect_b32 s40, -1, 0
	s_and_b32 s40, vcc_lo, s40
	s_delay_alu instid0(SALU_CYCLE_1) | instskip(NEXT) | instid1(SALU_CYCLE_1)
	s_and_b32 s40, s13, s40
	s_and_saveexec_b32 s13, s40
	s_cbranch_execz .LBB2_1243
; %bb.1242:                             ;   in Loop: Header=BB2_1195 Depth=3
	v_mov_b32_e32 v8, 1
	global_wb scope:SCOPE_SYS
	s_wait_loadcnt 0x0
	s_wait_storecnt 0x0
	global_inv scope:SCOPE_SYS
.LBB2_1243:                             ;   in Loop: Header=BB2_1195 Depth=3
	s_or_b32 exec_lo, exec_lo, s13
.LBB2_1244:                             ;   in Loop: Header=BB2_1195 Depth=3
	s_and_not1_saveexec_b32 s13, s27
	s_cbranch_execz .LBB2_1263
; %bb.1245:                             ;   in Loop: Header=BB2_1195 Depth=3
	s_and_saveexec_b32 s27, s3
	s_delay_alu instid0(SALU_CYCLE_1)
	s_xor_b32 s27, exec_lo, s27
	s_cbranch_execz .LBB2_1260
; %bb.1246:                             ;   in Loop: Header=BB2_1195 Depth=3
	s_and_saveexec_b32 s40, s6
	s_cbranch_execz .LBB2_1259
; %bb.1247:                             ;   in Loop: Header=BB2_1195 Depth=3
	s_mov_b32 s60, exec_lo
	s_mov_b32 s41, exec_lo
	v_mbcnt_lo_u32_b32 v2, s60, 0
	;;#ASMSTART
	s_waitcnt lgkmcnt(0) vmcnt(0)
	;;#ASMEND
	s_delay_alu instid0(VALU_DEP_1)
	v_cmpx_eq_u32_e32 0, v2
	s_cbranch_execz .LBB2_1249
; %bb.1248:                             ;   in Loop: Header=BB2_1195 Depth=3
	s_bcnt1_i32_b32 s60, s60
	s_delay_alu instid0(SALU_CYCLE_1)
	v_mov_b32_e32 v2, s60
	s_wait_storecnt 0x0
	s_wait_loadcnt_dscnt 0x0
	ds_add_u64 v0, v[2:3]
	s_trap 2
.LBB2_1249:                             ;   in Loop: Header=BB2_1195 Depth=3
	s_or_b32 exec_lo, exec_lo, s41
	s_trap 2
	ds_load_b64 v[10:11], v0
	s_wait_dscnt 0x0
	v_add_nc_u64_e32 v[32:33], v[32:33], v[36:37]
	s_mov_b32 s41, exec_lo
	s_delay_alu instid0(VALU_DEP_1)
	v_cmpx_lt_u64_e64 v[10:11], v[32:33]
	s_cbranch_execz .LBB2_1258
; %bb.1250:                             ;   in Loop: Header=BB2_1195 Depth=3
	s_mov_b32 s60, 0
	s_mov_b32 s63, 0
                                        ; implicit-def: $sgpr61
                                        ; implicit-def: $sgpr62
	s_branch .LBB2_1252
.LBB2_1251:                             ;   in Loop: Header=BB2_1252 Depth=4
	s_or_b32 exec_lo, exec_lo, s73
	s_delay_alu instid0(SALU_CYCLE_1) | instskip(NEXT) | instid1(SALU_CYCLE_1)
	s_and_b32 s72, exec_lo, s74
	s_or_b32 s60, s72, s60
	s_and_not1_b32 s61, s61, exec_lo
	s_and_b32 s72, s62, exec_lo
	s_delay_alu instid0(SALU_CYCLE_1)
	s_or_b32 s61, s61, s72
	s_and_not1_b32 exec_lo, exec_lo, s60
	s_cbranch_execz .LBB2_1256
.LBB2_1252:                             ;   Parent Loop BB2_47 Depth=1
                                        ;     Parent Loop BB2_1009 Depth=2
                                        ;       Parent Loop BB2_1195 Depth=3
                                        ; =>      This Inner Loop Header: Depth=4
	s_add_co_i32 s63, s63, 1
	s_delay_alu instid0(SALU_CYCLE_1) | instskip(SKIP_1) | instid1(SALU_CYCLE_1)
	s_cmp_lg_u32 s63, 0x2710
	s_cselect_b32 s72, -1, 0
	s_and_b32 vcc_lo, exec_lo, s72
	s_cbranch_vccz .LBB2_1254
; %bb.1253:                             ;   in Loop: Header=BB2_1252 Depth=4
	s_mov_b32 s74, -1
	s_or_b32 s62, s62, exec_lo
	s_and_saveexec_b32 s73, s72
	s_cbranch_execz .LBB2_1251
	s_branch .LBB2_1255
.LBB2_1254:                             ;   in Loop: Header=BB2_1252 Depth=4
	s_trap 2
	ds_load_b64 v[10:11], v0
	s_and_not1_b32 s72, s72, exec_lo
	s_mov_b32 s63, 0
	s_wait_storecnt 0x0
	s_wait_loadcnt_dscnt 0x0
	flat_load_b32 v2, v[10:11] scope:SCOPE_SYS
	s_wait_loadcnt_dscnt 0x0
	global_inv scope:SCOPE_SYS
	v_cmp_eq_u32_e32 vcc_lo, 0, v2
	s_and_b32 s73, vcc_lo, exec_lo
	s_delay_alu instid0(SALU_CYCLE_1)
	s_or_b32 s72, s72, s73
	s_mov_b32 s74, -1
	s_or_b32 s62, s62, exec_lo
	s_and_saveexec_b32 s73, s72
	s_cbranch_execz .LBB2_1251
.LBB2_1255:                             ;   in Loop: Header=BB2_1252 Depth=4
	s_sleep 1
	s_trap 2
	ds_load_b64 v[10:11], v0
	s_wait_dscnt 0x0
	s_and_not1_b32 s62, s62, exec_lo
	v_cmp_ge_u64_e32 vcc_lo, v[10:11], v[32:33]
	s_or_not1_b32 s74, vcc_lo, exec_lo
	s_branch .LBB2_1251
.LBB2_1256:                             ;   in Loop: Header=BB2_1195 Depth=3
	s_or_b32 exec_lo, exec_lo, s60
	s_and_saveexec_b32 s60, s61
	s_delay_alu instid0(SALU_CYCLE_1)
	s_xor_b32 s60, exec_lo, s60
	s_cbranch_execz .LBB2_1258
; %bb.1257:                             ;   in Loop: Header=BB2_1195 Depth=3
	ds_store_b32 v0, v61
	s_trap 2
.LBB2_1258:                             ;   in Loop: Header=BB2_1195 Depth=3
	s_or_b32 exec_lo, exec_lo, s41
	;;#ASMSTART
	s_wakeup
	;;#ASMEND
.LBB2_1259:                             ;   in Loop: Header=BB2_1195 Depth=3
	s_or_b32 exec_lo, exec_lo, s40
.LBB2_1260:                             ;   in Loop: Header=BB2_1195 Depth=3
	s_and_not1_saveexec_b32 s27, s27
	s_cbranch_execz .LBB2_1262
; %bb.1261:                             ;   in Loop: Header=BB2_1195 Depth=3
	;;#ASMSTART
	s_waitcnt lgkmcnt(0) vmcnt(0)
	;;#ASMEND
	s_barrier_signal -1
	s_barrier_wait -1
.LBB2_1262:                             ;   in Loop: Header=BB2_1195 Depth=3
	s_or_b32 exec_lo, exec_lo, s27
.LBB2_1263:                             ;   in Loop: Header=BB2_1195 Depth=3
	s_delay_alu instid0(SALU_CYCLE_1) | instskip(SKIP_2) | instid1(SALU_CYCLE_1)
	s_or_b32 exec_lo, exec_lo, s13
	v_cmp_ne_u32_e32 vcc_lo, 0, v8
	s_xor_b32 s13, s4, -1
	s_and_b32 s27, vcc_lo, s13
	s_delay_alu instid0(SALU_CYCLE_1)
	s_and_saveexec_b32 s13, s27
	s_cbranch_execz .LBB2_1265
; %bb.1264:                             ;   in Loop: Header=BB2_1195 Depth=3
	global_wb scope:SCOPE_SYS
	s_wait_storecnt 0x0
	s_wait_loadcnt_dscnt 0x0
	flat_store_b32 v[28:29], v61 scope:SCOPE_SYS
.LBB2_1265:                             ;   in Loop: Header=BB2_1195 Depth=3
	s_wait_xcnt 0x0
	s_or_b32 exec_lo, exec_lo, s13
	v_and_b32_e32 v2, 48, v30
	s_mov_b32 s13, exec_lo
	s_delay_alu instid0(VALU_DEP_1)
	v_cmpx_ne_u32_e32 0, v2
	s_cbranch_execz .LBB2_1194
; %bb.1266:                             ;   in Loop: Header=BB2_1195 Depth=3
	v_add_nc_u64_e32 v[98:99], 2, v[98:99]
	global_wb scope:SCOPE_SYS
	s_wait_storecnt 0x0
	s_wait_loadcnt_dscnt 0x0
	flat_store_b64 v[22:23], v[98:99] scope:SCOPE_SYS
	s_branch .LBB2_1194
.LBB2_1267:                             ;   in Loop: Header=BB2_1009 Depth=2
	s_or_b32 exec_lo, exec_lo, s15
.LBB2_1268:                             ;   in Loop: Header=BB2_1009 Depth=2
	s_delay_alu instid0(SALU_CYCLE_1)
	s_or_b32 exec_lo, exec_lo, s14
	s_add_co_i32 s13, s18, 1
	s_cmp_eq_u32 s18, s56
	s_cbranch_scc1 .LBB2_1270
; %bb.1269:                             ;   in Loop: Header=BB2_1009 Depth=2
	s_mov_b32 s18, s13
	s_branch .LBB2_1009
.LBB2_1270:                             ;   in Loop: Header=BB2_47 Depth=1
	v_mul_u64_e32 v[10:11], s[28:29], v[96:97]
	s_delay_alu instid0(VALU_DEP_1) | instskip(NEXT) | instid1(VALU_DEP_1)
	v_sub_nc_u64_e32 v[8:9], v[100:101], v[10:11]
	v_min_i64 v[8:9], v[96:97], v[8:9]
	s_delay_alu instid0(VALU_DEP_1) | instskip(SKIP_1) | instid1(VALU_DEP_2)
	v_max_i32_e32 v114, 0, v8
	v_cmp_lt_i32_e32 vcc_lo, 0, v8
	v_dual_mov_b32 v8, 0 :: v_dual_add_nc_u32 v2, 31, v114
	s_and_b32 s13, s57, vcc_lo
	s_delay_alu instid0(VALU_DEP_1) | instskip(NEXT) | instid1(VALU_DEP_1)
	v_lshrrev_b32_e32 v2, 1, v2
	v_and_b32_e32 v9, 0x3ffffff0, v2
	s_delay_alu instid0(VALU_DEP_1)
	v_dual_mov_b32 v2, 0 :: v_dual_max_i32 v115, s45, v9
	s_and_saveexec_b32 s14, s13
	s_cbranch_execz .LBB2_1410
; %bb.1271:                             ;   in Loop: Header=BB2_47 Depth=1
	v_add_nc_u64_e32 v[8:9], v[10:11], v[102:103]
	s_mov_b32 s27, 1
	s_mov_b32 s18, -1
	s_mov_b32 s15, 0
	s_delay_alu instid0(VALU_DEP_1)
	v_lshlrev_b64_e32 v[10:11], 1, v[8:9]
	v_mov_b32_e32 v8, 0
	s_branch .LBB2_1273
.LBB2_1272:                             ;   in Loop: Header=BB2_1273 Depth=2
	s_wait_xcnt 0x0
	s_or_b32 exec_lo, exec_lo, s13
	v_dual_add_nc_u32 v8, v115, v8 :: v_dual_mov_b32 v2, s27
	s_xor_b32 s13, s18, -1
	s_mov_b32 s18, 0
	s_mov_b32 s27, 2
	s_delay_alu instid0(VALU_DEP_1) | instskip(SKIP_1) | instid1(SALU_CYCLE_1)
	v_cmp_ge_i32_e32 vcc_lo, v8, v114
	s_or_b32 s13, s13, vcc_lo
	s_and_b32 s13, exec_lo, s13
	s_delay_alu instid0(SALU_CYCLE_1) | instskip(NEXT) | instid1(SALU_CYCLE_1)
	s_or_b32 s15, s13, s15
	s_and_not1_b32 exec_lo, exec_lo, s15
	s_cbranch_execz .LBB2_1409
.LBB2_1273:                             ;   Parent Loop BB2_47 Depth=1
                                        ; =>  This Loop Header: Depth=2
                                        ;       Child Loop BB2_1281 Depth 3
                                        ;       Child Loop BB2_1305 Depth 3
	;; [unrolled: 1-line block ×9, first 2 shown]
	s_and_saveexec_b32 s13, s0
	s_cbranch_execz .LBB2_1275
; %bb.1274:                             ;   in Loop: Header=BB2_1273 Depth=2
	s_trap 2
	ds_load_b128 v[12:15], v0
	s_wait_dscnt 0x0
	v_cmp_ne_u64_e32 vcc_lo, 0, v[14:15]
	v_ashrrev_i32_e32 v9, 31, v8
	v_add_nc_u64_e32 v[102:103], v[14:15], v[10:11]
	v_add_nc_u64_e32 v[12:13], v[12:13], v[10:11]
	s_delay_alu instid0(VALU_DEP_3) | instskip(NEXT) | instid1(VALU_DEP_1)
	v_lshlrev_b64_e32 v[100:101], 1, v[8:9]
	v_add_nc_u64_e32 v[102:103], v[102:103], v[100:101]
	s_delay_alu instid0(VALU_DEP_3) | instskip(NEXT) | instid1(VALU_DEP_2)
	v_add_nc_u64_e32 v[12:13], v[12:13], v[100:101]
	v_dual_cndmask_b32 v15, 0, v103 :: v_dual_cndmask_b32 v14, 0, v102
	ds_store_b64 v0, v[12:13]
	ds_store_b64 v0, v[14:15]
.LBB2_1275:                             ;   in Loop: Header=BB2_1273 Depth=2
	s_or_b32 exec_lo, exec_lo, s13
	v_and_b32_e32 v2, 4, v30
	s_mov_b32 s40, exec_lo
	s_delay_alu instid0(VALU_DEP_1)
	v_cmpx_ne_u32_e32 0, v2
	s_cbranch_execz .LBB2_1297
; %bb.1276:                             ;   in Loop: Header=BB2_1273 Depth=2
	v_add_nc_u64_e32 v[12:13], 2, v[98:99]
	s_mov_b32 s41, exec_lo
	s_wait_loadcnt_dscnt 0x1
	s_delay_alu instid0(VALU_DEP_1)
	v_cmpx_lt_u64_e64 v[34:35], v[12:13]
	s_cbranch_execz .LBB2_1288
; %bb.1277:                             ;   in Loop: Header=BB2_1273 Depth=2
	v_and_b32_e32 v2, 64, v30
	s_mov_b32 s60, 0
	s_mov_b32 s72, 0
                                        ; implicit-def: $sgpr61
                                        ; implicit-def: $sgpr62
                                        ; implicit-def: $sgpr63
	s_delay_alu instid0(VALU_DEP_1)
	v_cmp_eq_u32_e32 vcc_lo, 0, v2
	s_branch .LBB2_1281
.LBB2_1278:                             ;   in Loop: Header=BB2_1281 Depth=3
	s_wait_loadcnt_dscnt 0x0
	v_cmp_ge_u64_e64 s13, v[34:35], v[12:13]
	s_or_b32 s75, s75, exec_lo
	s_or_not1_b32 s74, s13, exec_lo
.LBB2_1279:                             ;   in Loop: Header=BB2_1281 Depth=3
	s_or_b32 exec_lo, exec_lo, s77
	s_delay_alu instid0(SALU_CYCLE_1)
	s_and_not1_b32 s13, s63, exec_lo
	s_and_b32 s63, s75, exec_lo
	s_and_not1_b32 s62, s62, exec_lo
	s_and_b32 s74, s74, exec_lo
	s_or_b32 s63, s13, s63
	s_or_b32 s62, s62, s74
.LBB2_1280:                             ;   in Loop: Header=BB2_1281 Depth=3
	s_or_b32 exec_lo, exec_lo, s73
	s_delay_alu instid0(SALU_CYCLE_1) | instskip(NEXT) | instid1(SALU_CYCLE_1)
	s_and_b32 s13, exec_lo, s62
	s_or_b32 s60, s13, s60
	s_and_not1_b32 s13, s61, exec_lo
	s_and_b32 s61, s63, exec_lo
	s_delay_alu instid0(SALU_CYCLE_1)
	s_or_b32 s61, s13, s61
	s_and_not1_b32 exec_lo, exec_lo, s60
	s_cbranch_execz .LBB2_1285
.LBB2_1281:                             ;   Parent Loop BB2_47 Depth=1
                                        ;     Parent Loop BB2_1273 Depth=2
                                        ; =>    This Inner Loop Header: Depth=3
	s_sleep 1
	s_wait_loadcnt_dscnt 0x0
	flat_load_b64 v[34:35], v[22:23] scope:SCOPE_SYS
	s_or_b32 s63, s63, exec_lo
	s_or_b32 s62, s62, exec_lo
                                        ; implicit-def: $vgpr2
	s_wait_xcnt 0x0
	s_and_saveexec_b32 s73, vcc_lo
	s_cbranch_execz .LBB2_1280
; %bb.1282:                             ;   in Loop: Header=BB2_1281 Depth=3
	s_cmp_lt_i32 s72, 0x270f
	s_mov_b32 s74, -1
	s_cselect_b32 s76, -1, 0
	s_cmp_gt_i32 s72, 0x270e
	s_cbranch_scc0 .LBB2_1284
; %bb.1283:                             ;   in Loop: Header=BB2_1281 Depth=3
	s_trap 2
	ds_load_b64 v[14:15], v0
	s_and_not1_b32 s72, s76, exec_lo
	s_mov_b32 s75, 0
	s_wait_storecnt 0x0
	s_wait_loadcnt_dscnt 0x0
	flat_load_b32 v2, v[14:15] scope:SCOPE_SYS
	s_wait_loadcnt_dscnt 0x0
	global_inv scope:SCOPE_SYS
	v_cmp_eq_u32_e64 s13, 0, v2
	s_and_b32 s13, s13, exec_lo
	s_delay_alu instid0(SALU_CYCLE_1)
	s_or_b32 s76, s72, s13
	s_mov_b32 s72, 0
	s_and_saveexec_b32 s77, s76
	s_cbranch_execz .LBB2_1279
	s_branch .LBB2_1278
.LBB2_1284:                             ;   in Loop: Header=BB2_1281 Depth=3
	s_add_co_i32 s72, s72, 1
	s_mov_b32 s75, -1
                                        ; implicit-def: $vgpr2
	s_and_saveexec_b32 s77, s76
	s_cbranch_execz .LBB2_1279
	s_branch .LBB2_1278
.LBB2_1285:                             ;   in Loop: Header=BB2_1273 Depth=2
	s_or_b32 exec_lo, exec_lo, s60
	s_xor_b32 s13, s61, -1
	s_delay_alu instid0(SALU_CYCLE_1) | instskip(NEXT) | instid1(SALU_CYCLE_1)
	s_and_saveexec_b32 s60, s13
	s_xor_b32 s13, exec_lo, s60
	s_cbranch_execz .LBB2_1287
; %bb.1286:                             ;   in Loop: Header=BB2_1273 Depth=2
	v_or_b32_e32 v30, 64, v30
	s_wait_storecnt 0x0
	s_wait_loadcnt_dscnt 0x0
	ds_store_b32 v0, v2
	s_trap 2
.LBB2_1287:                             ;   in Loop: Header=BB2_1273 Depth=2
	s_or_b32 exec_lo, exec_lo, s13
.LBB2_1288:                             ;   in Loop: Header=BB2_1273 Depth=2
	s_delay_alu instid0(SALU_CYCLE_1) | instskip(SKIP_3) | instid1(VALU_DEP_1)
	s_or_b32 exec_lo, exec_lo, s41
	v_and_b32_e32 v2, 0x100, v30
	s_mov_b32 s13, -1
	;;#ASMSTART
	s_wakeup
	;;#ASMEND
                                        ; implicit-def: $vgpr14_vgpr15
	v_cmp_ne_u32_e32 vcc_lo, 0, v2
	v_and_b32_e32 v2, 7, v98
	s_and_saveexec_b32 s41, vcc_lo
	s_cbranch_execz .LBB2_1292
; %bb.1289:                             ;   in Loop: Header=BB2_1273 Depth=2
	s_delay_alu instid0(VALU_DEP_1)
	v_mad_nc_u64_u32 v[98:99], v2, 24, v[6:7]
	s_mov_b32 s60, exec_lo
                                        ; implicit-def: $vgpr14_vgpr15
	flat_load_b32 v9, v[98:99]
	s_wait_loadcnt_dscnt 0x0
	v_cmp_ne_u32_e32 vcc_lo, 1, v9
	s_wait_xcnt 0x0
	v_cmpx_eq_u32_e32 1, v9
	s_cbranch_execz .LBB2_1291
; %bb.1290:                             ;   in Loop: Header=BB2_1273 Depth=2
	flat_load_b32 v14, v[98:99] offset:4 scope:SCOPE_SYS
	s_wait_loadcnt_dscnt 0x0
	v_ashrrev_i32_e32 v15, 31, v14
	s_delay_alu instid0(VALU_DEP_1)
	v_lshrrev_b64 v[14:15], 1, v[14:15]
.LBB2_1291:                             ;   in Loop: Header=BB2_1273 Depth=2
	s_wait_xcnt 0x0
	s_or_b32 exec_lo, exec_lo, s60
	s_delay_alu instid0(SALU_CYCLE_1)
	s_or_not1_b32 s13, vcc_lo, exec_lo
.LBB2_1292:                             ;   in Loop: Header=BB2_1273 Depth=2
	s_or_b32 exec_lo, exec_lo, s41
	s_and_saveexec_b32 s41, s13
; %bb.1293:                             ;   in Loop: Header=BB2_1273 Depth=2
	v_mul_u64_e32 v[14:15], v[2:3], v[24:25]
; %bb.1294:                             ;   in Loop: Header=BB2_1273 Depth=2
	s_or_b32 exec_lo, exec_lo, s41
	v_and_b32_e32 v2, 0x2000, v30
	s_delay_alu instid0(VALU_DEP_2)
	v_lshl_add_u64 v[14:15], v[14:15], 1, v[26:27]
	s_mov_b32 s13, exec_lo
	ds_store_b64 v0, v[14:15] offset:720
	v_cmpx_ne_u32_e32 0, v2
	s_cbranch_execz .LBB2_1296
; %bb.1295:                             ;   in Loop: Header=BB2_1273 Depth=2
	ds_load_b64 v[14:15], v0 offset:872
	s_wait_dscnt 0x0
	v_add_nc_u64_e32 v[14:15], 1, v[14:15]
	ds_store_b64 v0, v[14:15] offset:872
.LBB2_1296:                             ;   in Loop: Header=BB2_1273 Depth=2
	s_or_b32 exec_lo, exec_lo, s13
	v_mov_b64_e32 v[98:99], v[12:13]
.LBB2_1297:                             ;   in Loop: Header=BB2_1273 Depth=2
	s_or_b32 exec_lo, exec_lo, s40
	s_and_saveexec_b32 s13, s2
	s_cbranch_execz .LBB2_1316
; %bb.1298:                             ;   in Loop: Header=BB2_1273 Depth=2
	s_and_saveexec_b32 s40, s3
	s_delay_alu instid0(SALU_CYCLE_1)
	s_xor_b32 s40, exec_lo, s40
	s_cbranch_execz .LBB2_1313
; %bb.1299:                             ;   in Loop: Header=BB2_1273 Depth=2
	s_and_saveexec_b32 s41, s6
	s_cbranch_execz .LBB2_1312
; %bb.1300:                             ;   in Loop: Header=BB2_1273 Depth=2
	s_mov_b32 s61, exec_lo
	s_mov_b32 s60, exec_lo
	v_mbcnt_lo_u32_b32 v2, s61, 0
	global_wb scope:SCOPE_DEV
	s_wait_storecnt 0x0
	s_wait_loadcnt_dscnt 0x0
	global_inv scope:SCOPE_DEV
	v_cmpx_eq_u32_e32 0, v2
	s_cbranch_execz .LBB2_1302
; %bb.1301:                             ;   in Loop: Header=BB2_1273 Depth=2
	s_bcnt1_i32_b32 s61, s61
	s_delay_alu instid0(SALU_CYCLE_1)
	v_mov_b32_e32 v2, s61
	s_wait_loadcnt 0x0
	ds_add_u64 v0, v[2:3]
	s_trap 2
.LBB2_1302:                             ;   in Loop: Header=BB2_1273 Depth=2
	s_or_b32 exec_lo, exec_lo, s60
	s_trap 2
	ds_load_b64 v[12:13], v0
	s_wait_dscnt 0x0
	v_add_nc_u64_e32 v[32:33], v[32:33], v[36:37]
	s_mov_b32 s60, exec_lo
	s_delay_alu instid0(VALU_DEP_1)
	v_cmpx_lt_u64_e64 v[12:13], v[32:33]
	s_cbranch_execz .LBB2_1311
; %bb.1303:                             ;   in Loop: Header=BB2_1273 Depth=2
	s_mov_b32 s61, 0
	s_mov_b32 s72, 0
                                        ; implicit-def: $sgpr62
                                        ; implicit-def: $sgpr63
	s_branch .LBB2_1305
.LBB2_1304:                             ;   in Loop: Header=BB2_1305 Depth=3
	s_or_b32 exec_lo, exec_lo, s74
	s_delay_alu instid0(SALU_CYCLE_1) | instskip(NEXT) | instid1(SALU_CYCLE_1)
	s_and_b32 s73, exec_lo, s75
	s_or_b32 s61, s73, s61
	s_and_not1_b32 s62, s62, exec_lo
	s_and_b32 s73, s63, exec_lo
	s_delay_alu instid0(SALU_CYCLE_1)
	s_or_b32 s62, s62, s73
	s_and_not1_b32 exec_lo, exec_lo, s61
	s_cbranch_execz .LBB2_1309
.LBB2_1305:                             ;   Parent Loop BB2_47 Depth=1
                                        ;     Parent Loop BB2_1273 Depth=2
                                        ; =>    This Inner Loop Header: Depth=3
	s_add_co_i32 s72, s72, 1
	s_delay_alu instid0(SALU_CYCLE_1) | instskip(SKIP_1) | instid1(SALU_CYCLE_1)
	s_cmp_lg_u32 s72, 0x2710
	s_cselect_b32 s73, -1, 0
	s_and_b32 vcc_lo, exec_lo, s73
	s_cbranch_vccz .LBB2_1307
; %bb.1306:                             ;   in Loop: Header=BB2_1305 Depth=3
	s_mov_b32 s75, -1
	s_or_b32 s63, s63, exec_lo
	s_and_saveexec_b32 s74, s73
	s_cbranch_execz .LBB2_1304
	s_branch .LBB2_1308
.LBB2_1307:                             ;   in Loop: Header=BB2_1305 Depth=3
	s_trap 2
	ds_load_b64 v[12:13], v0
	s_and_not1_b32 s73, s73, exec_lo
	s_mov_b32 s72, 0
	s_wait_loadcnt_dscnt 0x0
	flat_load_b32 v2, v[12:13] scope:SCOPE_SYS
	s_wait_loadcnt_dscnt 0x0
	global_inv scope:SCOPE_SYS
	v_cmp_eq_u32_e32 vcc_lo, 0, v2
	s_and_b32 s74, vcc_lo, exec_lo
	s_delay_alu instid0(SALU_CYCLE_1)
	s_or_b32 s73, s73, s74
	s_mov_b32 s75, -1
	s_or_b32 s63, s63, exec_lo
	s_and_saveexec_b32 s74, s73
	s_cbranch_execz .LBB2_1304
.LBB2_1308:                             ;   in Loop: Header=BB2_1305 Depth=3
	s_sleep 1
	s_trap 2
	ds_load_b64 v[12:13], v0
	s_wait_dscnt 0x0
	s_and_not1_b32 s63, s63, exec_lo
	v_cmp_ge_u64_e32 vcc_lo, v[12:13], v[32:33]
	s_or_not1_b32 s75, vcc_lo, exec_lo
	s_branch .LBB2_1304
.LBB2_1309:                             ;   in Loop: Header=BB2_1273 Depth=2
	s_or_b32 exec_lo, exec_lo, s61
	s_and_saveexec_b32 s61, s62
	s_delay_alu instid0(SALU_CYCLE_1)
	s_xor_b32 s61, exec_lo, s61
	s_cbranch_execz .LBB2_1311
; %bb.1310:                             ;   in Loop: Header=BB2_1273 Depth=2
	ds_store_b32 v0, v61
	s_trap 2
.LBB2_1311:                             ;   in Loop: Header=BB2_1273 Depth=2
	s_or_b32 exec_lo, exec_lo, s60
	;;#ASMSTART
	s_wakeup
	;;#ASMEND
.LBB2_1312:                             ;   in Loop: Header=BB2_1273 Depth=2
	s_or_b32 exec_lo, exec_lo, s41
.LBB2_1313:                             ;   in Loop: Header=BB2_1273 Depth=2
	s_and_not1_saveexec_b32 s40, s40
	s_cbranch_execz .LBB2_1315
; %bb.1314:                             ;   in Loop: Header=BB2_1273 Depth=2
	global_wb scope:SCOPE_DEV
	s_wait_storecnt 0x0
	s_wait_loadcnt_dscnt 0x0
	global_inv scope:SCOPE_DEV
	s_barrier_signal -1
	s_barrier_wait -1
.LBB2_1315:                             ;   in Loop: Header=BB2_1273 Depth=2
	s_or_b32 exec_lo, exec_lo, s40
.LBB2_1316:                             ;   in Loop: Header=BB2_1273 Depth=2
	s_delay_alu instid0(SALU_CYCLE_1) | instskip(SKIP_4) | instid1(VALU_DEP_1)
	s_or_b32 exec_lo, exec_lo, s13
	s_trap 2
	ds_load_b32 v9, v0
	v_and_b32_e32 v2, 0x4000, v30
	s_xor_b32 s13, s1, -1
	v_cmp_ne_u32_e32 vcc_lo, 0, v2
	s_and_b32 s40, s13, vcc_lo
	s_delay_alu instid0(SALU_CYCLE_1)
	s_and_saveexec_b32 s13, s40
	s_cbranch_execz .LBB2_1335
; %bb.1317:                             ;   in Loop: Header=BB2_1273 Depth=2
	s_and_saveexec_b32 s40, s3
	s_delay_alu instid0(SALU_CYCLE_1)
	s_xor_b32 s40, exec_lo, s40
	s_cbranch_execz .LBB2_1332
; %bb.1318:                             ;   in Loop: Header=BB2_1273 Depth=2
	s_and_saveexec_b32 s41, s6
	s_cbranch_execz .LBB2_1331
; %bb.1319:                             ;   in Loop: Header=BB2_1273 Depth=2
	s_mov_b32 s61, exec_lo
	s_mov_b32 s60, exec_lo
	v_mbcnt_lo_u32_b32 v2, s61, 0
	global_wb scope:SCOPE_DEV
	s_wait_storecnt 0x0
	s_wait_loadcnt_dscnt 0x0
	global_inv scope:SCOPE_DEV
	v_cmpx_eq_u32_e32 0, v2
	s_cbranch_execz .LBB2_1321
; %bb.1320:                             ;   in Loop: Header=BB2_1273 Depth=2
	s_bcnt1_i32_b32 s61, s61
	s_delay_alu instid0(SALU_CYCLE_1)
	v_mov_b32_e32 v2, s61
	s_wait_loadcnt 0x0
	ds_add_u64 v0, v[2:3]
	s_trap 2
.LBB2_1321:                             ;   in Loop: Header=BB2_1273 Depth=2
	s_or_b32 exec_lo, exec_lo, s60
	s_trap 2
	ds_load_b64 v[12:13], v0
	s_wait_dscnt 0x0
	v_add_nc_u64_e32 v[32:33], v[32:33], v[36:37]
	s_mov_b32 s60, exec_lo
	s_delay_alu instid0(VALU_DEP_1)
	v_cmpx_lt_u64_e64 v[12:13], v[32:33]
	s_cbranch_execz .LBB2_1330
; %bb.1322:                             ;   in Loop: Header=BB2_1273 Depth=2
	s_mov_b32 s61, 0
	s_mov_b32 s72, 0
                                        ; implicit-def: $sgpr62
                                        ; implicit-def: $sgpr63
	s_branch .LBB2_1324
.LBB2_1323:                             ;   in Loop: Header=BB2_1324 Depth=3
	s_or_b32 exec_lo, exec_lo, s74
	s_delay_alu instid0(SALU_CYCLE_1) | instskip(NEXT) | instid1(SALU_CYCLE_1)
	s_and_b32 s73, exec_lo, s75
	s_or_b32 s61, s73, s61
	s_and_not1_b32 s62, s62, exec_lo
	s_and_b32 s73, s63, exec_lo
	s_delay_alu instid0(SALU_CYCLE_1)
	s_or_b32 s62, s62, s73
	s_and_not1_b32 exec_lo, exec_lo, s61
	s_cbranch_execz .LBB2_1328
.LBB2_1324:                             ;   Parent Loop BB2_47 Depth=1
                                        ;     Parent Loop BB2_1273 Depth=2
                                        ; =>    This Inner Loop Header: Depth=3
	s_add_co_i32 s72, s72, 1
	s_delay_alu instid0(SALU_CYCLE_1) | instskip(SKIP_1) | instid1(SALU_CYCLE_1)
	s_cmp_lg_u32 s72, 0x2710
	s_cselect_b32 s73, -1, 0
	s_and_b32 vcc_lo, exec_lo, s73
	s_cbranch_vccz .LBB2_1326
; %bb.1325:                             ;   in Loop: Header=BB2_1324 Depth=3
	s_mov_b32 s75, -1
	s_or_b32 s63, s63, exec_lo
	s_and_saveexec_b32 s74, s73
	s_cbranch_execz .LBB2_1323
	s_branch .LBB2_1327
.LBB2_1326:                             ;   in Loop: Header=BB2_1324 Depth=3
	s_trap 2
	ds_load_b64 v[12:13], v0
	s_and_not1_b32 s73, s73, exec_lo
	s_mov_b32 s72, 0
	s_wait_loadcnt_dscnt 0x0
	flat_load_b32 v2, v[12:13] scope:SCOPE_SYS
	s_wait_loadcnt_dscnt 0x0
	global_inv scope:SCOPE_SYS
	v_cmp_eq_u32_e32 vcc_lo, 0, v2
	s_and_b32 s74, vcc_lo, exec_lo
	s_delay_alu instid0(SALU_CYCLE_1)
	s_or_b32 s73, s73, s74
	s_mov_b32 s75, -1
	s_or_b32 s63, s63, exec_lo
	s_and_saveexec_b32 s74, s73
	s_cbranch_execz .LBB2_1323
.LBB2_1327:                             ;   in Loop: Header=BB2_1324 Depth=3
	s_sleep 1
	s_trap 2
	ds_load_b64 v[12:13], v0
	s_wait_dscnt 0x0
	s_and_not1_b32 s63, s63, exec_lo
	v_cmp_ge_u64_e32 vcc_lo, v[12:13], v[32:33]
	s_or_not1_b32 s75, vcc_lo, exec_lo
	s_branch .LBB2_1323
.LBB2_1328:                             ;   in Loop: Header=BB2_1273 Depth=2
	s_or_b32 exec_lo, exec_lo, s61
	s_and_saveexec_b32 s61, s62
	s_delay_alu instid0(SALU_CYCLE_1)
	s_xor_b32 s61, exec_lo, s61
	s_cbranch_execz .LBB2_1330
; %bb.1329:                             ;   in Loop: Header=BB2_1273 Depth=2
	ds_store_b32 v0, v61
	s_trap 2
.LBB2_1330:                             ;   in Loop: Header=BB2_1273 Depth=2
	s_or_b32 exec_lo, exec_lo, s60
	;;#ASMSTART
	s_wakeup
	;;#ASMEND
.LBB2_1331:                             ;   in Loop: Header=BB2_1273 Depth=2
	s_or_b32 exec_lo, exec_lo, s41
.LBB2_1332:                             ;   in Loop: Header=BB2_1273 Depth=2
	s_and_not1_saveexec_b32 s40, s40
	s_cbranch_execz .LBB2_1334
; %bb.1333:                             ;   in Loop: Header=BB2_1273 Depth=2
	global_wb scope:SCOPE_DEV
	s_wait_storecnt 0x0
	s_wait_loadcnt_dscnt 0x0
	global_inv scope:SCOPE_DEV
	s_barrier_signal -1
	s_barrier_wait -1
.LBB2_1334:                             ;   in Loop: Header=BB2_1273 Depth=2
	s_or_b32 exec_lo, exec_lo, s40
.LBB2_1335:                             ;   in Loop: Header=BB2_1273 Depth=2
	s_delay_alu instid0(SALU_CYCLE_1) | instskip(SKIP_3) | instid1(VALU_DEP_1)
	s_or_b32 exec_lo, exec_lo, s13
	s_trap 2
	ds_load_b64 v[12:13], v0
	v_sub_nc_u32_e32 v2, v114, v8
	v_min_i32_e32 v115, v115, v2
	s_wait_dscnt 0x0
	v_cmp_eq_u64_e32 vcc_lo, 0, v[12:13]
	s_cbranch_vccnz .LBB2_1343
; %bb.1336:                             ;   in Loop: Header=BB2_1273 Depth=2
	s_trap 2
	ds_load_b64 v[14:15], v0
	s_wait_dscnt 0x0
	v_cmp_eq_u64_e32 vcc_lo, 0, v[14:15]
	s_cbranch_vccnz .LBB2_1343
; %bb.1337:                             ;   in Loop: Header=BB2_1273 Depth=2
	s_mov_b32 s13, -1
	s_and_saveexec_b32 s40, s11
	s_cbranch_execz .LBB2_1339
; %bb.1338:                             ;   in Loop: Header=BB2_1273 Depth=2
	ds_load_b32 v2, v0 offset:720
	s_wait_dscnt 0x0
	v_and_b32_e32 v2, 15, v2
	s_delay_alu instid0(VALU_DEP_1)
	v_cmp_eq_u32_e32 vcc_lo, 0, v2
	s_or_not1_b32 s13, vcc_lo, exec_lo
.LBB2_1339:                             ;   in Loop: Header=BB2_1273 Depth=2
	s_or_b32 exec_lo, exec_lo, s40
	s_and_saveexec_b32 s40, s10
	s_cbranch_execz .LBB2_1341
; %bb.1340:                             ;   in Loop: Header=BB2_1273 Depth=2
	ds_load_b32 v2, v0 offset:784
	s_wait_dscnt 0x0
	v_and_b32_e32 v2, 15, v2
	s_delay_alu instid0(VALU_DEP_1) | instskip(SKIP_3) | instid1(SALU_CYCLE_1)
	v_cmp_eq_u32_e32 vcc_lo, 0, v2
	s_and_b32 s41, s13, vcc_lo
	s_and_not1_b32 s13, s13, exec_lo
	s_and_b32 s41, s41, exec_lo
	s_or_b32 s13, s13, s41
.LBB2_1341:                             ;   in Loop: Header=BB2_1273 Depth=2
	s_or_b32 exec_lo, exec_lo, s40
	v_cmp_eq_u32_e32 vcc_lo, 0, v9
	s_xor_b32 s13, s13, -1
	s_mov_b32 s41, -1
	v_cndmask_b32_e64 v100, 0, 1, s13
	v_dual_mov_b32 v116, 0 :: v_dual_cndmask_b32 v2, 0, v115, vcc_lo
	s_delay_alu instid0(VALU_DEP_2) | instskip(NEXT) | instid1(VALU_DEP_2)
	v_cmp_ne_u32_e32 vcc_lo, 0, v100
	v_lshlrev_b32_e32 v9, 1, v2
	s_cbranch_vccz .LBB2_1348
; %bb.1342:                             ;   in Loop: Header=BB2_1273 Depth=2
	v_dual_mov_b32 v117, v0 :: v_dual_mov_b32 v100, v72
	s_and_saveexec_b32 s13, s41
	s_cbranch_execnz .LBB2_1361
	s_branch .LBB2_1369
.LBB2_1343:                             ;   in Loop: Header=BB2_1273 Depth=2
	s_mov_b32 s13, 0
	s_and_saveexec_b32 s40, s2
	s_cbranch_execnz .LBB2_1370
.LBB2_1344:                             ;   in Loop: Header=BB2_1273 Depth=2
	s_or_b32 exec_lo, exec_lo, s40
	s_and_saveexec_b32 s40, s7
	s_delay_alu instid0(SALU_CYCLE_1)
	s_xor_b32 s40, exec_lo, s40
	s_cbranch_execz .LBB2_1388
.LBB2_1345:                             ;   in Loop: Header=BB2_1273 Depth=2
	v_and_b32_e32 v2, 16, v30
	s_delay_alu instid0(VALU_DEP_1) | instskip(SKIP_1) | instid1(SALU_CYCLE_1)
	v_cmp_ne_u32_e32 vcc_lo, 0, v2
	s_and_b32 s41, vcc_lo, s13
	s_and_saveexec_b32 s13, s41
	s_cbranch_execz .LBB2_1347
; %bb.1346:                             ;   in Loop: Header=BB2_1273 Depth=2
	global_wb scope:SCOPE_SYS
	s_wait_storecnt 0x0
	s_wait_loadcnt_dscnt 0x0
	global_inv scope:SCOPE_SYS
.LBB2_1347:                             ;   in Loop: Header=BB2_1273 Depth=2
	s_or_b32 exec_lo, exec_lo, s13
	s_and_not1_saveexec_b32 s13, s40
	s_cbranch_execz .LBB2_1407
	s_branch .LBB2_1389
.LBB2_1348:                             ;   in Loop: Header=BB2_1273 Depth=2
	s_delay_alu instid0(VALU_DEP_1) | instskip(SKIP_1) | instid1(VALU_DEP_1)
	v_ashrrev_i32_e32 v100, 31, v9
	s_mov_b32 s13, exec_lo
	v_lshrrev_b32_e32 v100, 22, v100
	s_delay_alu instid0(VALU_DEP_1) | instskip(NEXT) | instid1(VALU_DEP_1)
	v_add_nc_u32_e32 v100, v9, v100
	v_ashrrev_i32_e32 v102, 10, v100
	s_delay_alu instid0(VALU_DEP_1) | instskip(NEXT) | instid1(VALU_DEP_1)
	v_sub_nc_u32_e32 v103, v102, v72
	v_cmpx_lt_i32_e32 0, v103
	s_cbranch_execz .LBB2_1352
; %bb.1349:                             ;   in Loop: Header=BB2_1273 Depth=2
	v_mov_b64_e32 v[100:101], v[86:87]
	s_mov_b32 s40, 0
.LBB2_1350:                             ;   Parent Loop BB2_47 Depth=1
                                        ;     Parent Loop BB2_1273 Depth=2
                                        ; =>    This Inner Loop Header: Depth=3
	s_delay_alu instid0(VALU_DEP_1)
	v_add_nc_u64_e32 v[112:113], v[12:13], v[100:101]
	v_sub_nc_u32_e32 v103, v103, v36
	s_clause 0x1
	global_load_b128 v[116:119], v[112:113], off th:TH_LOAD_NT
	global_load_b128 v[40:43], v[112:113], off offset:512 th:TH_LOAD_NT
	s_wait_xcnt 0x0
	v_add_nc_u64_e32 v[112:113], v[14:15], v[100:101]
	v_cmp_gt_i32_e32 vcc_lo, 1, v103
	v_add_nc_u64_e32 v[100:101], v[100:101], v[54:55]
	s_wait_loadcnt 0x1
	global_store_b128 v[112:113], v[116:119], off th:TH_STORE_NT
	s_wait_loadcnt 0x0
	global_store_b128 v[112:113], v[40:43], off offset:512 th:TH_STORE_NT
	s_or_b32 s40, vcc_lo, s40
	s_wait_xcnt 0x0
	s_and_not1_b32 exec_lo, exec_lo, s40
	s_cbranch_execnz .LBB2_1350
; %bb.1351:                             ;   in Loop: Header=BB2_1273 Depth=2
	s_or_b32 exec_lo, exec_lo, s40
.LBB2_1352:                             ;   in Loop: Header=BB2_1273 Depth=2
	s_delay_alu instid0(SALU_CYCLE_1) | instskip(SKIP_3) | instid1(VALU_DEP_1)
	s_or_b32 exec_lo, exec_lo, s13
	v_dual_lshlrev_b32 v102, 10, v102 :: v_dual_mov_b32 v116, 0
	s_mov_b32 s41, 0
	s_mov_b32 s40, exec_lo
                                        ; implicit-def: $vgpr117
                                        ; implicit-def: $vgpr100
	v_cmpx_ne_u32_e64 v9, v102
	s_cbranch_execz .LBB2_1360
; %bb.1353:                             ;   in Loop: Header=BB2_1273 Depth=2
	v_dual_lshlrev_b32 v100, 5, v103 :: v_dual_sub_nc_u32 v116, v9, v102
	s_mov_b32 s41, exec_lo
	s_delay_alu instid0(VALU_DEP_1) | instskip(NEXT) | instid1(VALU_DEP_2)
	v_sub_nc_u32_e32 v100, v73, v100
	v_ashrrev_i32_e32 v103, 31, v116
	s_delay_alu instid0(VALU_DEP_1) | instskip(NEXT) | instid1(VALU_DEP_1)
	v_dual_ashrrev_i32 v101, 31, v100 :: v_dual_lshrrev_b32 v103, 23, v103
	v_lshrrev_b32_e32 v101, 27, v101
	s_delay_alu instid0(VALU_DEP_1) | instskip(NEXT) | instid1(VALU_DEP_3)
	v_add_nc_u32_e32 v101, v100, v101
	v_add_nc_u32_e32 v117, v116, v103
	s_delay_alu instid0(VALU_DEP_2) | instskip(SKIP_1) | instid1(VALU_DEP_3)
	v_and_b32_e32 v112, 0xffffffe0, v101
	v_ashrrev_i32_e32 v101, 5, v101
	v_and_b32_e32 v103, 0xfffffe00, v117
	s_delay_alu instid0(VALU_DEP_3) | instskip(NEXT) | instid1(VALU_DEP_1)
	v_dual_ashrrev_i32 v117, 9, v117 :: v_dual_sub_nc_u32 v112, v100, v112
	v_dual_sub_nc_u32 v113, v116, v103 :: v_dual_lshlrev_b32 v100, 4, v112
	s_delay_alu instid0(VALU_DEP_1) | instskip(NEXT) | instid1(VALU_DEP_2)
	v_cmp_lt_i32_e32 vcc_lo, 15, v113
	v_lshl_add_u32 v100, v101, 9, v100
	s_delay_alu instid0(VALU_DEP_4) | instskip(NEXT) | instid1(VALU_DEP_1)
	v_add_co_ci_u32_e64 v117, null, 0, v117, vcc_lo
	v_dual_sub_nc_u32 v116, v116, v100 :: v_dual_sub_nc_u32 v118, v117, v101
	s_delay_alu instid0(VALU_DEP_1)
	v_cmpx_lt_i32_e32 15, v116
	s_cbranch_execz .LBB2_1357
; %bb.1354:                             ;   in Loop: Header=BB2_1273 Depth=2
	v_add_nc_u32_e32 v100, v100, v102
	s_mov_b32 s60, 0
	s_delay_alu instid0(VALU_DEP_1)
	v_ashrrev_i32_e32 v101, 31, v100
.LBB2_1355:                             ;   Parent Loop BB2_47 Depth=1
                                        ;     Parent Loop BB2_1273 Depth=2
                                        ; =>    This Inner Loop Header: Depth=3
	s_delay_alu instid0(VALU_DEP_1) | instskip(SKIP_4) | instid1(VALU_DEP_4)
	v_add_nc_u64_e32 v[40:41], v[12:13], v[100:101]
	v_sub_nc_u32_e32 v116, v116, v64
	v_add_nc_u64_e32 v[44:45], v[14:15], v[100:101]
	v_add_nc_u64_e32 v[100:101], v[100:101], v[64:65]
	v_sub_nc_u32_e32 v118, v118, v36
	v_cmp_gt_i32_e64 s13, 16, v116
	global_load_b128 v[40:43], v[40:41], off th:TH_LOAD_NT
	s_or_b32 s60, s13, s60
	s_wait_loadcnt 0x0
	global_store_b128 v[44:45], v[40:43], off th:TH_STORE_NT
	s_wait_xcnt 0x0
	s_and_not1_b32 exec_lo, exec_lo, s60
	s_cbranch_execnz .LBB2_1355
; %bb.1356:                             ;   in Loop: Header=BB2_1273 Depth=2
	s_or_b32 exec_lo, exec_lo, s60
.LBB2_1357:                             ;   in Loop: Header=BB2_1273 Depth=2
	s_delay_alu instid0(SALU_CYCLE_1) | instskip(SKIP_3) | instid1(VALU_DEP_1)
	s_or_b32 exec_lo, exec_lo, s41
	v_dual_mov_b32 v116, 0 :: v_dual_bitop2_b32 v101, 14, v9 bitop3:0x40
	s_mov_b32 s41, 0
	s_mov_b32 s60, exec_lo
                                        ; implicit-def: $vgpr117
                                        ; implicit-def: $vgpr100
	v_cndmask_b32_e32 v9, v113, v101, vcc_lo
	s_delay_alu instid0(VALU_DEP_1)
	v_cmpx_ne_u32_e32 0, v9
	s_cbranch_execz .LBB2_1359
; %bb.1358:                             ;   in Loop: Header=BB2_1273 Depth=2
	v_cmp_lt_i32_e64 s13, 0, v118
	s_mov_b32 s41, exec_lo
	v_dual_sub_nc_u32 v101, v113, v101 :: v_dual_cndmask_b32 v100, 0, v36, s13
	s_delay_alu instid0(VALU_DEP_1) | instskip(NEXT) | instid1(VALU_DEP_1)
	v_dual_cndmask_b32 v101, 0, v101 :: v_dual_sub_nc_u32 v100, v100, v118
	v_add3_u32 v116, v103, v102, v101
	s_delay_alu instid0(VALU_DEP_2) | instskip(NEXT) | instid1(VALU_DEP_1)
	v_lshl_add_u32 v117, v100, 5, v112
	v_ashrrev_i32_e32 v100, 31, v117
	s_delay_alu instid0(VALU_DEP_1) | instskip(NEXT) | instid1(VALU_DEP_1)
	v_lshrrev_b32_e32 v100, 27, v100
	v_add_nc_u32_e32 v100, v117, v100
	s_delay_alu instid0(VALU_DEP_1)
	v_ashrrev_i32_e32 v100, 5, v100
.LBB2_1359:                             ;   in Loop: Header=BB2_1273 Depth=2
	s_or_b32 exec_lo, exec_lo, s60
	s_delay_alu instid0(SALU_CYCLE_1)
	s_and_b32 s41, s41, exec_lo
.LBB2_1360:                             ;   in Loop: Header=BB2_1273 Depth=2
	s_or_b32 exec_lo, exec_lo, s40
	s_and_saveexec_b32 s13, s41
	s_cbranch_execz .LBB2_1369
.LBB2_1361:                             ;   in Loop: Header=BB2_1273 Depth=2
	v_ashrrev_i32_e32 v101, 31, v9
	s_mov_b32 s40, exec_lo
	s_delay_alu instid0(VALU_DEP_1) | instskip(NEXT) | instid1(VALU_DEP_1)
	v_lshrrev_b32_e32 v101, 24, v101
	v_add_nc_u32_e32 v101, v9, v101
	s_delay_alu instid0(VALU_DEP_1) | instskip(SKIP_1) | instid1(VALU_DEP_1)
	v_ashrrev_i32_e32 v40, 8, v101
	v_ashrrev_i32_e32 v101, 31, v117
	v_dual_lshrrev_b32 v119, 27, v101 :: v_dual_sub_nc_u32 v118, v40, v100
	s_delay_alu instid0(VALU_DEP_1)
	v_cmpx_lt_i32_e32 0, v118
	s_cbranch_execz .LBB2_1365
; %bb.1362:                             ;   in Loop: Header=BB2_1273 Depth=2
	s_delay_alu instid0(VALU_DEP_2) | instskip(SKIP_3) | instid1(VALU_DEP_3)
	v_dual_add_nc_u32 v101, v117, v119 :: v_dual_lshlrev_b32 v100, 8, v100
	v_mov_b64_e32 v[102:103], v[14:15]
	v_mov_b64_e32 v[112:113], v[12:13]
	s_mov_b32 s41, 0
	v_and_b32_e32 v101, 0x7fffffe0, v101
	s_delay_alu instid0(VALU_DEP_1) | instskip(NEXT) | instid1(VALU_DEP_1)
	v_sub_nc_u32_e32 v101, v117, v101
	v_lshlrev_b32_e32 v101, 1, v101
	s_delay_alu instid0(VALU_DEP_1) | instskip(NEXT) | instid1(VALU_DEP_1)
	v_add3_u32 v100, v101, v116, v100
	v_ashrrev_i32_e32 v101, 31, v100
.LBB2_1363:                             ;   Parent Loop BB2_47 Depth=1
                                        ;     Parent Loop BB2_1273 Depth=2
                                        ; =>    This Inner Loop Header: Depth=3
	s_delay_alu instid0(VALU_DEP_1)
	v_add_nc_u64_e32 v[42:43], v[100:101], v[112:113]
	v_sub_nc_u32_e32 v118, v118, v36
	v_add_nc_u64_e32 v[112:113], v[112:113], v[66:67]
	s_clause 0x3
	flat_load_u16 v41, v[42:43] th:TH_LOAD_NT
	flat_load_u16 v44, v[42:43] offset:64 th:TH_LOAD_NT
	flat_load_u16 v45, v[42:43] offset:128 th:TH_LOAD_NT
	;; [unrolled: 1-line block ×3, first 2 shown]
	s_wait_xcnt 0x0
	v_add_nc_u64_e32 v[42:43], v[100:101], v[102:103]
	v_cmp_gt_i32_e32 vcc_lo, 1, v118
	v_add_nc_u64_e32 v[102:103], v[102:103], v[66:67]
	s_wait_loadcnt_dscnt 0x303
	flat_store_b16 v[42:43], v41 th:TH_STORE_NT
	s_wait_loadcnt_dscnt 0x203
	flat_store_b16 v[42:43], v44 offset:64 th:TH_STORE_NT
	s_wait_loadcnt_dscnt 0x103
	flat_store_b16 v[42:43], v45 offset:128 th:TH_STORE_NT
	;; [unrolled: 2-line block ×3, first 2 shown]
	s_or_b32 s41, vcc_lo, s41
	s_wait_xcnt 0x0
	s_and_not1_b32 exec_lo, exec_lo, s41
	s_cbranch_execnz .LBB2_1363
; %bb.1364:                             ;   in Loop: Header=BB2_1273 Depth=2
	s_or_b32 exec_lo, exec_lo, s41
.LBB2_1365:                             ;   in Loop: Header=BB2_1273 Depth=2
	s_delay_alu instid0(SALU_CYCLE_1) | instskip(SKIP_1) | instid1(VALU_DEP_1)
	s_or_b32 exec_lo, exec_lo, s40
	v_lshlrev_b32_e32 v100, 8, v40
	v_cmp_ne_u32_e32 vcc_lo, v9, v100
	s_and_b32 exec_lo, exec_lo, vcc_lo
	s_cbranch_execz .LBB2_1369
; %bb.1366:                             ;   in Loop: Header=BB2_1273 Depth=2
	v_dual_add_nc_u32 v101, v117, v119 :: v_dual_lshlrev_b32 v102, 5, v118
	s_delay_alu instid0(VALU_DEP_1) | instskip(NEXT) | instid1(VALU_DEP_1)
	v_and_b32_e32 v101, 0xffffffe0, v101
	v_sub_nc_u32_e32 v101, v117, v101
	s_delay_alu instid0(VALU_DEP_1) | instskip(NEXT) | instid1(VALU_DEP_1)
	v_sub_nc_u32_e32 v101, v101, v102
	v_ashrrev_i32_e32 v102, 31, v101
	s_delay_alu instid0(VALU_DEP_1) | instskip(NEXT) | instid1(VALU_DEP_1)
	v_lshrrev_b32_e32 v102, 27, v102
	v_add_nc_u32_e32 v102, v101, v102
	s_delay_alu instid0(VALU_DEP_1) | instskip(NEXT) | instid1(VALU_DEP_1)
	v_and_b32_e32 v103, 0x7fffffe0, v102
	v_dual_lshlrev_b32 v102, 1, v102 :: v_dual_sub_nc_u32 v101, v101, v103
	s_delay_alu instid0(VALU_DEP_1) | instskip(NEXT) | instid1(VALU_DEP_2)
	v_and_b32_e32 v102, 0xffffffc0, v102
	v_lshlrev_b32_e32 v101, 1, v101
	s_delay_alu instid0(VALU_DEP_1) | instskip(NEXT) | instid1(VALU_DEP_1)
	v_add3_u32 v100, v102, v101, v100
	v_sub_nc_u32_e32 v9, v9, v100
	s_delay_alu instid0(VALU_DEP_1)
	v_cmp_lt_i32_e32 vcc_lo, 1, v9
	s_and_b32 exec_lo, exec_lo, vcc_lo
	s_cbranch_execz .LBB2_1369
; %bb.1367:                             ;   in Loop: Header=BB2_1273 Depth=2
	v_add_nc_u32_e32 v100, v100, v116
	s_mov_b32 s40, 0
	s_delay_alu instid0(VALU_DEP_1)
	v_ashrrev_i32_e32 v101, 31, v100
.LBB2_1368:                             ;   Parent Loop BB2_47 Depth=1
                                        ;     Parent Loop BB2_1273 Depth=2
                                        ; =>    This Inner Loop Header: Depth=3
	s_delay_alu instid0(VALU_DEP_1) | instskip(SKIP_1) | instid1(VALU_DEP_1)
	v_add_nc_u64_e32 v[102:103], v[12:13], v[100:101]
	v_sub_nc_u32_e32 v9, v9, v68
	v_cmp_gt_i32_e32 vcc_lo, 2, v9
	flat_load_u16 v112, v[102:103] th:TH_LOAD_NT
	s_wait_xcnt 0x0
	v_add_nc_u64_e32 v[102:103], v[14:15], v[100:101]
	v_add_nc_u64_e32 v[100:101], v[100:101], v[68:69]
	s_or_b32 s40, vcc_lo, s40
	s_wait_loadcnt_dscnt 0x0
	flat_store_b16 v[102:103], v112 th:TH_STORE_NT
	s_wait_xcnt 0x0
	s_and_not1_b32 exec_lo, exec_lo, s40
	s_cbranch_execnz .LBB2_1368
.LBB2_1369:                             ;   in Loop: Header=BB2_1273 Depth=2
	s_or_b32 exec_lo, exec_lo, s13
	v_cmp_lt_i32_e64 s13, 0, v2
	s_and_saveexec_b32 s40, s2
	s_cbranch_execz .LBB2_1344
.LBB2_1370:                             ;   in Loop: Header=BB2_1273 Depth=2
	s_and_saveexec_b32 s41, s3
	s_delay_alu instid0(SALU_CYCLE_1)
	s_xor_b32 s41, exec_lo, s41
	s_cbranch_execz .LBB2_1385
; %bb.1371:                             ;   in Loop: Header=BB2_1273 Depth=2
	s_and_saveexec_b32 s60, s6
	s_cbranch_execz .LBB2_1384
; %bb.1372:                             ;   in Loop: Header=BB2_1273 Depth=2
	s_mov_b32 s62, exec_lo
	s_mov_b32 s61, exec_lo
	v_mbcnt_lo_u32_b32 v2, s62, 0
	global_wb scope:SCOPE_DEV
	s_wait_storecnt 0x0
	s_wait_loadcnt_dscnt 0x0
	global_inv scope:SCOPE_DEV
	v_cmpx_eq_u32_e32 0, v2
	s_cbranch_execz .LBB2_1374
; %bb.1373:                             ;   in Loop: Header=BB2_1273 Depth=2
	s_bcnt1_i32_b32 s62, s62
	s_delay_alu instid0(SALU_CYCLE_1)
	v_mov_b32_e32 v2, s62
	s_wait_loadcnt 0x0
	ds_add_u64 v0, v[2:3]
	s_trap 2
.LBB2_1374:                             ;   in Loop: Header=BB2_1273 Depth=2
	s_or_b32 exec_lo, exec_lo, s61
	s_trap 2
	ds_load_b64 v[12:13], v0
	s_wait_dscnt 0x0
	v_add_nc_u64_e32 v[32:33], v[32:33], v[36:37]
	s_mov_b32 s61, exec_lo
	s_delay_alu instid0(VALU_DEP_1)
	v_cmpx_lt_u64_e64 v[12:13], v[32:33]
	s_cbranch_execz .LBB2_1383
; %bb.1375:                             ;   in Loop: Header=BB2_1273 Depth=2
	s_mov_b32 s62, 0
	s_mov_b32 s73, 0
                                        ; implicit-def: $sgpr63
                                        ; implicit-def: $sgpr72
	s_branch .LBB2_1377
.LBB2_1376:                             ;   in Loop: Header=BB2_1377 Depth=3
	s_or_b32 exec_lo, exec_lo, s75
	s_delay_alu instid0(SALU_CYCLE_1) | instskip(NEXT) | instid1(SALU_CYCLE_1)
	s_and_b32 s74, exec_lo, s76
	s_or_b32 s62, s74, s62
	s_and_not1_b32 s63, s63, exec_lo
	s_and_b32 s74, s72, exec_lo
	s_delay_alu instid0(SALU_CYCLE_1)
	s_or_b32 s63, s63, s74
	s_and_not1_b32 exec_lo, exec_lo, s62
	s_cbranch_execz .LBB2_1381
.LBB2_1377:                             ;   Parent Loop BB2_47 Depth=1
                                        ;     Parent Loop BB2_1273 Depth=2
                                        ; =>    This Inner Loop Header: Depth=3
	s_add_co_i32 s73, s73, 1
	s_delay_alu instid0(SALU_CYCLE_1) | instskip(SKIP_1) | instid1(SALU_CYCLE_1)
	s_cmp_lg_u32 s73, 0x2710
	s_cselect_b32 s74, -1, 0
	s_and_b32 vcc_lo, exec_lo, s74
	s_cbranch_vccz .LBB2_1379
; %bb.1378:                             ;   in Loop: Header=BB2_1377 Depth=3
	s_mov_b32 s76, -1
	s_or_b32 s72, s72, exec_lo
	s_and_saveexec_b32 s75, s74
	s_cbranch_execz .LBB2_1376
	s_branch .LBB2_1380
.LBB2_1379:                             ;   in Loop: Header=BB2_1377 Depth=3
	s_trap 2
	ds_load_b64 v[12:13], v0
	s_and_not1_b32 s74, s74, exec_lo
	s_mov_b32 s73, 0
	s_wait_loadcnt_dscnt 0x0
	flat_load_b32 v2, v[12:13] scope:SCOPE_SYS
	s_wait_loadcnt_dscnt 0x0
	global_inv scope:SCOPE_SYS
	v_cmp_eq_u32_e32 vcc_lo, 0, v2
	s_and_b32 s75, vcc_lo, exec_lo
	s_delay_alu instid0(SALU_CYCLE_1)
	s_or_b32 s74, s74, s75
	s_mov_b32 s76, -1
	s_or_b32 s72, s72, exec_lo
	s_and_saveexec_b32 s75, s74
	s_cbranch_execz .LBB2_1376
.LBB2_1380:                             ;   in Loop: Header=BB2_1377 Depth=3
	s_sleep 1
	s_trap 2
	ds_load_b64 v[12:13], v0
	s_wait_dscnt 0x0
	s_and_not1_b32 s72, s72, exec_lo
	v_cmp_ge_u64_e32 vcc_lo, v[12:13], v[32:33]
	s_or_not1_b32 s76, vcc_lo, exec_lo
	s_branch .LBB2_1376
.LBB2_1381:                             ;   in Loop: Header=BB2_1273 Depth=2
	s_or_b32 exec_lo, exec_lo, s62
	s_and_saveexec_b32 s62, s63
	s_delay_alu instid0(SALU_CYCLE_1)
	s_xor_b32 s62, exec_lo, s62
	s_cbranch_execz .LBB2_1383
; %bb.1382:                             ;   in Loop: Header=BB2_1273 Depth=2
	ds_store_b32 v0, v61
	s_trap 2
.LBB2_1383:                             ;   in Loop: Header=BB2_1273 Depth=2
	s_or_b32 exec_lo, exec_lo, s61
	;;#ASMSTART
	s_wakeup
	;;#ASMEND
.LBB2_1384:                             ;   in Loop: Header=BB2_1273 Depth=2
	s_or_b32 exec_lo, exec_lo, s60
.LBB2_1385:                             ;   in Loop: Header=BB2_1273 Depth=2
	s_and_not1_saveexec_b32 s41, s41
	s_cbranch_execz .LBB2_1387
; %bb.1386:                             ;   in Loop: Header=BB2_1273 Depth=2
	global_wb scope:SCOPE_DEV
	s_wait_storecnt 0x0
	s_wait_loadcnt_dscnt 0x0
	global_inv scope:SCOPE_DEV
	s_barrier_signal -1
	s_barrier_wait -1
.LBB2_1387:                             ;   in Loop: Header=BB2_1273 Depth=2
	s_or_b32 exec_lo, exec_lo, s41
	s_delay_alu instid0(SALU_CYCLE_1) | instskip(SKIP_1) | instid1(SALU_CYCLE_1)
	s_or_b32 exec_lo, exec_lo, s40
	s_and_saveexec_b32 s40, s7
	s_xor_b32 s40, exec_lo, s40
	s_cbranch_execnz .LBB2_1345
.LBB2_1388:                             ;   in Loop: Header=BB2_1273 Depth=2
	s_and_not1_saveexec_b32 s13, s40
	s_cbranch_execz .LBB2_1407
.LBB2_1389:                             ;   in Loop: Header=BB2_1273 Depth=2
	s_and_saveexec_b32 s40, s3
	s_delay_alu instid0(SALU_CYCLE_1)
	s_xor_b32 s40, exec_lo, s40
	s_cbranch_execz .LBB2_1404
; %bb.1390:                             ;   in Loop: Header=BB2_1273 Depth=2
	s_and_saveexec_b32 s41, s6
	s_cbranch_execz .LBB2_1403
; %bb.1391:                             ;   in Loop: Header=BB2_1273 Depth=2
	s_mov_b32 s61, exec_lo
	s_mov_b32 s60, exec_lo
	v_mbcnt_lo_u32_b32 v2, s61, 0
	;;#ASMSTART
	s_waitcnt lgkmcnt(0) vmcnt(0)
	;;#ASMEND
	s_delay_alu instid0(VALU_DEP_1)
	v_cmpx_eq_u32_e32 0, v2
	s_cbranch_execz .LBB2_1393
; %bb.1392:                             ;   in Loop: Header=BB2_1273 Depth=2
	s_bcnt1_i32_b32 s61, s61
	s_delay_alu instid0(SALU_CYCLE_1)
	v_mov_b32_e32 v2, s61
	s_wait_storecnt 0x0
	s_wait_loadcnt_dscnt 0x0
	ds_add_u64 v0, v[2:3]
	s_trap 2
.LBB2_1393:                             ;   in Loop: Header=BB2_1273 Depth=2
	s_or_b32 exec_lo, exec_lo, s60
	s_trap 2
	ds_load_b64 v[12:13], v0
	s_wait_dscnt 0x0
	v_add_nc_u64_e32 v[32:33], v[32:33], v[36:37]
	s_mov_b32 s60, exec_lo
	s_delay_alu instid0(VALU_DEP_1)
	v_cmpx_lt_u64_e64 v[12:13], v[32:33]
	s_cbranch_execz .LBB2_1402
; %bb.1394:                             ;   in Loop: Header=BB2_1273 Depth=2
	s_mov_b32 s61, 0
	s_mov_b32 s72, 0
                                        ; implicit-def: $sgpr62
                                        ; implicit-def: $sgpr63
	s_branch .LBB2_1396
.LBB2_1395:                             ;   in Loop: Header=BB2_1396 Depth=3
	s_or_b32 exec_lo, exec_lo, s74
	s_delay_alu instid0(SALU_CYCLE_1) | instskip(NEXT) | instid1(SALU_CYCLE_1)
	s_and_b32 s73, exec_lo, s75
	s_or_b32 s61, s73, s61
	s_and_not1_b32 s62, s62, exec_lo
	s_and_b32 s73, s63, exec_lo
	s_delay_alu instid0(SALU_CYCLE_1)
	s_or_b32 s62, s62, s73
	s_and_not1_b32 exec_lo, exec_lo, s61
	s_cbranch_execz .LBB2_1400
.LBB2_1396:                             ;   Parent Loop BB2_47 Depth=1
                                        ;     Parent Loop BB2_1273 Depth=2
                                        ; =>    This Inner Loop Header: Depth=3
	s_add_co_i32 s72, s72, 1
	s_delay_alu instid0(SALU_CYCLE_1) | instskip(SKIP_1) | instid1(SALU_CYCLE_1)
	s_cmp_lg_u32 s72, 0x2710
	s_cselect_b32 s73, -1, 0
	s_and_b32 vcc_lo, exec_lo, s73
	s_cbranch_vccz .LBB2_1398
; %bb.1397:                             ;   in Loop: Header=BB2_1396 Depth=3
	s_mov_b32 s75, -1
	s_or_b32 s63, s63, exec_lo
	s_and_saveexec_b32 s74, s73
	s_cbranch_execz .LBB2_1395
	s_branch .LBB2_1399
.LBB2_1398:                             ;   in Loop: Header=BB2_1396 Depth=3
	s_trap 2
	ds_load_b64 v[12:13], v0
	s_and_not1_b32 s73, s73, exec_lo
	s_mov_b32 s72, 0
	s_wait_storecnt 0x0
	s_wait_loadcnt_dscnt 0x0
	flat_load_b32 v2, v[12:13] scope:SCOPE_SYS
	s_wait_loadcnt_dscnt 0x0
	global_inv scope:SCOPE_SYS
	v_cmp_eq_u32_e32 vcc_lo, 0, v2
	s_and_b32 s74, vcc_lo, exec_lo
	s_delay_alu instid0(SALU_CYCLE_1)
	s_or_b32 s73, s73, s74
	s_mov_b32 s75, -1
	s_or_b32 s63, s63, exec_lo
	s_and_saveexec_b32 s74, s73
	s_cbranch_execz .LBB2_1395
.LBB2_1399:                             ;   in Loop: Header=BB2_1396 Depth=3
	s_sleep 1
	s_trap 2
	ds_load_b64 v[12:13], v0
	s_wait_dscnt 0x0
	s_and_not1_b32 s63, s63, exec_lo
	v_cmp_ge_u64_e32 vcc_lo, v[12:13], v[32:33]
	s_or_not1_b32 s75, vcc_lo, exec_lo
	s_branch .LBB2_1395
.LBB2_1400:                             ;   in Loop: Header=BB2_1273 Depth=2
	s_or_b32 exec_lo, exec_lo, s61
	s_and_saveexec_b32 s61, s62
	s_delay_alu instid0(SALU_CYCLE_1)
	s_xor_b32 s61, exec_lo, s61
	s_cbranch_execz .LBB2_1402
; %bb.1401:                             ;   in Loop: Header=BB2_1273 Depth=2
	ds_store_b32 v0, v61
	s_trap 2
.LBB2_1402:                             ;   in Loop: Header=BB2_1273 Depth=2
	s_or_b32 exec_lo, exec_lo, s60
	;;#ASMSTART
	s_wakeup
	;;#ASMEND
.LBB2_1403:                             ;   in Loop: Header=BB2_1273 Depth=2
	s_or_b32 exec_lo, exec_lo, s41
.LBB2_1404:                             ;   in Loop: Header=BB2_1273 Depth=2
	s_and_not1_saveexec_b32 s40, s40
	s_cbranch_execz .LBB2_1406
; %bb.1405:                             ;   in Loop: Header=BB2_1273 Depth=2
	;;#ASMSTART
	s_waitcnt lgkmcnt(0) vmcnt(0)
	;;#ASMEND
	s_barrier_signal -1
	s_barrier_wait -1
.LBB2_1406:                             ;   in Loop: Header=BB2_1273 Depth=2
	s_or_b32 exec_lo, exec_lo, s40
.LBB2_1407:                             ;   in Loop: Header=BB2_1273 Depth=2
	s_delay_alu instid0(SALU_CYCLE_1) | instskip(SKIP_2) | instid1(VALU_DEP_1)
	s_or_b32 exec_lo, exec_lo, s13
	v_and_b32_e32 v2, 32, v30
	s_mov_b32 s13, exec_lo
	v_cmpx_ne_u32_e32 0, v2
	s_cbranch_execz .LBB2_1272
; %bb.1408:                             ;   in Loop: Header=BB2_1273 Depth=2
	v_add_nc_u64_e32 v[98:99], 2, v[98:99]
	global_wb scope:SCOPE_SYS
	s_wait_storecnt 0x0
	s_wait_loadcnt_dscnt 0x0
	flat_store_b64 v[22:23], v[98:99] scope:SCOPE_SYS
	s_branch .LBB2_1272
.LBB2_1409:                             ;   in Loop: Header=BB2_47 Depth=1
	s_or_b32 exec_lo, exec_lo, s15
.LBB2_1410:                             ;   in Loop: Header=BB2_47 Depth=1
	s_delay_alu instid0(SALU_CYCLE_1) | instskip(NEXT) | instid1(SALU_CYCLE_1)
	s_or_b32 exec_lo, exec_lo, s14
	s_mov_b32 s14, exec_lo
	v_cmpx_gt_i32_e32 2, v2
	s_cbranch_execz .LBB2_46
; %bb.1411:                             ;   in Loop: Header=BB2_47 Depth=1
	v_cmp_eq_u32_e64 s18, 0, v2
	s_mov_b32 s15, 0
	s_branch .LBB2_1413
.LBB2_1412:                             ;   in Loop: Header=BB2_1413 Depth=2
	s_wait_xcnt 0x0
	s_or_b32 exec_lo, exec_lo, s13
	v_add_nc_u32_e32 v8, v115, v8
	s_mov_b32 s18, 0
	s_and_not1_b32 exec_lo, exec_lo, s15
	s_cbranch_execz .LBB2_45
.LBB2_1413:                             ;   Parent Loop BB2_47 Depth=1
                                        ; =>  This Loop Header: Depth=2
                                        ;       Child Loop BB2_1419 Depth 3
                                        ;       Child Loop BB2_1443 Depth 3
	;; [unrolled: 1-line block ×3, first 2 shown]
	v_and_b32_e32 v2, 4, v30
	s_mov_b32 s27, exec_lo
	s_delay_alu instid0(VALU_DEP_1)
	v_cmpx_ne_u32_e32 0, v2
	s_cbranch_execz .LBB2_1435
; %bb.1414:                             ;   in Loop: Header=BB2_1413 Depth=2
	v_add_nc_u64_e32 v[10:11], 2, v[98:99]
	s_mov_b32 s40, exec_lo
	s_wait_loadcnt_dscnt 0x1
	s_delay_alu instid0(VALU_DEP_1)
	v_cmpx_lt_u64_e64 v[34:35], v[10:11]
	s_cbranch_execz .LBB2_1426
; %bb.1415:                             ;   in Loop: Header=BB2_1413 Depth=2
	v_and_b32_e32 v2, 64, v30
	s_mov_b32 s41, 0
	s_mov_b32 s63, 0
                                        ; implicit-def: $sgpr60
                                        ; implicit-def: $sgpr61
                                        ; implicit-def: $sgpr62
	s_delay_alu instid0(VALU_DEP_1)
	v_cmp_eq_u32_e32 vcc_lo, 0, v2
	s_branch .LBB2_1419
.LBB2_1416:                             ;   in Loop: Header=BB2_1419 Depth=3
	s_wait_loadcnt_dscnt 0x0
	v_cmp_ge_u64_e64 s13, v[34:35], v[10:11]
	s_or_b32 s74, s74, exec_lo
	s_or_not1_b32 s73, s13, exec_lo
.LBB2_1417:                             ;   in Loop: Header=BB2_1419 Depth=3
	s_or_b32 exec_lo, exec_lo, s76
	s_delay_alu instid0(SALU_CYCLE_1)
	s_and_not1_b32 s13, s62, exec_lo
	s_and_b32 s62, s74, exec_lo
	s_and_not1_b32 s61, s61, exec_lo
	s_and_b32 s73, s73, exec_lo
	s_or_b32 s62, s13, s62
	s_or_b32 s61, s61, s73
.LBB2_1418:                             ;   in Loop: Header=BB2_1419 Depth=3
	s_or_b32 exec_lo, exec_lo, s72
	s_delay_alu instid0(SALU_CYCLE_1) | instskip(NEXT) | instid1(SALU_CYCLE_1)
	s_and_b32 s13, exec_lo, s61
	s_or_b32 s41, s13, s41
	s_and_not1_b32 s13, s60, exec_lo
	s_and_b32 s60, s62, exec_lo
	s_delay_alu instid0(SALU_CYCLE_1)
	s_or_b32 s60, s13, s60
	s_and_not1_b32 exec_lo, exec_lo, s41
	s_cbranch_execz .LBB2_1423
.LBB2_1419:                             ;   Parent Loop BB2_47 Depth=1
                                        ;     Parent Loop BB2_1413 Depth=2
                                        ; =>    This Inner Loop Header: Depth=3
	s_sleep 1
	s_wait_loadcnt_dscnt 0x0
	flat_load_b64 v[34:35], v[22:23] scope:SCOPE_SYS
	s_or_b32 s62, s62, exec_lo
	s_or_b32 s61, s61, exec_lo
                                        ; implicit-def: $vgpr2
	s_wait_xcnt 0x0
	s_and_saveexec_b32 s72, vcc_lo
	s_cbranch_execz .LBB2_1418
; %bb.1420:                             ;   in Loop: Header=BB2_1419 Depth=3
	s_cmp_lt_i32 s63, 0x270f
	s_mov_b32 s73, -1
	s_cselect_b32 s75, -1, 0
	s_cmp_gt_i32 s63, 0x270e
	s_cbranch_scc0 .LBB2_1422
; %bb.1421:                             ;   in Loop: Header=BB2_1419 Depth=3
	s_trap 2
	ds_load_b64 v[12:13], v0
	s_and_not1_b32 s63, s75, exec_lo
	s_mov_b32 s74, 0
	s_wait_storecnt 0x0
	s_wait_loadcnt_dscnt 0x0
	flat_load_b32 v2, v[12:13] scope:SCOPE_SYS
	s_wait_loadcnt_dscnt 0x0
	global_inv scope:SCOPE_SYS
	v_cmp_eq_u32_e64 s13, 0, v2
	s_and_b32 s13, s13, exec_lo
	s_delay_alu instid0(SALU_CYCLE_1)
	s_or_b32 s75, s63, s13
	s_mov_b32 s63, 0
	s_and_saveexec_b32 s76, s75
	s_cbranch_execz .LBB2_1417
	s_branch .LBB2_1416
.LBB2_1422:                             ;   in Loop: Header=BB2_1419 Depth=3
	s_add_co_i32 s63, s63, 1
	s_mov_b32 s74, -1
                                        ; implicit-def: $vgpr2
	s_and_saveexec_b32 s76, s75
	s_cbranch_execz .LBB2_1417
	s_branch .LBB2_1416
.LBB2_1423:                             ;   in Loop: Header=BB2_1413 Depth=2
	s_or_b32 exec_lo, exec_lo, s41
	s_xor_b32 s13, s60, -1
	s_delay_alu instid0(SALU_CYCLE_1) | instskip(NEXT) | instid1(SALU_CYCLE_1)
	s_and_saveexec_b32 s41, s13
	s_xor_b32 s13, exec_lo, s41
	s_cbranch_execz .LBB2_1425
; %bb.1424:                             ;   in Loop: Header=BB2_1413 Depth=2
	v_or_b32_e32 v30, 64, v30
	s_wait_storecnt 0x0
	s_wait_loadcnt_dscnt 0x0
	ds_store_b32 v0, v2
	s_trap 2
.LBB2_1425:                             ;   in Loop: Header=BB2_1413 Depth=2
	s_or_b32 exec_lo, exec_lo, s13
.LBB2_1426:                             ;   in Loop: Header=BB2_1413 Depth=2
	s_delay_alu instid0(SALU_CYCLE_1) | instskip(SKIP_3) | instid1(VALU_DEP_1)
	s_or_b32 exec_lo, exec_lo, s40
	v_and_b32_e32 v2, 0x100, v30
	s_mov_b32 s13, -1
	;;#ASMSTART
	s_wakeup
	;;#ASMEND
                                        ; implicit-def: $vgpr12_vgpr13
	v_cmp_ne_u32_e32 vcc_lo, 0, v2
	v_and_b32_e32 v2, 7, v98
	s_and_saveexec_b32 s40, vcc_lo
	s_cbranch_execz .LBB2_1430
; %bb.1427:                             ;   in Loop: Header=BB2_1413 Depth=2
	s_delay_alu instid0(VALU_DEP_1)
	v_mad_nc_u64_u32 v[14:15], v2, 24, v[6:7]
	s_mov_b32 s41, exec_lo
                                        ; implicit-def: $vgpr12_vgpr13
	flat_load_b32 v9, v[14:15]
	s_wait_loadcnt_dscnt 0x0
	v_cmp_ne_u32_e32 vcc_lo, 1, v9
	s_wait_xcnt 0x0
	v_cmpx_eq_u32_e32 1, v9
	s_cbranch_execz .LBB2_1429
; %bb.1428:                             ;   in Loop: Header=BB2_1413 Depth=2
	flat_load_b32 v12, v[14:15] offset:4 scope:SCOPE_SYS
	s_wait_loadcnt_dscnt 0x0
	v_ashrrev_i32_e32 v13, 31, v12
	s_delay_alu instid0(VALU_DEP_1)
	v_lshrrev_b64 v[12:13], 1, v[12:13]
.LBB2_1429:                             ;   in Loop: Header=BB2_1413 Depth=2
	s_wait_xcnt 0x0
	s_or_b32 exec_lo, exec_lo, s41
	s_delay_alu instid0(SALU_CYCLE_1)
	s_or_not1_b32 s13, vcc_lo, exec_lo
.LBB2_1430:                             ;   in Loop: Header=BB2_1413 Depth=2
	s_or_b32 exec_lo, exec_lo, s40
	s_and_saveexec_b32 s40, s13
; %bb.1431:                             ;   in Loop: Header=BB2_1413 Depth=2
	v_mul_u64_e32 v[12:13], v[2:3], v[24:25]
; %bb.1432:                             ;   in Loop: Header=BB2_1413 Depth=2
	s_or_b32 exec_lo, exec_lo, s40
	v_and_b32_e32 v2, 0x2000, v30
	s_delay_alu instid0(VALU_DEP_2)
	v_lshl_add_u64 v[12:13], v[12:13], 1, v[26:27]
	s_mov_b32 s13, exec_lo
	ds_store_b64 v0, v[12:13] offset:720
	v_cmpx_ne_u32_e32 0, v2
	s_cbranch_execz .LBB2_1434
; %bb.1433:                             ;   in Loop: Header=BB2_1413 Depth=2
	ds_load_b64 v[12:13], v0 offset:872
	s_wait_dscnt 0x0
	v_add_nc_u64_e32 v[12:13], 1, v[12:13]
	ds_store_b64 v0, v[12:13] offset:872
.LBB2_1434:                             ;   in Loop: Header=BB2_1413 Depth=2
	s_or_b32 exec_lo, exec_lo, s13
	v_mov_b64_e32 v[98:99], v[10:11]
.LBB2_1435:                             ;   in Loop: Header=BB2_1413 Depth=2
	s_or_b32 exec_lo, exec_lo, s27
	s_xor_b32 s13, s18, -1
	s_delay_alu instid0(SALU_CYCLE_1) | instskip(NEXT) | instid1(SALU_CYCLE_1)
	s_and_b32 s13, exec_lo, s13
	s_or_b32 s15, s13, s15
	s_and_saveexec_b32 s13, s2
	s_cbranch_execz .LBB2_1454
; %bb.1436:                             ;   in Loop: Header=BB2_1413 Depth=2
	s_and_saveexec_b32 s18, s3
	s_delay_alu instid0(SALU_CYCLE_1)
	s_xor_b32 s18, exec_lo, s18
	s_cbranch_execz .LBB2_1451
; %bb.1437:                             ;   in Loop: Header=BB2_1413 Depth=2
	s_and_saveexec_b32 s27, s6
	s_cbranch_execz .LBB2_1450
; %bb.1438:                             ;   in Loop: Header=BB2_1413 Depth=2
	s_mov_b32 s41, exec_lo
	s_mov_b32 s40, exec_lo
	v_mbcnt_lo_u32_b32 v2, s41, 0
	global_wb scope:SCOPE_DEV
	s_wait_storecnt 0x0
	s_wait_loadcnt_dscnt 0x0
	global_inv scope:SCOPE_DEV
	v_cmpx_eq_u32_e32 0, v2
	s_cbranch_execz .LBB2_1440
; %bb.1439:                             ;   in Loop: Header=BB2_1413 Depth=2
	s_bcnt1_i32_b32 s41, s41
	s_delay_alu instid0(SALU_CYCLE_1)
	v_mov_b32_e32 v2, s41
	s_wait_loadcnt 0x0
	ds_add_u64 v0, v[2:3]
	s_trap 2
.LBB2_1440:                             ;   in Loop: Header=BB2_1413 Depth=2
	s_or_b32 exec_lo, exec_lo, s40
	s_trap 2
	ds_load_b64 v[10:11], v0
	s_wait_dscnt 0x0
	v_add_nc_u64_e32 v[32:33], v[32:33], v[36:37]
	s_mov_b32 s40, exec_lo
	s_delay_alu instid0(VALU_DEP_1)
	v_cmpx_lt_u64_e64 v[10:11], v[32:33]
	s_cbranch_execz .LBB2_1449
; %bb.1441:                             ;   in Loop: Header=BB2_1413 Depth=2
	s_mov_b32 s41, 0
	s_mov_b32 s62, 0
                                        ; implicit-def: $sgpr60
                                        ; implicit-def: $sgpr61
	s_branch .LBB2_1443
.LBB2_1442:                             ;   in Loop: Header=BB2_1443 Depth=3
	s_or_b32 exec_lo, exec_lo, s72
	s_delay_alu instid0(SALU_CYCLE_1) | instskip(NEXT) | instid1(SALU_CYCLE_1)
	s_and_b32 s63, exec_lo, s73
	s_or_b32 s41, s63, s41
	s_and_not1_b32 s60, s60, exec_lo
	s_and_b32 s63, s61, exec_lo
	s_delay_alu instid0(SALU_CYCLE_1)
	s_or_b32 s60, s60, s63
	s_and_not1_b32 exec_lo, exec_lo, s41
	s_cbranch_execz .LBB2_1447
.LBB2_1443:                             ;   Parent Loop BB2_47 Depth=1
                                        ;     Parent Loop BB2_1413 Depth=2
                                        ; =>    This Inner Loop Header: Depth=3
	s_add_co_i32 s62, s62, 1
	s_delay_alu instid0(SALU_CYCLE_1) | instskip(SKIP_1) | instid1(SALU_CYCLE_1)
	s_cmp_lg_u32 s62, 0x2710
	s_cselect_b32 s63, -1, 0
	s_and_b32 vcc_lo, exec_lo, s63
	s_cbranch_vccz .LBB2_1445
; %bb.1444:                             ;   in Loop: Header=BB2_1443 Depth=3
	s_mov_b32 s73, -1
	s_or_b32 s61, s61, exec_lo
	s_and_saveexec_b32 s72, s63
	s_cbranch_execz .LBB2_1442
	s_branch .LBB2_1446
.LBB2_1445:                             ;   in Loop: Header=BB2_1443 Depth=3
	s_trap 2
	ds_load_b64 v[10:11], v0
	s_and_not1_b32 s63, s63, exec_lo
	s_mov_b32 s62, 0
	s_wait_loadcnt_dscnt 0x0
	flat_load_b32 v2, v[10:11] scope:SCOPE_SYS
	s_wait_loadcnt_dscnt 0x0
	global_inv scope:SCOPE_SYS
	v_cmp_eq_u32_e32 vcc_lo, 0, v2
	s_and_b32 s72, vcc_lo, exec_lo
	s_delay_alu instid0(SALU_CYCLE_1)
	s_or_b32 s63, s63, s72
	s_mov_b32 s73, -1
	s_or_b32 s61, s61, exec_lo
	s_and_saveexec_b32 s72, s63
	s_cbranch_execz .LBB2_1442
.LBB2_1446:                             ;   in Loop: Header=BB2_1443 Depth=3
	s_sleep 1
	s_trap 2
	ds_load_b64 v[10:11], v0
	s_wait_dscnt 0x0
	s_and_not1_b32 s61, s61, exec_lo
	v_cmp_ge_u64_e32 vcc_lo, v[10:11], v[32:33]
	s_or_not1_b32 s73, vcc_lo, exec_lo
	s_branch .LBB2_1442
.LBB2_1447:                             ;   in Loop: Header=BB2_1413 Depth=2
	s_or_b32 exec_lo, exec_lo, s41
	s_and_saveexec_b32 s41, s60
	s_delay_alu instid0(SALU_CYCLE_1)
	s_xor_b32 s41, exec_lo, s41
	s_cbranch_execz .LBB2_1449
; %bb.1448:                             ;   in Loop: Header=BB2_1413 Depth=2
	ds_store_b32 v0, v61
	s_trap 2
.LBB2_1449:                             ;   in Loop: Header=BB2_1413 Depth=2
	s_or_b32 exec_lo, exec_lo, s40
	;;#ASMSTART
	s_wakeup
	;;#ASMEND
.LBB2_1450:                             ;   in Loop: Header=BB2_1413 Depth=2
	s_or_b32 exec_lo, exec_lo, s27
.LBB2_1451:                             ;   in Loop: Header=BB2_1413 Depth=2
	s_and_not1_saveexec_b32 s18, s18
	s_cbranch_execz .LBB2_1453
; %bb.1452:                             ;   in Loop: Header=BB2_1413 Depth=2
	global_wb scope:SCOPE_DEV
	s_wait_storecnt 0x0
	s_wait_loadcnt_dscnt 0x0
	global_inv scope:SCOPE_DEV
	s_barrier_signal -1
	s_barrier_wait -1
.LBB2_1453:                             ;   in Loop: Header=BB2_1413 Depth=2
	s_or_b32 exec_lo, exec_lo, s18
.LBB2_1454:                             ;   in Loop: Header=BB2_1413 Depth=2
	s_delay_alu instid0(SALU_CYCLE_1) | instskip(SKIP_1) | instid1(VALU_DEP_1)
	s_or_b32 exec_lo, exec_lo, s13
	v_sub_nc_u32_e32 v2, v114, v8
	v_min_i32_e32 v115, v115, v2
	s_and_saveexec_b32 s13, s7
	s_delay_alu instid0(SALU_CYCLE_1)
	s_xor_b32 s18, exec_lo, s13
	s_cbranch_execz .LBB2_1458
; %bb.1455:                             ;   in Loop: Header=BB2_1413 Depth=2
	s_trap 2
	ds_load_b32 v2, v0
	v_cmp_lt_i32_e32 vcc_lo, 0, v115
	s_wait_dscnt 0x0
	v_readfirstlane_b32 s13, v2
	v_and_b32_e32 v2, 16, v30
	s_cmp_eq_u32 s13, 0
	s_delay_alu instid0(VALU_DEP_1) | instskip(SKIP_1) | instid1(SALU_CYCLE_1)
	v_cmp_ne_u32_e64 s13, 0, v2
	s_cselect_b32 s27, -1, 0
	s_and_b32 s27, vcc_lo, s27
	s_delay_alu instid0(SALU_CYCLE_1) | instskip(NEXT) | instid1(SALU_CYCLE_1)
	s_and_b32 s27, s13, s27
	s_and_saveexec_b32 s13, s27
	s_cbranch_execz .LBB2_1457
; %bb.1456:                             ;   in Loop: Header=BB2_1413 Depth=2
	global_wb scope:SCOPE_SYS
	s_wait_loadcnt 0x0
	s_wait_storecnt 0x0
	global_inv scope:SCOPE_SYS
.LBB2_1457:                             ;   in Loop: Header=BB2_1413 Depth=2
	s_or_b32 exec_lo, exec_lo, s13
.LBB2_1458:                             ;   in Loop: Header=BB2_1413 Depth=2
	s_and_not1_saveexec_b32 s13, s18
	s_cbranch_execz .LBB2_1477
; %bb.1459:                             ;   in Loop: Header=BB2_1413 Depth=2
	s_and_saveexec_b32 s18, s3
	s_delay_alu instid0(SALU_CYCLE_1)
	s_xor_b32 s18, exec_lo, s18
	s_cbranch_execz .LBB2_1474
; %bb.1460:                             ;   in Loop: Header=BB2_1413 Depth=2
	s_and_saveexec_b32 s27, s6
	s_cbranch_execz .LBB2_1473
; %bb.1461:                             ;   in Loop: Header=BB2_1413 Depth=2
	s_mov_b32 s41, exec_lo
	s_mov_b32 s40, exec_lo
	v_mbcnt_lo_u32_b32 v2, s41, 0
	;;#ASMSTART
	s_waitcnt lgkmcnt(0) vmcnt(0)
	;;#ASMEND
	s_delay_alu instid0(VALU_DEP_1)
	v_cmpx_eq_u32_e32 0, v2
	s_cbranch_execz .LBB2_1463
; %bb.1462:                             ;   in Loop: Header=BB2_1413 Depth=2
	s_bcnt1_i32_b32 s41, s41
	s_delay_alu instid0(SALU_CYCLE_1)
	v_mov_b32_e32 v2, s41
	s_wait_storecnt 0x0
	s_wait_loadcnt_dscnt 0x0
	ds_add_u64 v0, v[2:3]
	s_trap 2
.LBB2_1463:                             ;   in Loop: Header=BB2_1413 Depth=2
	s_or_b32 exec_lo, exec_lo, s40
	s_trap 2
	ds_load_b64 v[10:11], v0
	s_wait_dscnt 0x0
	v_add_nc_u64_e32 v[32:33], v[32:33], v[36:37]
	s_mov_b32 s40, exec_lo
	s_delay_alu instid0(VALU_DEP_1)
	v_cmpx_lt_u64_e64 v[10:11], v[32:33]
	s_cbranch_execz .LBB2_1472
; %bb.1464:                             ;   in Loop: Header=BB2_1413 Depth=2
	s_mov_b32 s41, 0
	s_mov_b32 s62, 0
                                        ; implicit-def: $sgpr60
                                        ; implicit-def: $sgpr61
	s_branch .LBB2_1466
.LBB2_1465:                             ;   in Loop: Header=BB2_1466 Depth=3
	s_or_b32 exec_lo, exec_lo, s72
	s_delay_alu instid0(SALU_CYCLE_1) | instskip(NEXT) | instid1(SALU_CYCLE_1)
	s_and_b32 s63, exec_lo, s73
	s_or_b32 s41, s63, s41
	s_and_not1_b32 s60, s60, exec_lo
	s_and_b32 s63, s61, exec_lo
	s_delay_alu instid0(SALU_CYCLE_1)
	s_or_b32 s60, s60, s63
	s_and_not1_b32 exec_lo, exec_lo, s41
	s_cbranch_execz .LBB2_1470
.LBB2_1466:                             ;   Parent Loop BB2_47 Depth=1
                                        ;     Parent Loop BB2_1413 Depth=2
                                        ; =>    This Inner Loop Header: Depth=3
	s_add_co_i32 s62, s62, 1
	s_delay_alu instid0(SALU_CYCLE_1) | instskip(SKIP_1) | instid1(SALU_CYCLE_1)
	s_cmp_lg_u32 s62, 0x2710
	s_cselect_b32 s63, -1, 0
	s_and_b32 vcc_lo, exec_lo, s63
	s_cbranch_vccz .LBB2_1468
; %bb.1467:                             ;   in Loop: Header=BB2_1466 Depth=3
	s_mov_b32 s73, -1
	s_or_b32 s61, s61, exec_lo
	s_and_saveexec_b32 s72, s63
	s_cbranch_execz .LBB2_1465
	s_branch .LBB2_1469
.LBB2_1468:                             ;   in Loop: Header=BB2_1466 Depth=3
	s_trap 2
	ds_load_b64 v[10:11], v0
	s_and_not1_b32 s63, s63, exec_lo
	s_mov_b32 s62, 0
	s_wait_storecnt 0x0
	s_wait_loadcnt_dscnt 0x0
	flat_load_b32 v2, v[10:11] scope:SCOPE_SYS
	s_wait_loadcnt_dscnt 0x0
	global_inv scope:SCOPE_SYS
	v_cmp_eq_u32_e32 vcc_lo, 0, v2
	s_and_b32 s72, vcc_lo, exec_lo
	s_delay_alu instid0(SALU_CYCLE_1)
	s_or_b32 s63, s63, s72
	s_mov_b32 s73, -1
	s_or_b32 s61, s61, exec_lo
	s_and_saveexec_b32 s72, s63
	s_cbranch_execz .LBB2_1465
.LBB2_1469:                             ;   in Loop: Header=BB2_1466 Depth=3
	s_sleep 1
	s_trap 2
	ds_load_b64 v[10:11], v0
	s_wait_dscnt 0x0
	s_and_not1_b32 s61, s61, exec_lo
	v_cmp_ge_u64_e32 vcc_lo, v[10:11], v[32:33]
	s_or_not1_b32 s73, vcc_lo, exec_lo
	s_branch .LBB2_1465
.LBB2_1470:                             ;   in Loop: Header=BB2_1413 Depth=2
	s_or_b32 exec_lo, exec_lo, s41
	s_and_saveexec_b32 s41, s60
	s_delay_alu instid0(SALU_CYCLE_1)
	s_xor_b32 s41, exec_lo, s41
	s_cbranch_execz .LBB2_1472
; %bb.1471:                             ;   in Loop: Header=BB2_1413 Depth=2
	ds_store_b32 v0, v61
	s_trap 2
.LBB2_1472:                             ;   in Loop: Header=BB2_1413 Depth=2
	s_or_b32 exec_lo, exec_lo, s40
	;;#ASMSTART
	s_wakeup
	;;#ASMEND
.LBB2_1473:                             ;   in Loop: Header=BB2_1413 Depth=2
	s_or_b32 exec_lo, exec_lo, s27
.LBB2_1474:                             ;   in Loop: Header=BB2_1413 Depth=2
	s_and_not1_saveexec_b32 s18, s18
	s_cbranch_execz .LBB2_1476
; %bb.1475:                             ;   in Loop: Header=BB2_1413 Depth=2
	;;#ASMSTART
	s_waitcnt lgkmcnt(0) vmcnt(0)
	;;#ASMEND
	s_barrier_signal -1
	s_barrier_wait -1
.LBB2_1476:                             ;   in Loop: Header=BB2_1413 Depth=2
	s_or_b32 exec_lo, exec_lo, s18
.LBB2_1477:                             ;   in Loop: Header=BB2_1413 Depth=2
	s_delay_alu instid0(SALU_CYCLE_1) | instskip(SKIP_2) | instid1(VALU_DEP_1)
	s_or_b32 exec_lo, exec_lo, s13
	v_and_b32_e32 v2, 32, v30
	s_mov_b32 s13, exec_lo
	v_cmpx_ne_u32_e32 0, v2
	s_cbranch_execz .LBB2_1412
; %bb.1478:                             ;   in Loop: Header=BB2_1413 Depth=2
	v_add_nc_u64_e32 v[98:99], 2, v[98:99]
	global_wb scope:SCOPE_SYS
	s_wait_storecnt 0x0
	s_wait_loadcnt_dscnt 0x0
	flat_store_b64 v[22:23], v[98:99] scope:SCOPE_SYS
	s_branch .LBB2_1412
.LBB2_1479:
	s_or_b32 exec_lo, exec_lo, s59
.LBB2_1480:
	s_delay_alu instid0(SALU_CYCLE_1) | instskip(SKIP_2) | instid1(VALU_DEP_1)
	s_or_b32 exec_lo, exec_lo, s43
	v_and_b32_e32 v0, 0x800, v30
	s_mov_b32 s1, exec_lo
	v_cmpx_eq_u32_e32 0, v0
	s_cbranch_execz .LBB2_1513
; %bb.1481:
	v_and_b32_e32 v0, 48, v30
	s_mov_b32 s0, exec_lo
	s_delay_alu instid0(VALU_DEP_1)
	v_cmpx_ne_u32_e32 0, v0
	s_cbranch_execz .LBB2_1483
; %bb.1482:
	flat_store_b64 v[20:21], v[98:99] offset:104
.LBB2_1483:
	s_wait_xcnt 0x0
	s_or_b32 exec_lo, exec_lo, s0
	v_and_b32_e32 v0, 0x88, v30
	s_mov_b32 s2, exec_lo
	s_delay_alu instid0(VALU_DEP_1)
	v_cmpx_eq_u32_e32 0x88, v0
	s_cbranch_execz .LBB2_1493
; %bb.1484:
	v_add_nc_u32_e32 v0, 6, v98
	s_mov_b32 s3, 0
	s_delay_alu instid0(VALU_DEP_1) | instskip(NEXT) | instid1(VALU_DEP_1)
	v_and_b32_e32 v0, 7, v0
	v_mad_nc_u64_u32 v[2:3], v0, 24, v[6:7]
	v_and_b32_e32 v0, 64, v30
	s_delay_alu instid0(VALU_DEP_1)
	v_cmp_eq_u32_e64 s0, 0, v0
	flat_load_b64 v[4:5], v[2:3] offset:8 scope:SCOPE_SYS
	s_wait_loadcnt_dscnt 0x0
	v_cmp_ne_u64_e32 vcc_lo, -1, v[4:5]
	s_and_b32 s0, vcc_lo, s0
	s_wait_xcnt 0x0
	s_and_b32 exec_lo, exec_lo, s0
	s_cbranch_execz .LBB2_1493
; %bb.1485:
	s_mov_b32 s5, 0
                                        ; implicit-def: $sgpr0
                                        ; implicit-def: $sgpr4
	s_branch .LBB2_1488
.LBB2_1486:                             ;   in Loop: Header=BB2_1488 Depth=1
	flat_load_b64 v[4:5], v[2:3] offset:8 scope:SCOPE_SYS
	s_wait_loadcnt 0x0
	s_and_not1_b32 s4, s4, exec_lo
	s_wait_dscnt 0x0
	v_cmp_eq_u64_e32 vcc_lo, -1, v[4:5]
	s_or_not1_b32 s7, vcc_lo, exec_lo
.LBB2_1487:                             ;   in Loop: Header=BB2_1488 Depth=1
	s_wait_xcnt 0x0
	s_or_b32 exec_lo, exec_lo, s10
	s_delay_alu instid0(SALU_CYCLE_1) | instskip(NEXT) | instid1(SALU_CYCLE_1)
	s_and_b32 s6, exec_lo, s7
	s_or_b32 s3, s6, s3
	s_and_not1_b32 s0, s0, exec_lo
	s_and_b32 s6, s4, exec_lo
	s_delay_alu instid0(SALU_CYCLE_1)
	s_or_b32 s0, s0, s6
	s_and_not1_b32 exec_lo, exec_lo, s3
	s_cbranch_execz .LBB2_1491
.LBB2_1488:                             ; =>This Inner Loop Header: Depth=1
	s_cmp_lt_i32 s5, 0x270f
	s_cselect_b32 s6, -1, 0
	s_delay_alu instid0(SALU_CYCLE_1)
	s_and_b32 vcc_lo, exec_lo, s6
	s_cbranch_vccnz .LBB2_1490
; %bb.1489:                             ;   in Loop: Header=BB2_1488 Depth=1
	s_trap 2
	ds_load_b64 v[4:5], v0
	s_and_not1_b32 s6, s6, exec_lo
	s_mov_b32 s5, 0
	s_wait_storecnt_dscnt 0x0
	flat_load_b32 v0, v[4:5] scope:SCOPE_SYS
	s_wait_loadcnt_dscnt 0x0
	global_inv scope:SCOPE_SYS
	v_cmp_eq_u32_e32 vcc_lo, 0, v0
	s_and_b32 s7, vcc_lo, exec_lo
	s_delay_alu instid0(SALU_CYCLE_1)
	s_or_b32 s6, s6, s7
	s_mov_b32 s7, -1
	s_or_b32 s4, s4, exec_lo
	s_wait_xcnt 0x0
	s_and_saveexec_b32 s10, s6
	s_cbranch_execz .LBB2_1487
	s_branch .LBB2_1486
.LBB2_1490:                             ;   in Loop: Header=BB2_1488 Depth=1
	s_add_co_i32 s5, s5, 1
                                        ; implicit-def: $vgpr0
	s_mov_b32 s7, -1
	s_or_b32 s4, s4, exec_lo
	s_and_saveexec_b32 s10, s6
	s_cbranch_execz .LBB2_1487
	s_branch .LBB2_1486
.LBB2_1491:
	s_or_b32 exec_lo, exec_lo, s3
	s_and_saveexec_b32 s3, s0
	s_delay_alu instid0(SALU_CYCLE_1)
	s_xor_b32 s3, exec_lo, s3
	s_cbranch_execz .LBB2_1493
; %bb.1492:
	s_wait_loadcnt 0x0
	s_wait_storecnt 0x0
	ds_store_b32 v0, v0
	s_trap 2
.LBB2_1493:
	s_or_b32 exec_lo, exec_lo, s2
	v_and_b32_e32 v0, 0x2000, v30
	s_mov_b32 s0, exec_lo
	s_delay_alu instid0(VALU_DEP_1)
	v_cmpx_ne_u32_e32 0, v0
	s_cbranch_execz .LBB2_1495
; %bb.1494:
	s_trap 2
	ds_load_b64 v[2:3], v0
	s_wait_dscnt 0x0
	flat_store_b64 v[18:19], v[2:3] offset:16
.LBB2_1495:
	s_wait_xcnt 0x0
	s_or_b32 exec_lo, exec_lo, s0
	v_cmp_ne_u32_e32 vcc_lo, 32, v1
	s_and_b32 exec_lo, exec_lo, vcc_lo
	s_cbranch_execz .LBB2_1513
; %bb.1496:
	s_mov_b32 s0, exec_lo
	v_cmpx_ne_u32_e64 v1, v60
	s_xor_b32 s0, exec_lo, s0
	s_cbranch_execz .LBB2_1511
; %bb.1497:
	v_and_b32_e32 v0, 31, v31
	s_mov_b32 s2, exec_lo
	s_delay_alu instid0(VALU_DEP_1)
	v_cmpx_eq_u32_e32 0, v0
	s_cbranch_execz .LBB2_1510
; %bb.1498:
	s_mov_b32 s4, exec_lo
	s_mov_b32 s3, exec_lo
	v_mbcnt_lo_u32_b32 v0, s4, 0
	global_wb scope:SCOPE_DEV
	s_wait_storecnt 0x0
	s_wait_loadcnt_dscnt 0x0
	global_inv scope:SCOPE_DEV
	v_cmpx_eq_u32_e32 0, v0
	s_cbranch_execz .LBB2_1500
; %bb.1499:
	s_bcnt1_i32_b32 s4, s4
	s_delay_alu instid0(SALU_CYCLE_1)
	v_dual_mov_b32 v3, 0 :: v_dual_mov_b32 v2, s4
	s_wait_loadcnt 0x0
	ds_add_u64 v0, v[2:3]
	s_trap 2
.LBB2_1500:
	s_or_b32 exec_lo, exec_lo, s3
	s_trap 2
	ds_load_b64 v[2:3], v0
	s_wait_dscnt 0x0
	v_dual_mov_b32 v1, 0 :: v_dual_lshrrev_b32 v0, 5, v1
	s_mov_b32 s3, exec_lo
	s_delay_alu instid0(VALU_DEP_1) | instskip(NEXT) | instid1(VALU_DEP_1)
	v_add_nc_u64_e32 v[0:1], v[32:33], v[0:1]
	v_cmpx_lt_u64_e64 v[2:3], v[0:1]
	s_cbranch_execz .LBB2_1509
; %bb.1501:
	s_mov_b32 s4, 0
	s_mov_b32 s7, 0
                                        ; implicit-def: $sgpr5
                                        ; implicit-def: $sgpr6
	s_branch .LBB2_1503
.LBB2_1502:                             ;   in Loop: Header=BB2_1503 Depth=1
	s_or_b32 exec_lo, exec_lo, s11
	s_delay_alu instid0(SALU_CYCLE_1) | instskip(NEXT) | instid1(SALU_CYCLE_1)
	s_and_b32 s10, exec_lo, s12
	s_or_b32 s4, s10, s4
	s_and_not1_b32 s5, s5, exec_lo
	s_and_b32 s10, s6, exec_lo
	s_delay_alu instid0(SALU_CYCLE_1)
	s_or_b32 s5, s5, s10
	s_and_not1_b32 exec_lo, exec_lo, s4
	s_cbranch_execz .LBB2_1507
.LBB2_1503:                             ; =>This Inner Loop Header: Depth=1
	s_add_co_i32 s7, s7, 1
	s_delay_alu instid0(SALU_CYCLE_1) | instskip(SKIP_1) | instid1(SALU_CYCLE_1)
	s_cmp_lg_u32 s7, 0x2710
	s_cselect_b32 s10, -1, 0
	s_and_b32 vcc_lo, exec_lo, s10
	s_cbranch_vccz .LBB2_1505
; %bb.1504:                             ;   in Loop: Header=BB2_1503 Depth=1
	s_mov_b32 s12, -1
	s_or_b32 s6, s6, exec_lo
	s_and_saveexec_b32 s11, s10
	s_cbranch_execz .LBB2_1502
	s_branch .LBB2_1506
.LBB2_1505:                             ;   in Loop: Header=BB2_1503 Depth=1
	s_trap 2
	ds_load_b64 v[2:3], v0
	s_and_not1_b32 s10, s10, exec_lo
	s_mov_b32 s7, 0
	s_wait_loadcnt_dscnt 0x0
	flat_load_b32 v2, v[2:3] scope:SCOPE_SYS
	s_wait_loadcnt_dscnt 0x0
	global_inv scope:SCOPE_SYS
	v_cmp_eq_u32_e32 vcc_lo, 0, v2
	s_and_b32 s11, vcc_lo, exec_lo
	s_delay_alu instid0(SALU_CYCLE_1)
	s_or_b32 s10, s10, s11
	s_mov_b32 s12, -1
	s_or_b32 s6, s6, exec_lo
	s_and_saveexec_b32 s11, s10
	s_cbranch_execz .LBB2_1502
.LBB2_1506:                             ;   in Loop: Header=BB2_1503 Depth=1
	s_sleep 1
	s_trap 2
	ds_load_b64 v[2:3], v0
	s_wait_dscnt 0x0
	s_and_not1_b32 s6, s6, exec_lo
	v_cmp_ge_u64_e32 vcc_lo, v[2:3], v[0:1]
	s_or_not1_b32 s12, vcc_lo, exec_lo
	s_branch .LBB2_1502
.LBB2_1507:
	s_or_b32 exec_lo, exec_lo, s4
	s_and_saveexec_b32 s4, s5
	s_delay_alu instid0(SALU_CYCLE_1)
	s_xor_b32 s4, exec_lo, s4
	s_cbranch_execz .LBB2_1509
; %bb.1508:
	v_mov_b32_e32 v0, 1
	ds_store_b32 v0, v0
	s_trap 2
.LBB2_1509:
	s_or_b32 exec_lo, exec_lo, s3
	;;#ASMSTART
	s_wakeup
	;;#ASMEND
.LBB2_1510:
	s_or_b32 exec_lo, exec_lo, s2
.LBB2_1511:
	s_and_not1_saveexec_b32 s0, s0
	s_cbranch_execz .LBB2_1513
; %bb.1512:
	global_wb scope:SCOPE_DEV
	s_wait_storecnt 0x0
	s_wait_loadcnt_dscnt 0x0
	global_inv scope:SCOPE_DEV
	s_barrier_signal -1
	s_barrier_wait -1
.LBB2_1513:
	s_or_b32 exec_lo, exec_lo, s1
.LBB2_1514:
	s_and_not1_saveexec_b32 s21, s42
	s_cbranch_execz .LBB2_1516
; %bb.1515:
	s_get_pc_i64 s[0:1]
	s_add_nc_u64 s[0:1], s[0:1], __PRETTY_FUNCTION__._ZN10PrimitivesI12hip_bfloat168FuncProdIS0_E12FanSymmetricILi1EELi0E11ProtoSimpleILi2ELi2ELi0ELi1ELi0ELi0EELi0ELb0ELi0ELi0ELi0EEC2EiiPKiS9_PKvPvmhhhP15ncclDevWorkCollP14ncclDevWorkP2pii@rel64+4
	s_get_pc_i64 s[2:3]
	s_add_nc_u64 s[2:3], s[2:3], __assert_fail@rel64+4
	v_dual_mov_b32 v0, s0 :: v_dual_mov_b32 v1, s1
	s_swap_pc_i64 s[30:31], s[2:3]
	; divergent unreachable
.LBB2_1516:
	s_or_b32 exec_lo, exec_lo, s21
	s_clause 0x1c
	scratch_load_b32 v92, off, s33
	scratch_load_b32 v91, off, s33 offset:4
	scratch_load_b32 v90, off, s33 offset:8
	;; [unrolled: 1-line block ×28, first 2 shown]
	v_readlane_b32 s30, v93, 0
	v_readlane_b32 s31, v93, 1
	s_mov_b32 s32, s33
	s_wait_xcnt 0x0
	s_or_saveexec_b32 s0, -1
	scratch_load_b32 v93, off, s33 offset:116 ; 4-byte Folded Reload
	s_wait_xcnt 0x0
	s_mov_b32 exec_lo, s0
	s_mov_b32 s33, s79
	s_wait_loadcnt_dscnt 0x0
	s_set_pc_i64 s[30:31]
.Lfunc_end2:
	.size	_ZN12_GLOBAL__N_17runRingI12hip_bfloat168FuncProdIS1_E11ProtoSimpleILi2ELi2ELi0ELi1ELi0ELi0EELi0ELi0ELi1ELi0EEEviiP15ncclDevWorkColl, .Lfunc_end2-_ZN12_GLOBAL__N_17runRingI12hip_bfloat168FuncProdIS1_E11ProtoSimpleILi2ELi2ELi0ELi1ELi0ELi0EELi0ELi0ELi1ELi0EEEviiP15ncclDevWorkColl
                                        ; -- End function
	.set .L_ZN12_GLOBAL__N_17runRingI12hip_bfloat168FuncProdIS1_E11ProtoSimpleILi2ELi2ELi0ELi1ELi0ELi0EELi0ELi0ELi1ELi0EEEviiP15ncclDevWorkColl.num_vgpr, max(120, .L__assert_fail.num_vgpr)
	.set .L_ZN12_GLOBAL__N_17runRingI12hip_bfloat168FuncProdIS1_E11ProtoSimpleILi2ELi2ELi0ELi1ELi0ELi0EELi0ELi0ELi1ELi0EEEviiP15ncclDevWorkColl.num_agpr, max(0, .L__assert_fail.num_agpr)
	.set .L_ZN12_GLOBAL__N_17runRingI12hip_bfloat168FuncProdIS1_E11ProtoSimpleILi2ELi2ELi0ELi1ELi0ELi0EELi0ELi0ELi1ELi0EEEviiP15ncclDevWorkColl.numbered_sgpr, max(80, .L__assert_fail.numbered_sgpr)
	.set .L_ZN12_GLOBAL__N_17runRingI12hip_bfloat168FuncProdIS1_E11ProtoSimpleILi2ELi2ELi0ELi1ELi0ELi0EELi0ELi0ELi1ELi0EEEviiP15ncclDevWorkColl.num_named_barrier, max(0, .L__assert_fail.num_named_barrier)
	.set .L_ZN12_GLOBAL__N_17runRingI12hip_bfloat168FuncProdIS1_E11ProtoSimpleILi2ELi2ELi0ELi1ELi0ELi0EELi0ELi0ELi1ELi0EEEviiP15ncclDevWorkColl.private_seg_size, 128+max(.L__assert_fail.private_seg_size)
	.set .L_ZN12_GLOBAL__N_17runRingI12hip_bfloat168FuncProdIS1_E11ProtoSimpleILi2ELi2ELi0ELi1ELi0ELi0EELi0ELi0ELi1ELi0EEEviiP15ncclDevWorkColl.uses_vcc, or(1, .L__assert_fail.uses_vcc)
	.set .L_ZN12_GLOBAL__N_17runRingI12hip_bfloat168FuncProdIS1_E11ProtoSimpleILi2ELi2ELi0ELi1ELi0ELi0EELi0ELi0ELi1ELi0EEEviiP15ncclDevWorkColl.uses_flat_scratch, or(1, .L__assert_fail.uses_flat_scratch)
	.set .L_ZN12_GLOBAL__N_17runRingI12hip_bfloat168FuncProdIS1_E11ProtoSimpleILi2ELi2ELi0ELi1ELi0ELi0EELi0ELi0ELi1ELi0EEEviiP15ncclDevWorkColl.has_dyn_sized_stack, or(0, .L__assert_fail.has_dyn_sized_stack)
	.set .L_ZN12_GLOBAL__N_17runRingI12hip_bfloat168FuncProdIS1_E11ProtoSimpleILi2ELi2ELi0ELi1ELi0ELi0EELi0ELi0ELi1ELi0EEEviiP15ncclDevWorkColl.has_recursion, or(1, .L__assert_fail.has_recursion)
	.set .L_ZN12_GLOBAL__N_17runRingI12hip_bfloat168FuncProdIS1_E11ProtoSimpleILi2ELi2ELi0ELi1ELi0ELi0EELi0ELi0ELi1ELi0EEEviiP15ncclDevWorkColl.has_indirect_call, or(0, .L__assert_fail.has_indirect_call)
	.section	.AMDGPU.csdata,"",@progbits
; Function info:
; codeLenInByte = 50048
; TotalNumSgprs: 82
; NumVgprs: 120
; ScratchSize: 192
; MemoryBound: 1
	.text
	.p2align	2                               ; -- Begin function _Z49ncclDevFunc_AllReduce_RING_SIMPLE_Prod_bf16_0_0_1v
	.type	_Z49ncclDevFunc_AllReduce_RING_SIMPLE_Prod_bf16_0_0_1v,@function
_Z49ncclDevFunc_AllReduce_RING_SIMPLE_Prod_bf16_0_0_1v: ; @_Z49ncclDevFunc_AllReduce_RING_SIMPLE_Prod_bf16_0_0_1v
; %bb.0:
	s_wait_loadcnt_dscnt 0x0
	s_wait_kmcnt 0x0
	s_mov_b32 s95, s33
	s_mov_b32 s33, s32
	s_or_saveexec_b32 s0, -1
	scratch_store_b32 off, v42, s33 offset:12 ; 4-byte Folded Spill
	s_wait_xcnt 0x0
	s_mov_b32 exec_lo, s0
	s_add_co_i32 s32, s32, 32
	s_clause 0x2
	scratch_store_b32 off, v40, s33 offset:8
	; meta instruction
	scratch_store_b32 off, v41, s33 offset:4
	; meta instruction
	scratch_store_b32 off, v93, s33
	v_writelane_b32 v42, s30, 0
	v_writelane_b32 v42, s31, 1
	s_trap 2
	ds_load_b32 v0, v0
	s_wait_xcnt 0x2
	v_mov_b32_e32 v40, v31
	s_wait_dscnt 0x0
	v_cmp_gt_i32_e32 vcc_lo, 1, v0
	s_cbranch_vccnz .LBB3_8
; %bb.1:
	s_wait_xcnt 0x1
	v_and_b32_e32 v41, 0x3ff, v40
	s_mov_b32 s90, s12
	s_mov_b64 s[88:89], s[8:9]
	s_mov_b32 s91, 0
	s_get_pc_i64 s[92:93]
	s_add_nc_u64 s[92:93], s[92:93], _ZN12_GLOBAL__N_17runRingI12hip_bfloat168FuncProdIS1_E11ProtoSimpleILi2ELi2ELi0ELi1ELi0ELi0EELi0ELi0ELi1ELi0EEEviiP15ncclDevWorkColl@rel64+4
	s_branch .LBB3_3
.LBB3_2:                                ;   in Loop: Header=BB3_3 Depth=1
	s_or_b32 exec_lo, exec_lo, s94
	s_trap 2
	ds_load_b32 v0, v0
	s_add_co_i32 s91, s91, 1
	s_wait_dscnt 0x0
	v_cmp_lt_i32_e32 vcc_lo, s91, v0
	s_cbranch_vccz .LBB3_8
.LBB3_3:                                ; =>This Inner Loop Header: Depth=1
	s_trap 2
	ds_load_b32 v0, v0
	s_cmp_eq_u32 s91, 0
	s_cbranch_scc1 .LBB3_6
; %bb.4:                                ;   in Loop: Header=BB3_3 Depth=1
	s_trap 2
	s_wait_dscnt 0x0
	ds_load_b32 v1, v0
	s_wait_dscnt 0x0
	v_xor_b32_e32 v1, v1, v0
	s_delay_alu instid0(VALU_DEP_1) | instskip(NEXT) | instid1(VALU_DEP_1)
	v_and_b32_e32 v1, 0xff0000, v1
	v_cmp_eq_u32_e32 vcc_lo, 0, v1
	s_cbranch_vccnz .LBB3_6
; %bb.5:                                ;   in Loop: Header=BB3_3 Depth=1
	s_wait_storecnt 0x0
	s_barrier_signal -1
	s_barrier_wait -1
	ds_load_b32 v0, v0
.LBB3_6:                                ;   in Loop: Header=BB3_3 Depth=1
	s_wait_dscnt 0x0
	v_lshrrev_b32_e32 v0, 11, v0
	s_mov_b32 s94, exec_lo
	s_delay_alu instid0(VALU_DEP_1) | instskip(SKIP_1) | instid1(VALU_DEP_1)
	v_and_b32_e32 v1, 0x1fe0, v0
	s_wait_xcnt 0x0
	v_cmpx_lt_u32_e64 v41, v1
	s_cbranch_execz .LBB3_2
; %bb.7:                                ;   in Loop: Header=BB3_3 Depth=1
	s_mov_b64 s[0:1], src_shared_base
	v_dual_mov_b32 v31, v40 :: v_dual_mov_b32 v0, v41
	v_mov_b32_e32 v3, s1
	s_mov_b64 s[8:9], s[88:89]
	s_mov_b32 s12, s90
	s_swap_pc_i64 s[30:31], s[92:93]
	s_branch .LBB3_2
.LBB3_8:
	s_clause 0x2
	scratch_load_b32 v93, off, s33
	scratch_load_b32 v41, off, s33 offset:4
	scratch_load_b32 v40, off, s33 offset:8
	v_readlane_b32 s30, v42, 0
	v_readlane_b32 s31, v42, 1
	s_mov_b32 s32, s33
	s_wait_xcnt 0x0
	s_or_saveexec_b32 s0, -1
	scratch_load_b32 v42, off, s33 offset:12 ; 4-byte Folded Reload
	s_wait_xcnt 0x0
	s_mov_b32 exec_lo, s0
	s_mov_b32 s33, s95
	s_wait_loadcnt 0x0
	s_set_pc_i64 s[30:31]
.Lfunc_end3:
	.size	_Z49ncclDevFunc_AllReduce_RING_SIMPLE_Prod_bf16_0_0_1v, .Lfunc_end3-_Z49ncclDevFunc_AllReduce_RING_SIMPLE_Prod_bf16_0_0_1v
                                        ; -- End function
	.set .L_Z49ncclDevFunc_AllReduce_RING_SIMPLE_Prod_bf16_0_0_1v.num_vgpr, max(94, .L_ZN12_GLOBAL__N_17runRingI12hip_bfloat168FuncProdIS1_E11ProtoSimpleILi2ELi2ELi0ELi1ELi0ELi0EELi0ELi0ELi1ELi0EEEviiP15ncclDevWorkColl.num_vgpr)
	.set .L_Z49ncclDevFunc_AllReduce_RING_SIMPLE_Prod_bf16_0_0_1v.num_agpr, max(0, .L_ZN12_GLOBAL__N_17runRingI12hip_bfloat168FuncProdIS1_E11ProtoSimpleILi2ELi2ELi0ELi1ELi0ELi0EELi0ELi0ELi1ELi0EEEviiP15ncclDevWorkColl.num_agpr)
	.set .L_Z49ncclDevFunc_AllReduce_RING_SIMPLE_Prod_bf16_0_0_1v.numbered_sgpr, max(96, .L_ZN12_GLOBAL__N_17runRingI12hip_bfloat168FuncProdIS1_E11ProtoSimpleILi2ELi2ELi0ELi1ELi0ELi0EELi0ELi0ELi1ELi0EEEviiP15ncclDevWorkColl.numbered_sgpr)
	.set .L_Z49ncclDevFunc_AllReduce_RING_SIMPLE_Prod_bf16_0_0_1v.num_named_barrier, max(0, .L_ZN12_GLOBAL__N_17runRingI12hip_bfloat168FuncProdIS1_E11ProtoSimpleILi2ELi2ELi0ELi1ELi0ELi0EELi0ELi0ELi1ELi0EEEviiP15ncclDevWorkColl.num_named_barrier)
	.set .L_Z49ncclDevFunc_AllReduce_RING_SIMPLE_Prod_bf16_0_0_1v.private_seg_size, 32+max(.L_ZN12_GLOBAL__N_17runRingI12hip_bfloat168FuncProdIS1_E11ProtoSimpleILi2ELi2ELi0ELi1ELi0ELi0EELi0ELi0ELi1ELi0EEEviiP15ncclDevWorkColl.private_seg_size)
	.set .L_Z49ncclDevFunc_AllReduce_RING_SIMPLE_Prod_bf16_0_0_1v.uses_vcc, or(1, .L_ZN12_GLOBAL__N_17runRingI12hip_bfloat168FuncProdIS1_E11ProtoSimpleILi2ELi2ELi0ELi1ELi0ELi0EELi0ELi0ELi1ELi0EEEviiP15ncclDevWorkColl.uses_vcc)
	.set .L_Z49ncclDevFunc_AllReduce_RING_SIMPLE_Prod_bf16_0_0_1v.uses_flat_scratch, or(1, .L_ZN12_GLOBAL__N_17runRingI12hip_bfloat168FuncProdIS1_E11ProtoSimpleILi2ELi2ELi0ELi1ELi0ELi0EELi0ELi0ELi1ELi0EEEviiP15ncclDevWorkColl.uses_flat_scratch)
	.set .L_Z49ncclDevFunc_AllReduce_RING_SIMPLE_Prod_bf16_0_0_1v.has_dyn_sized_stack, or(0, .L_ZN12_GLOBAL__N_17runRingI12hip_bfloat168FuncProdIS1_E11ProtoSimpleILi2ELi2ELi0ELi1ELi0ELi0EELi0ELi0ELi1ELi0EEEviiP15ncclDevWorkColl.has_dyn_sized_stack)
	.set .L_Z49ncclDevFunc_AllReduce_RING_SIMPLE_Prod_bf16_0_0_1v.has_recursion, or(1, .L_ZN12_GLOBAL__N_17runRingI12hip_bfloat168FuncProdIS1_E11ProtoSimpleILi2ELi2ELi0ELi1ELi0ELi0EELi0ELi0ELi1ELi0EEEviiP15ncclDevWorkColl.has_recursion)
	.set .L_Z49ncclDevFunc_AllReduce_RING_SIMPLE_Prod_bf16_0_0_1v.has_indirect_call, or(0, .L_ZN12_GLOBAL__N_17runRingI12hip_bfloat168FuncProdIS1_E11ProtoSimpleILi2ELi2ELi0ELi1ELi0ELi0EELi0ELi0ELi1ELi0EEEviiP15ncclDevWorkColl.has_indirect_call)
	.section	.AMDGPU.csdata,"",@progbits
; Function info:
; codeLenInByte = 464
; TotalNumSgprs: 98
; NumVgprs: 120
; ScratchSize: 224
; MemoryBound: 0
	.text
	.p2align	2                               ; -- Begin function _ZN12_GLOBAL__N_17runRingI12hip_bfloat168FuncProdIS1_E11ProtoSimpleILi2ELi2ELi0ELi1ELi0ELi0EELi0ELi0ELi1ELi1EEEviiP15ncclDevWorkColl
	.type	_ZN12_GLOBAL__N_17runRingI12hip_bfloat168FuncProdIS1_E11ProtoSimpleILi2ELi2ELi0ELi1ELi0ELi0EELi0ELi0ELi1ELi1EEEviiP15ncclDevWorkColl,@function
_ZN12_GLOBAL__N_17runRingI12hip_bfloat168FuncProdIS1_E11ProtoSimpleILi2ELi2ELi0ELi1ELi0ELi0EELi0ELi0ELi1ELi1EEEviiP15ncclDevWorkColl: ; @_ZN12_GLOBAL__N_17runRingI12hip_bfloat168FuncProdIS1_E11ProtoSimpleILi2ELi2ELi0ELi1ELi0ELi0EELi0ELi0ELi1ELi1EEEviiP15ncclDevWorkColl
; %bb.0:
	s_wait_loadcnt_dscnt 0x0
	s_wait_kmcnt 0x0
	s_mov_b32 s0, s33
	s_mov_b32 s33, s32
	s_or_saveexec_b32 s1, -1
	scratch_store_b32 off, v107, s33 offset:208 ; 4-byte Folded Spill
	s_wait_xcnt 0x0
	s_mov_b32 exec_lo, s1
	v_writelane_b32 v107, s0, 3
	s_addk_co_i32 s32, 0xe0
	s_clause 0x22
	scratch_store_b32 off, v40, s33 offset:136
	; meta instruction
	scratch_store_b32 off, v41, s33 offset:132
	; meta instruction
	;; [unrolled: 2-line block ×34, first 2 shown]
	scratch_store_b32 off, v106, s33
	v_writelane_b32 v107, s34, 0
	v_writelane_b32 v107, s30, 1
	;; [unrolled: 1-line block ×3, first 2 shown]
	s_trap 2
	flat_load_b32 v7, v[2:3]
	ds_load_b32 v6, v0
	s_mov_b32 s0, exec_lo
                                        ; implicit-def: $vgpr14_vgpr15
                                        ; implicit-def: $vgpr24_vgpr25
                                        ; implicit-def: $vgpr4_vgpr5
	s_wait_dscnt 0x0
	v_readfirstlane_b32 s16, v6
	s_wait_loadcnt 0x0
	v_and_b32_e32 v8, 0xff, v7
	s_wait_xcnt 0x0
	s_delay_alu instid0(VALU_DEP_1)
	v_cmpx_ne_u32_e64 v6, v8
	s_xor_b32 s0, exec_lo, s0
	s_cbranch_execz .LBB4_6
; %bb.1:
	v_bfe_u32 v9, v7, 8, 8
	v_not_b32_e32 v8, v8
	s_mov_b32 s1, exec_lo
                                        ; implicit-def: $vgpr14_vgpr15
                                        ; implicit-def: $vgpr24_vgpr25
                                        ; implicit-def: $vgpr4_vgpr5
	s_delay_alu instid0(VALU_DEP_2)
	v_cmpx_ne_u32_e64 v6, v9
	s_xor_b32 s1, exec_lo, s1
	s_cbranch_execz .LBB4_3
; %bb.2:
	s_clause 0x1
	flat_load_b128 v[10:13], v[2:3] offset:72
	flat_load_b64 v[4:5], v[2:3] offset:96
	v_add_nc_u32_e32 v6, v6, v8
                                        ; implicit-def: $vgpr9
                                        ; implicit-def: $vgpr8
	s_wait_loadcnt_dscnt 0x101
	s_delay_alu instid0(VALU_DEP_1) | instskip(SKIP_3) | instid1(VALU_DEP_3)
	v_mad_nc_u64_u32 v[24:25], v12, v6, v[10:11]
	s_wait_loadcnt_dscnt 0x0
	v_lshrrev_b64 v[14:15], 13, v[4:5]
	v_mov_b64_e32 v[4:5], v[12:13]
	v_mad_u32 v7, v13, v6, v25
	v_ashrrev_i32_e32 v6, 31, v6
	s_delay_alu instid0(VALU_DEP_1)
	v_mad_u32 v25, v12, v6, v7
.LBB4_3:
	s_wait_xcnt 0x0
	s_and_not1_saveexec_b32 s1, s1
	s_cbranch_execz .LBB4_5
; %bb.4:
	s_clause 0x1
	flat_load_b128 v[10:13], v[2:3] offset:72
	flat_load_b128 v[4:7], v[2:3] offset:88
	s_wait_loadcnt_dscnt 0x0
	v_dual_add_nc_u32 v6, v9, v8 :: v_dual_lshrrev_b32 v14, 2, v7
	s_delay_alu instid0(VALU_DEP_1) | instskip(NEXT) | instid1(VALU_DEP_1)
	v_mad_nc_u64_u32 v[24:25], v12, v6, v[10:11]
	v_mad_u32 v8, v13, v6, v25
	v_ashrrev_i32_e32 v6, 31, v6
	s_delay_alu instid0(VALU_DEP_1)
	v_mad_u32 v25, v12, v6, v8
.LBB4_5:
	s_wait_xcnt 0x0
	s_or_b32 exec_lo, exec_lo, s1
.LBB4_6:
	s_and_not1_saveexec_b32 s0, s0
	s_cbranch_execz .LBB4_8
; %bb.7:
	s_clause 0x1
	flat_load_b64 v[6:7], v[2:3] offset:96
	flat_load_b64 v[4:5], v[2:3] offset:72
	v_mov_b64_e32 v[24:25], 0
	s_wait_loadcnt_dscnt 0x101
	v_lshlrev_b64_e32 v[14:15], 8, v[6:7]
.LBB4_8:
	s_wait_xcnt 0x0
	s_or_b32 exec_lo, exec_lo, s0
	s_trap 2
	ds_load_b64 v[6:7], v0
	s_mov_b32 s1, 0
	s_mov_b32 s2, exec_lo
	s_wait_dscnt 0x0
	v_cmp_ne_u32_e32 vcc_lo, -1, v6
	v_cndmask_b32_e64 v15, 0, 1, vcc_lo
	v_cmp_ne_u32_e32 vcc_lo, -1, v7
	s_delay_alu instid0(VALU_DEP_2) | instskip(NEXT) | instid1(VALU_DEP_1)
	v_add_co_ci_u32_e64 v8, null, 0, v15, vcc_lo
	v_lshlrev_b32_e32 v6, 1, v8
	s_delay_alu instid0(VALU_DEP_1)
	v_cmpx_le_u32_e64 v6, v1
	s_xor_b32 s42, exec_lo, s2
	s_cbranch_execz .LBB4_2274
; %bb.9:
	s_clause 0x3
	flat_load_b128 v[10:13], v[2:3] offset:16
	flat_load_b64 v[16:17], v[2:3] offset:104
	flat_load_u16 v7, v[2:3] offset:8
	flat_load_b32 v6, v[2:3] offset:4
	s_trap 2
	s_load_b32 s0, s[8:9], 0x0
	s_bfe_u32 s2, ttmp6, 0x4000c
	s_and_b32 s3, ttmp6, 15
	s_add_co_i32 s2, s2, 1
	s_getreg_b32 s4, hwreg(HW_REG_IB_STS2, 6, 4)
	s_mul_i32 s2, ttmp9, s2
	v_dual_mov_b32 v9, 0 :: v_dual_mov_b32 v30, 4
	s_add_co_i32 s3, s3, s2
	s_cmp_eq_u32 s4, 0
	s_cselect_b32 s2, ttmp9, s3
	s_wait_kmcnt 0x0
	s_cmp_lt_u32 s2, s0
	s_cselect_b32 s0, 12, 18
	s_delay_alu instid0(SALU_CYCLE_1)
	s_add_nc_u64 s[0:1], s[8:9], s[0:1]
	global_load_u16 v18, v9, s[0:1]
	s_wait_xcnt 0x0
	ds_load_b32 v9, v0
	s_mov_b32 s1, exec_lo
	s_wait_dscnt 0x0
	v_readfirstlane_b32 s6, v9
	v_cmpx_ge_i32_e64 v0, v15
	s_cbranch_execz .LBB4_19
; %bb.10:
	v_cmp_ge_u32_e64 s0, v0, v8
                                        ; implicit-def: $vgpr30
	s_and_saveexec_b32 s2, s0
	s_delay_alu instid0(SALU_CYCLE_1)
	s_xor_b32 s0, exec_lo, s2
	s_cbranch_execz .LBB4_16
; %bb.11:
	v_cndmask_b32_e64 v9, 0, 1, vcc_lo
	s_mov_b32 s2, exec_lo
	s_delay_alu instid0(VALU_DEP_1) | instskip(NEXT) | instid1(VALU_DEP_1)
	v_sub_nc_u32_e32 v9, v1, v9
	v_cmpx_ge_u32_e64 v0, v9
	s_xor_b32 s2, exec_lo, s2
; %bb.12:
                                        ; implicit-def: $vgpr8
; %bb.13:
	s_delay_alu instid0(SALU_CYCLE_1)
	s_or_saveexec_b32 s2, s2
	v_mov_b32_e32 v30, 16
	s_xor_b32 exec_lo, exec_lo, s2
; %bb.14:
	v_sub_nc_u32_e32 v8, v1, v8
	s_delay_alu instid0(VALU_DEP_1)
	v_cmp_lt_i32_e32 vcc_lo, v0, v8
	v_cndmask_b32_e64 v30, 32, 0, vcc_lo
; %bb.15:
	s_or_b32 exec_lo, exec_lo, s2
.LBB4_16:
	s_and_not1_saveexec_b32 s0, s0
; %bb.17:
	v_mov_b32_e32 v30, 8
; %bb.18:
	s_or_b32 exec_lo, exec_lo, s0
.LBB4_19:
	s_delay_alu instid0(SALU_CYCLE_1) | instskip(NEXT) | instid1(VALU_DEP_1)
	s_or_b32 exec_lo, exec_lo, s1
	v_dual_mov_b32 v19, -1 :: v_dual_bitop2_b32 v8, 36, v30 bitop3:0x40
	s_delay_alu instid0(VALU_DEP_1)
	v_cmp_ne_u32_e32 vcc_lo, 0, v8
	s_and_saveexec_b32 s0, vcc_lo
	s_cbranch_execz .LBB4_21
; %bb.20:
	s_trap 2
	ds_load_b32 v19, v0
.LBB4_21:
	s_or_b32 exec_lo, exec_lo, s0
	v_and_b32_e32 v8, 24, v30
	s_mov_b32 s1, exec_lo
	s_delay_alu instid0(VALU_DEP_1)
	v_cmpx_ne_u32_e32 0, v8
	s_cbranch_execz .LBB4_23
; %bb.22:
	s_trap 2
	s_wait_dscnt 0x0
	ds_load_b32 v19, v0
.LBB4_23:
	s_or_b32 exec_lo, exec_lo, s1
	s_wait_loadcnt 0x1
	v_lshrrev_b64 v[8:9], 31, v[6:7]
	v_mov_b64_e32 v[28:29], 0
	v_mov_b64_e32 v[6:7], 0
                                        ; implicit-def: $vgpr26_vgpr27
                                        ; implicit-def: $vgpr34
                                        ; implicit-def: $vgpr114_vgpr115
                                        ; implicit-def: $vgpr36_vgpr37
                                        ; implicit-def: $vgpr50_vgpr51
                                        ; implicit-def: $vgpr32_vgpr33
	s_delay_alu instid0(VALU_DEP_3)
	v_and_b32_e32 v20, 3, v8
	s_and_saveexec_b32 s0, vcc_lo
	s_cbranch_execz .LBB4_33
; %bb.24:
	s_trap 2
	ds_load_b64 v[6:7], v0
	v_and_b32_e32 v8, 0xffff, v20
	s_mov_b32 s1, exec_lo
                                        ; implicit-def: $vgpr26_vgpr27
	s_wait_dscnt 0x0
	v_readfirstlane_b32 s2, v6
	v_readfirstlane_b32 s3, v7
	flat_load_b64 v[6:7], v19, s[2:3] scale_offset
	s_wait_loadcnt_dscnt 0x0
	v_mad_nc_u64_u32 v[8:9], 0xa8, v8, v[6:7]
	flat_load_b32 v6, v[8:9] offset:640
	s_wait_loadcnt_dscnt 0x0
	v_cmpx_eq_u32_e32 1, v6
	s_cbranch_execz .LBB4_26
; %bb.25:
	flat_load_b64 v[26:27], v[8:9] offset:648
	v_or_b32_e32 v30, 0x2000, v30
	s_wait_loadcnt_dscnt 0x0
	flat_load_b64 v[6:7], v[26:27]
	s_trap 2
	s_wait_loadcnt_dscnt 0x0
	ds_store_b64 v0, v[6:7]
	flat_load_b64 v[6:7], v[26:27] offset:8
	s_wait_loadcnt_dscnt 0x0
	ds_store_b64 v0, v[6:7]
	flat_load_b64 v[6:7], v[26:27] offset:16
	s_wait_loadcnt_dscnt 0x0
	ds_store_b64 v0, v[6:7]
.LBB4_26:
	s_wait_xcnt 0x0
	s_or_b32 exec_lo, exec_lo, s1
	flat_load_b64 v[6:7], v[8:9] offset:608
	s_mov_b32 s1, exec_lo
                                        ; implicit-def: $vgpr32_vgpr33
	s_wait_loadcnt_dscnt 0x0
	v_add_nc_u64_e32 v[114:115], 3, v[6:7]
	v_and_b32_e32 v6, 32, v30
	s_delay_alu instid0(VALU_DEP_2) | instskip(SKIP_1) | instid1(VALU_DEP_2)
	v_and_b32_e32 v114, -4, v114
	s_wait_xcnt 0x0
	v_cmpx_ne_u32_e32 0, v6
	s_cbranch_execz .LBB4_28
; %bb.27:
	flat_load_b64 v[32:33], v[8:9] offset:560
	global_wb scope:SCOPE_SYS
	s_wait_storecnt 0x0
	s_wait_xcnt 0x0
	s_wait_loadcnt_dscnt 0x0
	flat_store_b64 v[32:33], v[114:115] scope:SCOPE_SYS
.LBB4_28:
	s_wait_xcnt 0x0
	s_or_b32 exec_lo, exec_lo, s1
	v_add_nc_u64_e32 v[28:29], 0x1f8, v[8:9]
	v_mov_b64_e32 v[6:7], 0
	v_and_b32_e32 v21, 4, v30
	s_mov_b32 s1, exec_lo
                                        ; implicit-def: $vgpr34
                                        ; implicit-def: $vgpr36_vgpr37
                                        ; implicit-def: $vgpr50_vgpr51
	s_delay_alu instid0(VALU_DEP_1)
	v_cmpx_ne_u32_e32 0, v21
	s_cbranch_execz .LBB4_32
; %bb.29:
	v_and_b32_e32 v6, 0x800, v30
	s_mov_b32 s2, exec_lo
	s_delay_alu instid0(VALU_DEP_1)
	v_cmpx_eq_u32_e32 0, v6
	s_cbranch_execz .LBB4_31
; %bb.30:
	s_trap 2
	ds_store_b64 v0, v[28:29]
.LBB4_31:
	s_or_b32 exec_lo, exec_lo, s2
	flat_load_b64 v[32:33], v[8:9] offset:552
	s_wait_loadcnt_dscnt 0x0
	flat_load_b64 v[50:51], v[32:33] scope:SCOPE_SYS
	s_clause 0x2
	flat_load_b32 v21, v[8:9] offset:576
	flat_load_b64 v[6:7], v[8:9] offset:600
	flat_load_b64 v[36:37], v[8:9] offset:520
	s_wait_xcnt 0x0
	v_or_b32_e32 v8, 0x100, v30
	s_wait_loadcnt_dscnt 0x101
	v_cmp_eq_u64_e32 vcc_lo, 0, v[6:7]
	s_delay_alu instid0(VALU_DEP_2)
	v_dual_ashrrev_i32 v34, 1, v21 :: v_dual_cndmask_b32 v30, v8, v30, vcc_lo
.LBB4_32:
	s_or_b32 exec_lo, exec_lo, s1
.LBB4_33:
	s_delay_alu instid0(SALU_CYCLE_1) | instskip(NEXT) | instid1(VALU_DEP_1)
	s_or_b32 exec_lo, exec_lo, s0
	v_and_b32_e32 v8, 24, v30
	s_mov_b32 s0, exec_lo
                                        ; implicit-def: $vgpr38_vgpr39
	s_delay_alu instid0(VALU_DEP_1)
	v_cmpx_ne_u32_e32 0, v8
	s_cbranch_execz .LBB4_41
; %bb.34:
	s_trap 2
	ds_load_b64 v[6:7], v0
	v_and_b32_e32 v8, 0xffff, v20
	s_mov_b32 s1, exec_lo
                                        ; implicit-def: $vgpr38_vgpr39
	s_wait_dscnt 0x0
	v_readfirstlane_b32 s2, v6
	v_readfirstlane_b32 s3, v7
	flat_load_b64 v[6:7], v19, s[2:3] scale_offset
	s_wait_xcnt 0x0
	v_or_b32_e32 v19, 0x100, v30
	s_wait_loadcnt_dscnt 0x0
	v_mad_nc_u64_u32 v[28:29], 0xa8, v8, v[6:7]
	flat_load_b128 v[6:9], v[28:29] offset:96
	s_wait_loadcnt_dscnt 0x0
	v_cmp_eq_u64_e32 vcc_lo, 0, v[6:7]
	v_cndmask_b32_e32 v30, v19, v30, vcc_lo
	s_delay_alu instid0(VALU_DEP_1) | instskip(SKIP_1) | instid1(VALU_DEP_1)
	v_and_b32_e32 v19, 16, v30
	s_wait_xcnt 0x0
	v_cmpx_ne_u32_e32 0, v19
	s_cbranch_execz .LBB4_36
; %bb.35:
	s_clause 0x2
	flat_load_b64 v[32:33], v[28:29] offset:48
	flat_load_b64 v[38:39], v[28:29] offset:120
	flat_load_b64 v[36:37], v[28:29] offset:16
.LBB4_36:
	s_wait_xcnt 0x0
	s_or_b32 exec_lo, exec_lo, s1
	v_add_nc_u64_e32 v[114:115], 3, v[8:9]
	v_and_b32_e32 v8, 8, v30
	s_mov_b32 s1, exec_lo
	s_delay_alu instid0(VALU_DEP_2) | instskip(NEXT) | instid1(VALU_DEP_2)
	v_and_b32_e32 v114, -4, v114
	v_cmpx_ne_u32_e32 0, v8
	s_cbranch_execz .LBB4_40
; %bb.37:
	v_and_b32_e32 v8, 0x800, v30
	s_mov_b32 s2, exec_lo
	s_delay_alu instid0(VALU_DEP_1)
	v_cmpx_eq_u32_e32 0, v8
	s_cbranch_execz .LBB4_39
; %bb.38:
	s_trap 2
	ds_store_b64 v0, v[28:29]
.LBB4_39:
	s_or_b32 exec_lo, exec_lo, s2
	s_wait_loadcnt_dscnt 0x202
	flat_load_b64 v[32:33], v[28:29] offset:56
	s_wait_loadcnt_dscnt 0x0
	flat_load_b64 v[50:51], v[32:33] scope:SCOPE_SYS
	s_clause 0x1
	flat_load_b32 v8, v[28:29] offset:72
	flat_load_b64 v[36:37], v[28:29] offset:16
	s_wait_loadcnt_dscnt 0x101
	v_ashrrev_i32_e32 v34, 1, v8
.LBB4_40:
	s_wait_xcnt 0x0
	s_or_b32 exec_lo, exec_lo, s1
.LBB4_41:
	s_delay_alu instid0(SALU_CYCLE_1)
	s_or_b32 exec_lo, exec_lo, s0
	v_cmp_eq_u32_e64 s0, 0, v0
	s_and_saveexec_b32 s1, s0
	s_cbranch_execz .LBB4_43
; %bb.42:
	flat_load_b64 v[8:9], v[2:3] offset:32
	ds_store_2addr_b64 v0, v[12:13], v[10:11] offset1:1
	s_trap 2
	s_wait_loadcnt_dscnt 0x1
	ds_store_b64 v0, v[8:9]
	ds_store_b64 v0, v[16:17]
.LBB4_43:
	s_wait_xcnt 0x0
	s_or_b32 exec_lo, exec_lo, s1
	v_mov_b64_e32 v[48:49], 0
	s_wait_loadcnt 0x0
	v_and_b32_e32 v72, 0xffff, v18
	s_mov_b32 s43, exec_lo
	v_cmpx_lt_i64_e32 0, v[4:5]
	s_cbranch_execz .LBB4_2240
; %bb.44:
	flat_load_b32 v8, v[2:3] offset:4
	s_wait_xcnt 0x0
	v_dual_mov_b32 v3, 0 :: v_dual_bitop2_b32 v9, 31, v31 bitop3:0x40
	v_dual_ashrrev_i32 v10, 31, v0 :: v_dual_lshlrev_b32 v64, 4, v0
	s_ashr_i32 s7, s6, 31
	v_and_b32_e32 v2, 0x1fffff00, v14
	s_lshr_b32 s7, s7, 29
	v_dual_ashrrev_i32 v35, 31, v34 :: v_dual_lshrrev_b32 v52, 5, v1
	s_add_co_i32 s7, s6, s7
	v_cmp_eq_u32_e64 s6, 0, v9
	v_dual_mov_b32 v53, v3 :: v_dual_lshrrev_b32 v9, 27, v10
	s_ashr_i32 s17, s16, 31
	v_lshl_add_u32 v80, v52, 8, 0xffffff00
	v_mul_u64_e32 v[68:69], s[16:17], v[2:3]
	v_lshlrev_b32_e32 v77, 6, v52
	v_mov_b64_e32 v[112:113], v[2:3]
	s_delay_alu instid0(VALU_DEP_4) | instskip(SKIP_3) | instid1(VALU_DEP_2)
	v_dual_add_nc_u32 v2, v0, v9 :: v_dual_ashrrev_i32 v81, 31, v80
	s_add_co_i32 s44, s16, s16
	s_not_b32 s10, s16
	v_dual_mov_b32 v75, 0x88 :: v_dual_lshlrev_b32 v76, 9, v52
	v_ashrrev_i32_e32 v78, 5, v2
	v_and_b32_e32 v2, 0xffffffe0, v2
	s_ashr_i32 s11, s7, 4
	s_cmp_gt_i32 s16, 0
	v_cmp_ge_i32_e32 vcc_lo, v0, v1
	s_cselect_b32 s10, s10, -1
	v_sub_nc_u32_e32 v0, v0, v2
	s_ashr_i32 s7, s7, 31
	v_lshl_add_u32 v70, v52, 10, 0xfffffc00
	v_add_nc_u32_e32 v82, 0xfffffe00, v76
	v_subrev_nc_u32_e32 v84, 64, v77
	s_lshr_b32 s7, s7, 28
	s_add_co_i32 s24, s10, s44
	s_add_co_i32 s11, s11, s7
	s_ashr_i32 s25, s24, 31
	s_ashr_i32 s45, s11, 4
	v_dual_ashrrev_i32 v65, 31, v64 :: v_dual_ashrrev_i32 v71, 31, v70
	v_dual_ashrrev_i32 v83, 31, v82 :: v_dual_ashrrev_i32 v85, 31, v84
	s_cmp_gt_i32 s16, 2
	v_mov_b64_e32 v[54:55], 0
	s_cselect_b32 s46, -1, 0
	s_add_co_i32 s13, s16, 1
	s_add_co_i32 s47, s33, 0xc0
	s_add_co_i32 s56, s33, 0xa0
	s_add_co_i32 s57, s33, 0xc0
	s_add_co_i32 s58, s33, 0xa0
	s_add_co_i32 s59, s33, 0xc0
	s_add_co_i32 s60, s33, 0xa0
	s_add_co_i32 s61, s33, 0xc0
	s_add_co_i32 s62, s33, 0xa0
	s_add_co_i32 s63, s33, 0xc0
	s_add_co_i32 s72, s33, 0xa0
	s_add_co_i32 s73, s33, 0xc0
	s_add_co_i32 s74, s33, 0xa0
	s_wait_dscnt 0x2
	v_cmp_eq_u64_e64 s4, 0, v[38:39]
	v_cmp_ne_u64_e64 s5, 0, v[38:39]
	v_mov_b64_e32 v[66:67], 0
	v_mov_b64_e32 v[48:49], 0
	v_add_nc_u64_e32 v[86:87], 0x400, v[70:71]
	v_add_nc_u64_e32 v[96:97], 0x100, v[80:81]
	;; [unrolled: 1-line block ×4, first 2 shown]
	v_cmp_eq_u32_e64 s1, 32, v1
	v_cmp_ne_u32_e64 s2, 32, v1
	v_cmp_ne_u32_e64 s3, v1, v72
	v_dual_mov_b32 v73, 1 :: v_dual_mov_b32 v74, 0x90
	s_mov_b32 s19, 0
	s_mov_b64 s[20:21], 0xffffffff
	s_add_nc_u64 s[22:23], s[16:17], -1
	s_mov_b32 s79, 0
	s_trap 2
	s_wait_loadcnt_dscnt 0x0
	v_dual_sub_nc_u32 v79, 0, v78 :: v_dual_bitop2_b32 v2, 1, v8 bitop3:0x40
	v_lshlrev_b32_e32 v8, 4, v0
	v_cmp_gt_i32_e64 s10, 1, v0
	v_cmp_lt_i32_e64 s11, v0, v15
	v_cmp_le_i32_e64 s12, v0, v15
	v_cmp_eq_u32_e64 s7, 1, v2
	v_lshl_add_u32 v102, v78, 10, v8
	s_xor_b32 s75, s7, -1
	s_cmp_ge_i32 s13, s16
	s_delay_alu instid0(VALU_DEP_1)
	v_ashrrev_i32_e32 v103, 31, v102
	s_cselect_b32 s14, s16, 0
	s_add_co_i32 s76, s16, -2
	s_sub_co_i32 s28, s13, s14
	s_xor_b32 s77, vcc_lo, -1
	s_ashr_i32 s26, s17, 31
	s_sub_co_i32 s78, 0, s16
	s_ashr_i32 s29, s28, 31
	s_branch .LBB4_47
.LBB4_45:                               ;   in Loop: Header=BB4_47 Depth=1
	s_or_b32 exec_lo, exec_lo, s15
.LBB4_46:                               ;   in Loop: Header=BB4_47 Depth=1
	s_delay_alu instid0(SALU_CYCLE_1) | instskip(SKIP_1) | instid1(VALU_DEP_1)
	s_or_b32 exec_lo, exec_lo, s14
	v_add_nc_u64_e32 v[66:67], v[66:67], v[68:69]
	v_cmp_ge_i64_e32 vcc_lo, v[66:67], v[4:5]
	s_or_b32 s79, vcc_lo, s79
	s_delay_alu instid0(SALU_CYCLE_1)
	s_and_not1_b32 exec_lo, exec_lo, s79
	s_cbranch_execz .LBB4_2239
.LBB4_47:                               ; =>This Loop Header: Depth=1
                                        ;     Child Loop BB4_57 Depth 2
                                        ;       Child Loop BB4_65 Depth 3
                                        ;       Child Loop BB4_89 Depth 3
	;; [unrolled: 1-line block ×9, first 2 shown]
                                        ;     Child Loop BB4_230 Depth 2
                                        ;       Child Loop BB4_236 Depth 3
                                        ;       Child Loop BB4_260 Depth 3
	;; [unrolled: 1-line block ×3, first 2 shown]
                                        ;     Child Loop BB4_304 Depth 2
                                        ;       Child Loop BB4_307 Depth 3
                                        ;         Child Loop BB4_315 Depth 4
                                        ;         Child Loop BB4_343 Depth 4
	;; [unrolled: 1-line block ×4, first 2 shown]
                                        ;           Child Loop BB4_392 Depth 5
                                        ;           Child Loop BB4_429 Depth 5
                                        ;         Child Loop BB4_504 Depth 4
                                        ;           Child Loop BB4_505 Depth 5
                                        ;           Child Loop BB4_542 Depth 5
                                        ;         Child Loop BB4_619 Depth 4
                                        ;         Child Loop BB4_678 Depth 4
                                        ;           Child Loop BB4_679 Depth 5
                                        ;           Child Loop BB4_688 Depth 5
                                        ;         Child Loop BB4_707 Depth 4
                                        ;         Child Loop BB4_726 Depth 4
                                        ;       Child Loop BB4_745 Depth 3
                                        ;         Child Loop BB4_751 Depth 4
                                        ;         Child Loop BB4_779 Depth 4
	;; [unrolled: 1-line block ×3, first 2 shown]
                                        ;     Child Loop BB4_820 Depth 2
                                        ;       Child Loop BB4_828 Depth 3
                                        ;       Child Loop BB4_856 Depth 3
	;; [unrolled: 1-line block ×4, first 2 shown]
                                        ;         Child Loop BB4_899 Depth 4
                                        ;         Child Loop BB4_934 Depth 4
	;; [unrolled: 1-line block ×4, first 2 shown]
                                        ;       Child Loop BB4_1013 Depth 3
                                        ;       Child Loop BB4_1018 Depth 3
                                        ;         Child Loop BB4_1019 Depth 4
                                        ;         Child Loop BB4_1054 Depth 4
                                        ;         Child Loop BB4_1058 Depth 4
                                        ;         Child Loop BB4_1092 Depth 4
                                        ;       Child Loop BB4_1130 Depth 3
                                        ;       Child Loop BB4_1138 Depth 3
	;; [unrolled: 1-line block ×3, first 2 shown]
                                        ;         Child Loop BB4_1200 Depth 4
                                        ;         Child Loop BB4_1207 Depth 4
	;; [unrolled: 1-line block ×4, first 2 shown]
                                        ;       Child Loop BB4_1226 Depth 3
                                        ;       Child Loop BB4_1238 Depth 3
                                        ;         Child Loop BB4_1239 Depth 4
                                        ;         Child Loop BB4_1276 Depth 4
                                        ;       Child Loop BB4_1353 Depth 3
                                        ;         Child Loop BB4_1354 Depth 4
                                        ;         Child Loop BB4_1391 Depth 4
                                        ;       Child Loop BB4_1468 Depth 3
                                        ;       Child Loop BB4_1527 Depth 3
                                        ;         Child Loop BB4_1528 Depth 4
                                        ;         Child Loop BB4_1537 Depth 4
                                        ;       Child Loop BB4_1556 Depth 3
                                        ;       Child Loop BB4_1579 Depth 3
                                        ;     Child Loop BB4_1598 Depth 2
                                        ;       Child Loop BB4_1604 Depth 3
                                        ;       Child Loop BB4_1632 Depth 3
	;; [unrolled: 1-line block ×3, first 2 shown]
                                        ;     Child Loop BB4_1673 Depth 2
                                        ;       Child Loop BB4_1676 Depth 3
                                        ;         Child Loop BB4_1684 Depth 4
                                        ;         Child Loop BB4_1712 Depth 4
	;; [unrolled: 1-line block ×4, first 2 shown]
                                        ;           Child Loop BB4_1756 Depth 5
                                        ;           Child Loop BB4_1761 Depth 5
                                        ;         Child Loop BB4_1774 Depth 4
                                        ;         Child Loop BB4_1779 Depth 4
                                        ;           Child Loop BB4_1781 Depth 5
                                        ;           Child Loop BB4_1786 Depth 5
                                        ;         Child Loop BB4_1792 Depth 4
                                        ;         Child Loop BB4_1800 Depth 4
	;; [unrolled: 1-line block ×3, first 2 shown]
                                        ;           Child Loop BB4_1812 Depth 5
                                        ;           Child Loop BB4_1817 Depth 5
                                        ;         Child Loop BB4_1821 Depth 4
                                        ;         Child Loop BB4_1833 Depth 4
	;; [unrolled: 1-line block ×7, first 2 shown]
                                        ;       Child Loop BB4_1926 Depth 3
                                        ;         Child Loop BB4_1932 Depth 4
                                        ;         Child Loop BB4_1960 Depth 4
	;; [unrolled: 1-line block ×3, first 2 shown]
                                        ;     Child Loop BB4_2004 Depth 2
                                        ;       Child Loop BB4_2012 Depth 3
                                        ;       Child Loop BB4_2036 Depth 3
	;; [unrolled: 1-line block ×9, first 2 shown]
                                        ;     Child Loop BB4_2173 Depth 2
                                        ;       Child Loop BB4_2179 Depth 3
                                        ;       Child Loop BB4_2203 Depth 3
	;; [unrolled: 1-line block ×3, first 2 shown]
	v_sub_nc_u64_e32 v[116:117], v[4:5], v[66:67]
	s_mov_b32 s40, exec_lo
	s_delay_alu instid0(VALU_DEP_1)
	v_cmpx_lt_i64_e64 v[116:117], v[68:69]
	s_cbranch_execz .LBB4_53
; %bb.48:                               ;   in Loop: Header=BB4_47 Depth=1
	v_add_nc_u64_e32 v[8:9], s[22:23], v[116:117]
	s_delay_alu instid0(VALU_DEP_1) | instskip(NEXT) | instid1(VALU_DEP_1)
	v_dual_mov_b32 v10, v3 :: v_dual_bitop2_b32 v11, s17, v9 bitop3:0x54
	v_cmp_ne_u64_e32 vcc_lo, 0, v[10:11]
                                        ; implicit-def: $vgpr10_vgpr11
	s_and_saveexec_b32 s13, vcc_lo
	s_delay_alu instid0(SALU_CYCLE_1)
	s_xor_b32 s41, exec_lo, s13
	s_cbranch_execz .LBB4_50
; %bb.49:                               ;   in Loop: Header=BB4_47 Depth=1
	s_mov_b32 s27, s26
	v_dual_mov_b32 v15, v3 :: v_dual_ashrrev_i32 v10, 31, v9
	s_add_nc_u64 s[14:15], s[16:17], s[26:27]
	v_mov_b32_e32 v19, v3
	s_xor_b64 s[14:15], s[14:15], s[26:27]
	s_delay_alu instid0(VALU_DEP_2) | instskip(SKIP_3) | instid1(VALU_DEP_1)
	v_mov_b32_e32 v11, v10
	s_cvt_f32_u32 s13, s14
	s_cvt_f32_u32 s18, s15
	s_sub_nc_u64 s[90:91], 0, s[14:15]
	v_add_nc_u64_e32 v[8:9], v[8:9], v[10:11]
	s_delay_alu instid0(SALU_CYCLE_1) | instskip(NEXT) | instid1(SALU_CYCLE_3)
	s_fmamk_f32 s13, s18, 0x4f800000, s13
	v_s_rcp_f32 s13, s13
	s_delay_alu instid0(VALU_DEP_1) | instskip(NEXT) | instid1(VALU_DEP_2)
	v_xor_b32_e32 v2, v8, v10
	v_xor_b32_e32 v14, v9, v10
	;; [unrolled: 1-line block ×3, first 2 shown]
	s_delay_alu instid0(TRANS32_DEP_1) | instskip(NEXT) | instid1(SALU_CYCLE_3)
	s_mul_f32 s13, s13, 0x5f7ffffc
	s_mul_f32 s18, s13, 0x2f800000
	s_delay_alu instid0(SALU_CYCLE_3) | instskip(NEXT) | instid1(SALU_CYCLE_3)
	s_trunc_f32 s18, s18
	s_fmamk_f32 s13, s18, 0xcf800000, s13
	s_cvt_u32_f32 s89, s18
	s_delay_alu instid0(SALU_CYCLE_2) | instskip(NEXT) | instid1(SALU_CYCLE_3)
	s_cvt_u32_f32 s88, s13
	s_mul_u64 s[92:93], s[90:91], s[88:89]
	s_delay_alu instid0(SALU_CYCLE_1)
	s_mul_hi_u32 s95, s88, s93
	s_mul_i32 s94, s88, s93
	s_mul_hi_u32 s18, s88, s92
	s_mul_i32 s27, s89, s92
	s_add_nc_u64 s[94:95], s[18:19], s[94:95]
	s_mul_hi_u32 s13, s89, s92
	s_mul_hi_u32 vcc_lo, s89, s93
	s_add_co_u32 s18, s94, s27
	s_add_co_ci_u32 s18, s95, s13
	s_mul_i32 s92, s89, s93
	s_add_co_ci_u32 s93, vcc_lo, 0
	s_delay_alu instid0(SALU_CYCLE_1) | instskip(NEXT) | instid1(SALU_CYCLE_1)
	s_add_nc_u64 s[92:93], s[18:19], s[92:93]
	s_add_co_u32 s88, s88, s92
	s_cselect_b32 s13, -1, 0
	s_delay_alu instid0(SALU_CYCLE_1) | instskip(SKIP_1) | instid1(SALU_CYCLE_1)
	s_cmp_lg_u32 s13, 0
	s_add_co_ci_u32 s89, s89, s93
	s_mul_u64 s[90:91], s[90:91], s[88:89]
	s_delay_alu instid0(SALU_CYCLE_1)
	s_mul_hi_u32 s93, s88, s91
	s_mul_i32 s92, s88, s91
	s_mul_hi_u32 s18, s88, s90
	s_mul_i32 s27, s89, s90
	s_add_nc_u64 s[92:93], s[18:19], s[92:93]
	s_mul_hi_u32 s13, s89, s90
	s_mul_hi_u32 s94, s89, s91
	s_add_co_u32 s18, s92, s27
	s_add_co_ci_u32 s18, s93, s13
	s_mul_i32 s90, s89, s91
	s_add_co_ci_u32 s91, s94, 0
	s_delay_alu instid0(SALU_CYCLE_1) | instskip(NEXT) | instid1(SALU_CYCLE_1)
	s_add_nc_u64 s[90:91], s[18:19], s[90:91]
	s_add_co_u32 s88, s88, s90
	s_cselect_b32 s13, -1, 0
	v_mul_hi_u32 v18, v2, s88
	s_cmp_lg_u32 s13, 0
	s_add_co_ci_u32 s18, s89, s91
	s_and_b64 s[90:91], s[88:89], s[20:21]
	v_mul_u64_e32 v[12:13], s[18:19], v[2:3]
	v_mul_u64_e32 v[8:9], s[90:91], v[14:15]
	;; [unrolled: 1-line block ×3, first 2 shown]
	s_delay_alu instid0(VALU_DEP_3) | instskip(NEXT) | instid1(VALU_DEP_1)
	v_add_nc_u64_e32 v[12:13], v[18:19], v[12:13]
	v_add_co_u32 v8, vcc_lo, v12, v8
	s_delay_alu instid0(VALU_DEP_2) | instskip(NEXT) | instid1(VALU_DEP_4)
	v_add_co_ci_u32_e32 v18, vcc_lo, v13, v9, vcc_lo
	v_add_co_ci_u32_e32 v17, vcc_lo, 0, v17, vcc_lo
	s_delay_alu instid0(VALU_DEP_1) | instskip(NEXT) | instid1(VALU_DEP_1)
	v_add_nc_u64_e32 v[8:9], v[18:19], v[16:17]
	v_mul_u64_e32 v[12:13], s[14:15], v[8:9]
	s_delay_alu instid0(VALU_DEP_1) | instskip(NEXT) | instid1(VALU_DEP_2)
	v_sub_nc_u32_e32 v11, v14, v13
	v_sub_co_u32 v2, vcc_lo, v2, v12
	s_delay_alu instid0(VALU_DEP_1) | instskip(NEXT) | instid1(VALU_DEP_3)
	v_sub_co_ci_u32_e64 v16, null, v14, v13, vcc_lo
	v_subrev_co_ci_u32_e64 v11, null, s15, v11, vcc_lo
	s_delay_alu instid0(VALU_DEP_3) | instskip(SKIP_1) | instid1(VALU_DEP_3)
	v_sub_co_u32 v12, s13, v2, s14
	v_add_nc_u64_e32 v[14:15], 1, v[8:9]
	v_subrev_co_ci_u32_e64 v11, null, 0, v11, s13
	s_delay_alu instid0(VALU_DEP_3) | instskip(SKIP_1) | instid1(VALU_DEP_3)
	v_cmp_le_u32_e32 vcc_lo, s14, v12
	v_cndmask_b32_e64 v12, 0, -1, vcc_lo
	v_cmp_le_u32_e32 vcc_lo, s15, v11
	v_cndmask_b32_e64 v13, 0, -1, vcc_lo
	;; [unrolled: 2-line block ×4, first 2 shown]
	v_cmp_eq_u32_e32 vcc_lo, s15, v11
	v_cndmask_b32_e32 v11, v13, v12, vcc_lo
	v_cmp_eq_u32_e32 vcc_lo, s15, v16
	v_add_nc_u64_e32 v[12:13], 2, v[8:9]
	v_cndmask_b32_e32 v2, v17, v2, vcc_lo
	s_delay_alu instid0(VALU_DEP_4) | instskip(NEXT) | instid1(VALU_DEP_2)
	v_cmp_ne_u32_e32 vcc_lo, 0, v11
	v_cmp_ne_u32_e64 s13, 0, v2
	s_delay_alu instid0(VALU_DEP_4) | instskip(NEXT) | instid1(VALU_DEP_1)
	v_dual_cndmask_b32 v11, v15, v13 :: v_dual_cndmask_b32 v2, v14, v12
	v_dual_cndmask_b32 v9, v9, v11, s13 :: v_dual_cndmask_b32 v2, v8, v2, s13
	s_delay_alu instid0(VALU_DEP_1) | instskip(NEXT) | instid1(VALU_DEP_2)
	v_dual_mov_b32 v11, v10 :: v_dual_bitop2_b32 v9, v9, v10 bitop3:0x14
	v_xor_b32_e32 v8, v2, v10
	s_delay_alu instid0(VALU_DEP_1)
	v_sub_nc_u64_e32 v[10:11], v[8:9], v[10:11]
                                        ; implicit-def: $vgpr8_vgpr9
.LBB4_50:                               ;   in Loop: Header=BB4_47 Depth=1
	s_and_not1_saveexec_b32 s13, s41
	s_cbranch_execz .LBB4_52
; %bb.51:                               ;   in Loop: Header=BB4_47 Depth=1
	v_cvt_f32_u32_e32 v2, s16
	s_delay_alu instid0(VALU_DEP_1) | instskip(SKIP_1) | instid1(TRANS32_DEP_1)
	v_rcp_iflag_f32_e32 v2, v2
	v_nop
	v_mul_f32_e32 v2, 0x4f7ffffe, v2
	s_delay_alu instid0(VALU_DEP_1) | instskip(NEXT) | instid1(VALU_DEP_1)
	v_cvt_u32_f32_e32 v2, v2
	v_mul_lo_u32 v9, s78, v2
	s_delay_alu instid0(VALU_DEP_1) | instskip(NEXT) | instid1(VALU_DEP_1)
	v_mul_hi_u32 v9, v2, v9
	v_add_nc_u32_e32 v2, v2, v9
	s_delay_alu instid0(VALU_DEP_1) | instskip(NEXT) | instid1(VALU_DEP_1)
	v_mul_hi_u32 v2, v8, v2
	v_mul_lo_u32 v9, v2, s16
	s_delay_alu instid0(VALU_DEP_1) | instskip(NEXT) | instid1(VALU_DEP_1)
	v_dual_sub_nc_u32 v8, v8, v9 :: v_dual_add_nc_u32 v9, 1, v2
	v_subrev_nc_u32_e32 v10, s16, v8
	v_cmp_le_u32_e32 vcc_lo, s16, v8
	s_delay_alu instid0(VALU_DEP_2) | instskip(NEXT) | instid1(VALU_DEP_1)
	v_dual_cndmask_b32 v8, v8, v10, vcc_lo :: v_dual_cndmask_b32 v2, v2, v9, vcc_lo
	v_cmp_le_u32_e32 vcc_lo, s16, v8
	s_delay_alu instid0(VALU_DEP_2) | instskip(NEXT) | instid1(VALU_DEP_1)
	v_add_nc_u32_e32 v9, 1, v2
	v_cndmask_b32_e32 v2, v2, v9, vcc_lo
	s_delay_alu instid0(VALU_DEP_1)
	v_mov_b64_e32 v[10:11], v[2:3]
.LBB4_52:                               ;   in Loop: Header=BB4_47 Depth=1
	s_or_b32 exec_lo, exec_lo, s13
	s_delay_alu instid0(VALU_DEP_1) | instskip(NEXT) | instid1(VALU_DEP_1)
	v_add_nc_u64_e32 v[112:113], 7, v[10:11]
	v_and_b32_e32 v112, -8, v112
.LBB4_53:                               ;   in Loop: Header=BB4_47 Depth=1
	s_or_b32 exec_lo, exec_lo, s40
	s_wait_dscnt 0x0
	s_delay_alu instid0(VALU_DEP_1) | instskip(SKIP_2) | instid1(VALU_DEP_3)
	v_mul_u64_e32 v[44:45], s[24:25], v[112:113]
	v_add_nc_u64_e32 v[118:119], v[66:67], v[24:25]
	v_mov_b32_e32 v42, 0
	v_sub_nc_u64_e32 v[8:9], v[116:117], v[44:45]
	s_delay_alu instid0(VALU_DEP_1) | instskip(NEXT) | instid1(VALU_DEP_1)
	v_min_i64 v[8:9], v[112:113], v[8:9]
	v_max_i32_e32 v88, 0, v8
	v_cmp_lt_i32_e32 vcc_lo, 0, v8
	s_delay_alu instid0(VALU_DEP_2) | instskip(SKIP_1) | instid1(VALU_DEP_1)
	v_add_nc_u32_e32 v2, 31, v88
	s_and_b32 s13, s77, vcc_lo
	v_lshrrev_b32_e32 v2, 1, v2
	s_delay_alu instid0(VALU_DEP_1) | instskip(NEXT) | instid1(VALU_DEP_1)
	v_and_b32_e32 v9, 0x3ffffff0, v2
	v_dual_mov_b32 v2, 0 :: v_dual_max_i32 v40, s45, v9
	s_and_saveexec_b32 s14, s13
	s_cbranch_execz .LBB4_226
; %bb.54:                               ;   in Loop: Header=BB4_47 Depth=1
	v_mov_b32_e32 v42, 0
	s_mov_b32 s27, 1
	s_mov_b32 s18, -1
	s_mov_b32 s15, 0
	s_branch .LBB4_57
.LBB4_55:                               ;   in Loop: Header=BB4_57 Depth=2
	s_wait_xcnt 0x0
	s_or_b32 exec_lo, exec_lo, s40
	v_add_nc_u64_e32 v[114:115], 2, v[114:115]
	global_wb scope:SCOPE_SYS
	s_wait_storecnt 0x0
	s_wait_loadcnt_dscnt 0x0
	flat_store_b64 v[32:33], v[114:115] scope:SCOPE_SYS
.LBB4_56:                               ;   in Loop: Header=BB4_57 Depth=2
	s_wait_xcnt 0x0
	s_or_b32 exec_lo, exec_lo, s13
	v_dual_add_nc_u32 v42, v40, v42 :: v_dual_mov_b32 v2, s27
	s_xor_b32 s13, s18, -1
	s_mov_b32 s18, 0
	s_mov_b32 s27, 2
	s_delay_alu instid0(VALU_DEP_1) | instskip(SKIP_1) | instid1(SALU_CYCLE_1)
	v_cmp_ge_i32_e32 vcc_lo, v42, v88
	s_or_b32 s13, s13, vcc_lo
	s_and_b32 s13, exec_lo, s13
	s_delay_alu instid0(SALU_CYCLE_1) | instskip(NEXT) | instid1(SALU_CYCLE_1)
	s_or_b32 s15, s13, s15
	s_and_not1_b32 exec_lo, exec_lo, s15
	s_cbranch_execz .LBB4_225
.LBB4_57:                               ;   Parent Loop BB4_47 Depth=1
                                        ; =>  This Loop Header: Depth=2
                                        ;       Child Loop BB4_65 Depth 3
                                        ;       Child Loop BB4_89 Depth 3
	;; [unrolled: 1-line block ×9, first 2 shown]
	s_and_saveexec_b32 s13, s0
	s_cbranch_execz .LBB4_59
; %bb.58:                               ;   in Loop: Header=BB4_57 Depth=2
	s_trap 2
	ds_load_b64 v[8:9], v0
	v_ashrrev_i32_e32 v43, 31, v42
	s_wait_dscnt 0x0
	v_lshl_add_u64 v[8:9], v[118:119], 1, v[8:9]
	s_delay_alu instid0(VALU_DEP_1) | instskip(NEXT) | instid1(VALU_DEP_1)
	v_lshl_add_u64 v[8:9], v[44:45], 1, v[8:9]
	v_lshl_add_u64 v[8:9], v[42:43], 1, v[8:9]
	ds_store_b64 v0, v[8:9]
	ds_store_b64 v0, v[54:55]
.LBB4_59:                               ;   in Loop: Header=BB4_57 Depth=2
	s_or_b32 exec_lo, exec_lo, s13
	v_sub_nc_u32_e32 v2, v88, v42
	v_and_b32_e32 v8, 8, v30
	s_mov_b32 s40, exec_lo
	s_delay_alu instid0(VALU_DEP_2) | instskip(NEXT) | instid1(VALU_DEP_2)
	v_min_i32_e32 v40, v40, v2
	v_cmpx_ne_u32_e32 0, v8
	s_cbranch_execz .LBB4_81
; %bb.60:                               ;   in Loop: Header=BB4_57 Depth=2
	s_wait_loadcnt 0x0
	v_add_nc_u64_e32 v[10:11], 8, v[50:51]
	v_add_nc_u64_e32 v[8:9], 2, v[114:115]
	s_mov_b32 s41, exec_lo
	s_delay_alu instid0(VALU_DEP_1)
	v_cmpx_lt_u64_e64 v[10:11], v[8:9]
	s_cbranch_execz .LBB4_72
; %bb.61:                               ;   in Loop: Header=BB4_57 Depth=2
	v_and_b32_e32 v2, 64, v30
	s_mov_b32 s88, 0
	s_mov_b32 s92, 0
                                        ; implicit-def: $sgpr89
                                        ; implicit-def: $sgpr90
                                        ; implicit-def: $sgpr91
	s_delay_alu instid0(VALU_DEP_1)
	v_cmp_eq_u32_e32 vcc_lo, 0, v2
	s_branch .LBB4_65
.LBB4_62:                               ;   in Loop: Header=BB4_65 Depth=3
	s_wait_loadcnt_dscnt 0x0
	v_add_nc_u64_e32 v[10:11], 8, v[50:51]
	s_or_b32 s95, s95, exec_lo
	s_delay_alu instid0(VALU_DEP_1)
	v_cmp_ge_u64_e64 s13, v[10:11], v[8:9]
	s_or_not1_b32 s94, s13, exec_lo
.LBB4_63:                               ;   in Loop: Header=BB4_65 Depth=3
	s_or_b32 exec_lo, exec_lo, s30
	s_delay_alu instid0(SALU_CYCLE_1)
	s_and_not1_b32 s13, s91, exec_lo
	s_and_b32 s91, s95, exec_lo
	s_and_not1_b32 s90, s90, exec_lo
	s_and_b32 s94, s94, exec_lo
	s_or_b32 s91, s13, s91
	s_or_b32 s90, s90, s94
.LBB4_64:                               ;   in Loop: Header=BB4_65 Depth=3
	s_or_b32 exec_lo, exec_lo, s93
	s_delay_alu instid0(SALU_CYCLE_1) | instskip(NEXT) | instid1(SALU_CYCLE_1)
	s_and_b32 s13, exec_lo, s90
	s_or_b32 s88, s13, s88
	s_and_not1_b32 s13, s89, exec_lo
	s_and_b32 s89, s91, exec_lo
	s_delay_alu instid0(SALU_CYCLE_1)
	s_or_b32 s89, s13, s89
	s_and_not1_b32 exec_lo, exec_lo, s88
	s_cbranch_execz .LBB4_69
.LBB4_65:                               ;   Parent Loop BB4_47 Depth=1
                                        ;     Parent Loop BB4_57 Depth=2
                                        ; =>    This Inner Loop Header: Depth=3
	s_sleep 1
	s_wait_loadcnt_dscnt 0x0
	flat_load_b64 v[50:51], v[32:33] scope:SCOPE_SYS
	s_or_b32 s91, s91, exec_lo
	s_or_b32 s90, s90, exec_lo
                                        ; implicit-def: $vgpr2
	s_wait_xcnt 0x0
	s_and_saveexec_b32 s93, vcc_lo
	s_cbranch_execz .LBB4_64
; %bb.66:                               ;   in Loop: Header=BB4_65 Depth=3
	s_cmp_lt_i32 s92, 0x270f
	s_mov_b32 s94, -1
	s_cselect_b32 vcc_hi, -1, 0
	s_cmp_gt_i32 s92, 0x270e
	s_cbranch_scc0 .LBB4_68
; %bb.67:                               ;   in Loop: Header=BB4_65 Depth=3
	s_trap 2
	ds_load_b64 v[10:11], v0
	s_and_not1_b32 s92, vcc_hi, exec_lo
	s_mov_b32 s95, 0
	s_wait_storecnt 0x0
	s_wait_loadcnt_dscnt 0x0
	flat_load_b32 v2, v[10:11] scope:SCOPE_SYS
	s_wait_loadcnt_dscnt 0x0
	global_inv scope:SCOPE_SYS
	v_cmp_eq_u32_e64 s13, 0, v2
	s_and_b32 s13, s13, exec_lo
	s_delay_alu instid0(SALU_CYCLE_1)
	s_or_b32 vcc_hi, s92, s13
	s_mov_b32 s92, 0
	s_wait_xcnt 0x0
	s_and_saveexec_b32 s30, vcc_hi
	s_cbranch_execz .LBB4_63
	s_branch .LBB4_62
.LBB4_68:                               ;   in Loop: Header=BB4_65 Depth=3
	s_add_co_i32 s92, s92, 1
	s_mov_b32 s95, -1
                                        ; implicit-def: $vgpr2
	s_and_saveexec_b32 s30, vcc_hi
	s_cbranch_execz .LBB4_63
	s_branch .LBB4_62
.LBB4_69:                               ;   in Loop: Header=BB4_57 Depth=2
	s_or_b32 exec_lo, exec_lo, s88
	s_xor_b32 s13, s89, -1
	s_delay_alu instid0(SALU_CYCLE_1) | instskip(NEXT) | instid1(SALU_CYCLE_1)
	s_and_saveexec_b32 s88, s13
	s_xor_b32 s13, exec_lo, s88
	s_cbranch_execz .LBB4_71
; %bb.70:                               ;   in Loop: Header=BB4_57 Depth=2
	v_or_b32_e32 v30, 64, v30
	s_wait_storecnt 0x0
	s_wait_loadcnt_dscnt 0x0
	ds_store_b32 v0, v2
	s_trap 2
.LBB4_71:                               ;   in Loop: Header=BB4_57 Depth=2
	s_or_b32 exec_lo, exec_lo, s13
.LBB4_72:                               ;   in Loop: Header=BB4_57 Depth=2
	s_delay_alu instid0(SALU_CYCLE_1) | instskip(SKIP_4) | instid1(VALU_DEP_1)
	s_or_b32 exec_lo, exec_lo, s41
	v_and_b32_e32 v2, 0x100, v30
	s_mov_b32 s41, 0
	s_mov_b32 s13, exec_lo
	;;#ASMSTART
	s_wakeup
	;;#ASMEND
                                        ; implicit-def: $vgpr10_vgpr11
	v_cmpx_ne_u32_e32 0, v2
	s_xor_b32 s13, exec_lo, s13
	s_cbranch_execz .LBB4_93
; %bb.73:                               ;   in Loop: Header=BB4_57 Depth=2
	v_dual_ashrrev_i32 v41, 31, v40 :: v_dual_bitop2_b32 v2, 7, v114 bitop3:0x40
	s_mov_b32 s41, -1
	s_mov_b32 s88, exec_lo
	s_delay_alu instid0(VALU_DEP_1) | instskip(NEXT) | instid1(VALU_DEP_2)
	v_mad_nc_u64_u32 v[12:13], v2, 24, v[6:7]
	v_lshlrev_b64_e32 v[10:11], 1, v[40:41]
	s_clause 0x1
	flat_load_b32 v14, v[12:13]
	flat_store_b64 v[12:13], v[10:11] offset:8
                                        ; implicit-def: $vgpr10_vgpr11
	s_wait_loadcnt_dscnt 0x1
	s_wait_xcnt 0x0
	v_cmpx_eq_u32_e32 1, v14
	s_cbranch_execz .LBB4_75
; %bb.74:                               ;   in Loop: Header=BB4_57 Depth=2
	flat_load_b32 v10, v[12:13] offset:4 scope:SCOPE_SYS
	s_xor_b32 s41, exec_lo, -1
	s_wait_loadcnt_dscnt 0x0
	v_ashrrev_i32_e32 v11, 31, v10
	s_delay_alu instid0(VALU_DEP_1)
	v_lshrrev_b64 v[10:11], 1, v[10:11]
.LBB4_75:                               ;   in Loop: Header=BB4_57 Depth=2
	s_wait_xcnt 0x0
	s_or_b32 exec_lo, exec_lo, s88
	s_delay_alu instid0(SALU_CYCLE_1)
	s_and_b32 s41, s41, exec_lo
                                        ; implicit-def: $vgpr114_vgpr115
	s_and_not1_saveexec_b32 s13, s13
	s_cbranch_execnz .LBB4_94
.LBB4_76:                               ;   in Loop: Header=BB4_57 Depth=2
	s_or_b32 exec_lo, exec_lo, s13
	s_and_saveexec_b32 s13, s41
.LBB4_77:                               ;   in Loop: Header=BB4_57 Depth=2
	v_mul_u64_e32 v[10:11], v[2:3], v[34:35]
.LBB4_78:                               ;   in Loop: Header=BB4_57 Depth=2
	s_or_b32 exec_lo, exec_lo, s13
	v_and_b32_e32 v2, 0x2000, v30
	s_delay_alu instid0(VALU_DEP_2)
	v_lshl_add_u64 v[10:11], v[10:11], 1, v[36:37]
	s_mov_b32 s13, exec_lo
	ds_store_b64 v0, v[10:11] offset:784
	v_cmpx_ne_u32_e32 0, v2
	s_cbranch_execz .LBB4_80
; %bb.79:                               ;   in Loop: Header=BB4_57 Depth=2
	ds_load_b64 v[10:11], v0 offset:872
	s_wait_dscnt 0x0
	v_add_nc_u64_e32 v[10:11], 1, v[10:11]
	ds_store_b64 v0, v[10:11] offset:872
.LBB4_80:                               ;   in Loop: Header=BB4_57 Depth=2
	s_or_b32 exec_lo, exec_lo, s13
	v_mov_b64_e32 v[114:115], v[8:9]
.LBB4_81:                               ;   in Loop: Header=BB4_57 Depth=2
	s_or_b32 exec_lo, exec_lo, s40
	s_and_saveexec_b32 s13, s2
	s_cbranch_execz .LBB4_102
; %bb.82:                               ;   in Loop: Header=BB4_57 Depth=2
	s_and_saveexec_b32 s40, s3
	s_delay_alu instid0(SALU_CYCLE_1)
	s_xor_b32 s40, exec_lo, s40
	s_cbranch_execz .LBB4_99
; %bb.83:                               ;   in Loop: Header=BB4_57 Depth=2
	s_and_saveexec_b32 s41, s6
	s_cbranch_execz .LBB4_98
; %bb.84:                               ;   in Loop: Header=BB4_57 Depth=2
	s_mov_b32 s89, exec_lo
	s_mov_b32 s88, exec_lo
	v_mbcnt_lo_u32_b32 v2, s89, 0
	global_wb scope:SCOPE_DEV
	s_wait_storecnt 0x0
	s_wait_loadcnt_dscnt 0x0
	global_inv scope:SCOPE_DEV
	v_cmpx_eq_u32_e32 0, v2
	s_cbranch_execz .LBB4_86
; %bb.85:                               ;   in Loop: Header=BB4_57 Depth=2
	s_bcnt1_i32_b32 s89, s89
	s_delay_alu instid0(SALU_CYCLE_1)
	v_mov_b32_e32 v2, s89
	s_wait_loadcnt 0x0
	ds_add_u64 v0, v[2:3]
	s_trap 2
.LBB4_86:                               ;   in Loop: Header=BB4_57 Depth=2
	s_or_b32 exec_lo, exec_lo, s88
	s_trap 2
	ds_load_b64 v[8:9], v0
	s_wait_dscnt 0x0
	v_add_nc_u64_e32 v[48:49], v[48:49], v[52:53]
	s_mov_b32 s88, exec_lo
	s_delay_alu instid0(VALU_DEP_1)
	v_cmpx_lt_u64_e64 v[8:9], v[48:49]
	s_cbranch_execz .LBB4_97
; %bb.87:                               ;   in Loop: Header=BB4_57 Depth=2
	s_mov_b32 s89, 0
	s_mov_b32 s92, 0
                                        ; implicit-def: $sgpr90
                                        ; implicit-def: $sgpr91
	s_branch .LBB4_89
.LBB4_88:                               ;   in Loop: Header=BB4_89 Depth=3
	s_or_b32 exec_lo, exec_lo, s94
	s_delay_alu instid0(SALU_CYCLE_1) | instskip(NEXT) | instid1(SALU_CYCLE_1)
	s_and_b32 s93, exec_lo, s95
	s_or_b32 s89, s93, s89
	s_and_not1_b32 s90, s90, exec_lo
	s_and_b32 s93, s91, exec_lo
	s_delay_alu instid0(SALU_CYCLE_1)
	s_or_b32 s90, s90, s93
	s_and_not1_b32 exec_lo, exec_lo, s89
	s_cbranch_execz .LBB4_95
.LBB4_89:                               ;   Parent Loop BB4_47 Depth=1
                                        ;     Parent Loop BB4_57 Depth=2
                                        ; =>    This Inner Loop Header: Depth=3
	s_add_co_i32 s92, s92, 1
	s_delay_alu instid0(SALU_CYCLE_1) | instskip(SKIP_1) | instid1(SALU_CYCLE_1)
	s_cmp_lg_u32 s92, 0x2710
	s_cselect_b32 s93, -1, 0
	s_and_b32 vcc_lo, exec_lo, s93
	s_cbranch_vccz .LBB4_91
; %bb.90:                               ;   in Loop: Header=BB4_89 Depth=3
	s_mov_b32 s95, -1
	s_or_b32 s91, s91, exec_lo
	s_and_saveexec_b32 s94, s93
	s_cbranch_execz .LBB4_88
	s_branch .LBB4_92
.LBB4_91:                               ;   in Loop: Header=BB4_89 Depth=3
	s_trap 2
	ds_load_b64 v[8:9], v0
	s_and_not1_b32 s93, s93, exec_lo
	s_mov_b32 s92, 0
	s_wait_loadcnt_dscnt 0x0
	flat_load_b32 v2, v[8:9] scope:SCOPE_SYS
	s_wait_loadcnt_dscnt 0x0
	global_inv scope:SCOPE_SYS
	v_cmp_eq_u32_e32 vcc_lo, 0, v2
	s_and_b32 s94, vcc_lo, exec_lo
	s_delay_alu instid0(SALU_CYCLE_1)
	s_or_b32 s93, s93, s94
	s_mov_b32 s95, -1
	s_or_b32 s91, s91, exec_lo
	s_wait_xcnt 0x0
	s_and_saveexec_b32 s94, s93
	s_cbranch_execz .LBB4_88
.LBB4_92:                               ;   in Loop: Header=BB4_89 Depth=3
	s_sleep 1
	s_trap 2
	ds_load_b64 v[8:9], v0
	s_wait_dscnt 0x0
	s_and_not1_b32 s91, s91, exec_lo
	v_cmp_ge_u64_e32 vcc_lo, v[8:9], v[48:49]
	s_or_not1_b32 s95, vcc_lo, exec_lo
	s_branch .LBB4_88
.LBB4_93:                               ;   in Loop: Header=BB4_57 Depth=2
	s_and_not1_saveexec_b32 s13, s13
	s_cbranch_execz .LBB4_76
.LBB4_94:                               ;   in Loop: Header=BB4_57 Depth=2
	v_and_b32_e32 v2, 7, v114
	s_or_b32 s41, s41, exec_lo
	s_or_b32 exec_lo, exec_lo, s13
	s_and_saveexec_b32 s13, s41
	s_cbranch_execnz .LBB4_77
	s_branch .LBB4_78
.LBB4_95:                               ;   in Loop: Header=BB4_57 Depth=2
	s_or_b32 exec_lo, exec_lo, s89
	s_and_saveexec_b32 s89, s90
	s_delay_alu instid0(SALU_CYCLE_1)
	s_xor_b32 s89, exec_lo, s89
	s_cbranch_execz .LBB4_97
; %bb.96:                               ;   in Loop: Header=BB4_57 Depth=2
	ds_store_b32 v0, v73
	s_trap 2
.LBB4_97:                               ;   in Loop: Header=BB4_57 Depth=2
	s_or_b32 exec_lo, exec_lo, s88
	;;#ASMSTART
	s_wakeup
	;;#ASMEND
.LBB4_98:                               ;   in Loop: Header=BB4_57 Depth=2
	s_or_b32 exec_lo, exec_lo, s41
.LBB4_99:                               ;   in Loop: Header=BB4_57 Depth=2
	s_and_not1_saveexec_b32 s40, s40
	s_cbranch_execz .LBB4_101
; %bb.100:                              ;   in Loop: Header=BB4_57 Depth=2
	global_wb scope:SCOPE_DEV
	s_wait_storecnt 0x0
	s_wait_loadcnt_dscnt 0x0
	global_inv scope:SCOPE_DEV
	s_barrier_signal -1
	s_barrier_wait -1
.LBB4_101:                              ;   in Loop: Header=BB4_57 Depth=2
	s_or_b32 exec_lo, exec_lo, s40
.LBB4_102:                              ;   in Loop: Header=BB4_57 Depth=2
	s_delay_alu instid0(SALU_CYCLE_1) | instskip(SKIP_4) | instid1(VALU_DEP_1)
	s_or_b32 exec_lo, exec_lo, s13
	s_trap 2
	ds_load_b32 v8, v0
	v_and_b32_e32 v2, 0x4000, v30
	s_xor_b32 s13, s1, -1
	v_cmp_ne_u32_e32 vcc_lo, 0, v2
	s_and_b32 s40, s13, vcc_lo
	s_delay_alu instid0(SALU_CYCLE_1)
	s_and_saveexec_b32 s13, s40
	s_cbranch_execz .LBB4_121
; %bb.103:                              ;   in Loop: Header=BB4_57 Depth=2
	s_and_saveexec_b32 s40, s3
	s_delay_alu instid0(SALU_CYCLE_1)
	s_xor_b32 s40, exec_lo, s40
	s_cbranch_execz .LBB4_118
; %bb.104:                              ;   in Loop: Header=BB4_57 Depth=2
	s_and_saveexec_b32 s41, s6
	s_cbranch_execz .LBB4_117
; %bb.105:                              ;   in Loop: Header=BB4_57 Depth=2
	s_mov_b32 s89, exec_lo
	s_mov_b32 s88, exec_lo
	v_mbcnt_lo_u32_b32 v2, s89, 0
	global_wb scope:SCOPE_DEV
	s_wait_storecnt 0x0
	s_wait_loadcnt_dscnt 0x0
	global_inv scope:SCOPE_DEV
	v_cmpx_eq_u32_e32 0, v2
	s_cbranch_execz .LBB4_107
; %bb.106:                              ;   in Loop: Header=BB4_57 Depth=2
	s_bcnt1_i32_b32 s89, s89
	s_delay_alu instid0(SALU_CYCLE_1)
	v_mov_b32_e32 v2, s89
	s_wait_loadcnt 0x0
	ds_add_u64 v0, v[2:3]
	s_trap 2
.LBB4_107:                              ;   in Loop: Header=BB4_57 Depth=2
	s_or_b32 exec_lo, exec_lo, s88
	s_trap 2
	ds_load_b64 v[10:11], v0
	s_wait_dscnt 0x0
	v_add_nc_u64_e32 v[48:49], v[48:49], v[52:53]
	s_mov_b32 s88, exec_lo
	s_delay_alu instid0(VALU_DEP_1)
	v_cmpx_lt_u64_e64 v[10:11], v[48:49]
	s_cbranch_execz .LBB4_116
; %bb.108:                              ;   in Loop: Header=BB4_57 Depth=2
	s_mov_b32 s89, 0
	s_mov_b32 s92, 0
                                        ; implicit-def: $sgpr90
                                        ; implicit-def: $sgpr91
	s_branch .LBB4_110
.LBB4_109:                              ;   in Loop: Header=BB4_110 Depth=3
	s_or_b32 exec_lo, exec_lo, s94
	s_delay_alu instid0(SALU_CYCLE_1) | instskip(NEXT) | instid1(SALU_CYCLE_1)
	s_and_b32 s93, exec_lo, s95
	s_or_b32 s89, s93, s89
	s_and_not1_b32 s90, s90, exec_lo
	s_and_b32 s93, s91, exec_lo
	s_delay_alu instid0(SALU_CYCLE_1)
	s_or_b32 s90, s90, s93
	s_and_not1_b32 exec_lo, exec_lo, s89
	s_cbranch_execz .LBB4_114
.LBB4_110:                              ;   Parent Loop BB4_47 Depth=1
                                        ;     Parent Loop BB4_57 Depth=2
                                        ; =>    This Inner Loop Header: Depth=3
	s_add_co_i32 s92, s92, 1
	s_delay_alu instid0(SALU_CYCLE_1) | instskip(SKIP_1) | instid1(SALU_CYCLE_1)
	s_cmp_lg_u32 s92, 0x2710
	s_cselect_b32 s93, -1, 0
	s_and_b32 vcc_lo, exec_lo, s93
	s_cbranch_vccz .LBB4_112
; %bb.111:                              ;   in Loop: Header=BB4_110 Depth=3
	s_mov_b32 s95, -1
	s_or_b32 s91, s91, exec_lo
	s_and_saveexec_b32 s94, s93
	s_cbranch_execz .LBB4_109
	s_branch .LBB4_113
.LBB4_112:                              ;   in Loop: Header=BB4_110 Depth=3
	s_trap 2
	ds_load_b64 v[10:11], v0
	s_and_not1_b32 s93, s93, exec_lo
	s_mov_b32 s92, 0
	s_wait_loadcnt_dscnt 0x0
	flat_load_b32 v2, v[10:11] scope:SCOPE_SYS
	s_wait_loadcnt_dscnt 0x0
	global_inv scope:SCOPE_SYS
	v_cmp_eq_u32_e32 vcc_lo, 0, v2
	s_and_b32 s94, vcc_lo, exec_lo
	s_delay_alu instid0(SALU_CYCLE_1)
	s_or_b32 s93, s93, s94
	s_mov_b32 s95, -1
	s_or_b32 s91, s91, exec_lo
	s_wait_xcnt 0x0
	s_and_saveexec_b32 s94, s93
	s_cbranch_execz .LBB4_109
.LBB4_113:                              ;   in Loop: Header=BB4_110 Depth=3
	s_sleep 1
	s_trap 2
	ds_load_b64 v[10:11], v0
	s_wait_dscnt 0x0
	s_and_not1_b32 s91, s91, exec_lo
	v_cmp_ge_u64_e32 vcc_lo, v[10:11], v[48:49]
	s_or_not1_b32 s95, vcc_lo, exec_lo
	s_branch .LBB4_109
.LBB4_114:                              ;   in Loop: Header=BB4_57 Depth=2
	s_or_b32 exec_lo, exec_lo, s89
	s_and_saveexec_b32 s89, s90
	s_delay_alu instid0(SALU_CYCLE_1)
	s_xor_b32 s89, exec_lo, s89
	s_cbranch_execz .LBB4_116
; %bb.115:                              ;   in Loop: Header=BB4_57 Depth=2
	ds_store_b32 v0, v73
	s_trap 2
.LBB4_116:                              ;   in Loop: Header=BB4_57 Depth=2
	s_or_b32 exec_lo, exec_lo, s88
	;;#ASMSTART
	s_wakeup
	;;#ASMEND
.LBB4_117:                              ;   in Loop: Header=BB4_57 Depth=2
	s_or_b32 exec_lo, exec_lo, s41
.LBB4_118:                              ;   in Loop: Header=BB4_57 Depth=2
	s_and_not1_saveexec_b32 s40, s40
	s_cbranch_execz .LBB4_120
; %bb.119:                              ;   in Loop: Header=BB4_57 Depth=2
	global_wb scope:SCOPE_DEV
	s_wait_storecnt 0x0
	s_wait_loadcnt_dscnt 0x0
	global_inv scope:SCOPE_DEV
	s_barrier_signal -1
	s_barrier_wait -1
.LBB4_120:                              ;   in Loop: Header=BB4_57 Depth=2
	s_or_b32 exec_lo, exec_lo, s40
.LBB4_121:                              ;   in Loop: Header=BB4_57 Depth=2
	s_delay_alu instid0(SALU_CYCLE_1)
	s_or_b32 exec_lo, exec_lo, s13
	s_trap 2
	ds_load_b64 v[46:47], v0
	s_wait_dscnt 0x0
	v_cmp_eq_u64_e32 vcc_lo, 0, v[46:47]
	s_cbranch_vccnz .LBB4_129
; %bb.122:                              ;   in Loop: Header=BB4_57 Depth=2
	s_trap 2
	ds_load_b64 v[56:57], v0
	s_wait_dscnt 0x0
	v_cmp_eq_u64_e32 vcc_lo, 0, v[56:57]
	s_cbranch_vccnz .LBB4_129
; %bb.123:                              ;   in Loop: Header=BB4_57 Depth=2
	s_mov_b32 s13, -1
	s_and_saveexec_b32 s40, s10
	s_cbranch_execz .LBB4_125
; %bb.124:                              ;   in Loop: Header=BB4_57 Depth=2
	ds_load_b32 v2, v0 offset:720
	s_wait_dscnt 0x0
	v_and_b32_e32 v2, 15, v2
	s_delay_alu instid0(VALU_DEP_1)
	v_cmp_eq_u32_e32 vcc_lo, 0, v2
	s_or_not1_b32 s13, vcc_lo, exec_lo
.LBB4_125:                              ;   in Loop: Header=BB4_57 Depth=2
	s_or_b32 exec_lo, exec_lo, s40
	s_and_saveexec_b32 s40, s11
	s_cbranch_execz .LBB4_127
; %bb.126:                              ;   in Loop: Header=BB4_57 Depth=2
	ds_load_b32 v2, v0 offset:784
	s_wait_dscnt 0x0
	v_and_b32_e32 v2, 15, v2
	s_delay_alu instid0(VALU_DEP_1) | instskip(SKIP_3) | instid1(SALU_CYCLE_1)
	v_cmp_eq_u32_e32 vcc_lo, 0, v2
	s_and_b32 s41, s13, vcc_lo
	s_and_not1_b32 s13, s13, exec_lo
	s_and_b32 s41, s41, exec_lo
	s_or_b32 s13, s13, s41
.LBB4_127:                              ;   in Loop: Header=BB4_57 Depth=2
	s_or_b32 exec_lo, exec_lo, s40
	s_xor_b32 s13, s13, -1
	s_mov_b32 s41, -1
	v_cndmask_b32_e64 v2, 0, 1, s13
	v_cmp_eq_u32_e64 s13, 0, v8
	s_delay_alu instid0(VALU_DEP_2)
	v_cmp_ne_u32_e32 vcc_lo, 0, v2
	s_cbranch_vccz .LBB4_130
; %bb.128:                              ;   in Loop: Header=BB4_57 Depth=2
	s_mov_b32 s41, 0
	s_mov_b32 s40, -1
	s_branch .LBB4_131
.LBB4_129:                              ;   in Loop: Header=BB4_57 Depth=2
	s_mov_b32 s13, 0
	s_and_saveexec_b32 s40, s2
	s_cbranch_execnz .LBB4_181
	s_branch .LBB4_199
.LBB4_130:                              ;   in Loop: Header=BB4_57 Depth=2
	s_mov_b32 s40, 0
.LBB4_131:                              ;   in Loop: Header=BB4_57 Depth=2
	v_dual_cndmask_b32 v2, 0, v40, s13 :: v_dual_mov_b32 v14, 0
	s_and_not1_b32 vcc_lo, exec_lo, s41
	s_delay_alu instid0(VALU_DEP_1)
	v_lshlrev_b32_e32 v41, 1, v2
	s_cbranch_vccnz .LBB4_139
; %bb.132:                              ;   in Loop: Header=BB4_57 Depth=2
	s_delay_alu instid0(VALU_DEP_1) | instskip(SKIP_3) | instid1(VALU_DEP_2)
	v_ashrrev_i32_e32 v8, 31, v41
	v_add_nc_u64_e32 v[58:59], v[56:57], v[102:103]
	s_mov_b32 s41, 0
	s_mov_b32 s13, exec_lo
                                        ; implicit-def: $vgpr12_vgpr13
	v_lshrrev_b32_e32 v8, 22, v8
	s_delay_alu instid0(VALU_DEP_1) | instskip(NEXT) | instid1(VALU_DEP_1)
	v_add_nc_u32_e32 v8, v41, v8
	v_ashrrev_i32_e32 v43, 10, v8
                                        ; implicit-def: $vgpr8_vgpr9
	s_delay_alu instid0(VALU_DEP_1) | instskip(NEXT) | instid1(VALU_DEP_1)
	v_sub_nc_u32_e32 v89, v43, v78
	v_cmpx_lt_i32_e32 0, v89
	s_cbranch_execz .LBB4_141
; %bb.133:                              ;   in Loop: Header=BB4_57 Depth=2
	v_add_nc_u64_e32 v[60:61], v[46:47], v[102:103]
	s_mov_b32 s89, 0
                                        ; implicit-def: $sgpr88
                                        ; implicit-def: $vgpr8_vgpr9
                                        ; implicit-def: $vgpr12_vgpr13
	s_branch .LBB4_135
.LBB4_134:                              ;   in Loop: Header=BB4_135 Depth=3
	s_or_b32 exec_lo, exec_lo, s90
	s_delay_alu instid0(VALU_DEP_1) | instskip(NEXT) | instid1(VALU_DEP_3)
	v_sub_nc_u32_e32 v89, v89, v90
	v_add_nc_u64_e32 v[90:91], v[58:59], v[62:63]
	s_wait_loadcnt 0x1
	global_store_b128 v[58:59], v[16:19], off th:TH_STORE_NT
	s_wait_loadcnt 0x0
	global_store_b128 v[58:59], v[20:23], off offset:512 th:TH_STORE_NT
	v_add_nc_u64_e32 v[60:61], v[60:61], v[62:63]
	v_cmp_gt_i32_e32 vcc_lo, 1, v89
	s_wait_xcnt 0x0
	v_add_nc_u64_e32 v[58:59], 0x400, v[90:91]
	s_or_b32 s41, vcc_lo, s41
	s_and_not1_b32 s88, s88, exec_lo
	s_and_b32 s90, s89, exec_lo
	s_delay_alu instid0(SALU_CYCLE_1)
	s_or_b32 s88, s88, s90
	s_and_not1_b32 exec_lo, exec_lo, s41
	s_cbranch_execz .LBB4_140
.LBB4_135:                              ;   Parent Loop BB4_47 Depth=1
                                        ;     Parent Loop BB4_57 Depth=2
                                        ; =>    This Inner Loop Header: Depth=3
	s_clause 0x1
	global_load_b128 v[16:19], v[60:61], off th:TH_LOAD_NT
	global_load_b128 v[20:23], v[60:61], off offset:512 th:TH_LOAD_NT
	s_wait_xcnt 0x0
	s_and_saveexec_b32 s90, s89
	s_cbranch_execz .LBB4_137
; %bb.136:                              ;   in Loop: Header=BB4_135 Depth=3
	v_add_nc_u64_e32 v[62:63], v[58:59], v[86:87]
	s_clause 0x1
	global_store_b128 v[58:59], v[8:11], off th:TH_STORE_NT
	global_store_b128 v[58:59], v[12:15], off offset:512 th:TH_STORE_NT
	s_wait_xcnt 0x0
	v_mov_b64_e32 v[58:59], v[62:63]
.LBB4_137:                              ;   in Loop: Header=BB4_135 Depth=3
	s_or_b32 exec_lo, exec_lo, s90
	v_dual_mov_b32 v90, 0 :: v_dual_sub_nc_u32 v89, v89, v52
	v_add_nc_u64_e32 v[60:61], v[60:61], v[86:87]
	v_mov_b64_e32 v[62:63], 0
	s_delay_alu instid0(VALU_DEP_3)
	v_cmp_lt_i32_e64 s89, 0, v89
	s_and_saveexec_b32 s90, s89
	s_cbranch_execz .LBB4_134
; %bb.138:                              ;   in Loop: Header=BB4_135 Depth=3
	s_clause 0x1
	global_load_b128 v[8:11], v[60:61], off th:TH_LOAD_NT
	global_load_b128 v[12:15], v[60:61], off offset:512 th:TH_LOAD_NT
	s_wait_xcnt 0x0
	v_add_nc_u64_e32 v[60:61], 0x400, v[60:61]
	v_mov_b64_e32 v[62:63], v[70:71]
	v_mov_b32_e32 v90, v52
	s_branch .LBB4_134
.LBB4_139:                              ;   in Loop: Header=BB4_57 Depth=2
	v_dual_mov_b32 v15, v0 :: v_dual_mov_b32 v8, v78
	s_and_saveexec_b32 s13, s40
	s_cbranch_execnz .LBB4_160
	s_branch .LBB4_180
.LBB4_140:                              ;   in Loop: Header=BB4_57 Depth=2
	s_or_b32 exec_lo, exec_lo, s41
	s_delay_alu instid0(SALU_CYCLE_1)
	s_and_b32 s41, s88, exec_lo
.LBB4_141:                              ;   in Loop: Header=BB4_57 Depth=2
	s_or_b32 exec_lo, exec_lo, s13
	s_and_saveexec_b32 s13, s41
	s_cbranch_execz .LBB4_143
; %bb.142:                              ;   in Loop: Header=BB4_57 Depth=2
	s_clause 0x1
	global_store_b128 v[58:59], v[8:11], off th:TH_STORE_NT
	global_store_b128 v[58:59], v[12:15], off offset:512 th:TH_STORE_NT
.LBB4_143:                              ;   in Loop: Header=BB4_57 Depth=2
	s_wait_xcnt 0x0
	s_or_b32 exec_lo, exec_lo, s13
	v_lshlrev_b32_e32 v20, 10, v43
	s_mov_b32 s41, exec_lo
                                        ; implicit-def: $vgpr14
                                        ; implicit-def: $vgpr15
                                        ; implicit-def: $vgpr8
	s_delay_alu instid0(VALU_DEP_1)
	v_cmpx_ne_u32_e64 v41, v20
	s_cbranch_execz .LBB4_159
; %bb.144:                              ;   in Loop: Header=BB4_57 Depth=2
	v_dual_lshlrev_b32 v8, 5, v89 :: v_dual_sub_nc_u32 v12, v41, v20
	s_mov_b32 s89, 0
	s_mov_b32 s88, exec_lo
	s_delay_alu instid0(VALU_DEP_1) | instskip(NEXT) | instid1(VALU_DEP_2)
	v_sub_nc_u32_e32 v8, v0, v8
	v_ashrrev_i32_e32 v11, 31, v12
	s_delay_alu instid0(VALU_DEP_2) | instskip(NEXT) | instid1(VALU_DEP_1)
	v_ashrrev_i32_e32 v9, 31, v8
	v_lshrrev_b32_e32 v9, 27, v9
	s_delay_alu instid0(VALU_DEP_1) | instskip(NEXT) | instid1(VALU_DEP_1)
	v_add_nc_u32_e32 v9, v8, v9
	v_and_b32_e32 v10, 0xffffffe0, v9
	s_delay_alu instid0(VALU_DEP_1) | instskip(NEXT) | instid1(VALU_DEP_1)
	v_dual_ashrrev_i32 v9, 5, v9 :: v_dual_sub_nc_u32 v22, v8, v10
	v_dual_lshrrev_b32 v8, 23, v11 :: v_dual_lshlrev_b32 v10, 4, v22
	s_delay_alu instid0(VALU_DEP_1) | instskip(NEXT) | instid1(VALU_DEP_2)
	v_add_nc_u32_e32 v8, v12, v8
	v_lshl_add_u32 v13, v9, 9, v10
	s_delay_alu instid0(VALU_DEP_2) | instskip(NEXT) | instid1(VALU_DEP_1)
	v_and_b32_e32 v21, 0xfffffe00, v8
	v_dual_add_nc_u32 v10, v13, v20 :: v_dual_sub_nc_u32 v23, v12, v21
	v_dual_ashrrev_i32 v8, 9, v8 :: v_dual_sub_nc_u32 v58, v12, v13
	s_delay_alu instid0(VALU_DEP_2) | instskip(NEXT) | instid1(VALU_DEP_3)
	v_ashrrev_i32_e32 v11, 31, v10
	v_cmp_lt_i32_e32 vcc_lo, 15, v23
	s_delay_alu instid0(VALU_DEP_2) | instskip(NEXT) | instid1(VALU_DEP_4)
	v_add_nc_u64_e32 v[16:17], v[10:11], v[56:57]
	v_add_co_ci_u32_e64 v8, null, 0, v8, vcc_lo
	s_delay_alu instid0(VALU_DEP_1)
	v_sub_nc_u32_e32 v43, v8, v9
                                        ; implicit-def: $vgpr8_vgpr9
	v_cmpx_lt_i32_e32 15, v58
	s_cbranch_execz .LBB4_154
; %bb.145:                              ;   in Loop: Header=BB4_57 Depth=2
	v_add_nc_u64_e32 v[18:19], v[10:11], v[46:47]
	s_mov_b32 s91, 0
                                        ; implicit-def: $sgpr90
                                        ; implicit-def: $vgpr8_vgpr9
	s_branch .LBB4_147
.LBB4_146:                              ;   in Loop: Header=BB4_147 Depth=3
	s_or_b32 exec_lo, exec_lo, s13
	s_delay_alu instid0(VALU_DEP_1) | instskip(SKIP_3) | instid1(SALU_CYCLE_1)
	v_cmp_gt_i32_e64 s13, 16, v58
	s_or_b32 s89, s13, s89
	s_and_not1_b32 s13, s90, exec_lo
	s_and_b32 s90, s91, exec_lo
	s_or_b32 s90, s13, s90
	s_and_not1_b32 exec_lo, exec_lo, s89
	s_cbranch_execz .LBB4_153
.LBB4_147:                              ;   Parent Loop BB4_47 Depth=1
                                        ;     Parent Loop BB4_57 Depth=2
                                        ; =>    This Inner Loop Header: Depth=3
	global_load_b128 v[12:15], v[18:19], off th:TH_LOAD_NT
	s_wait_xcnt 0x0
	s_and_saveexec_b32 s13, s91
	s_cbranch_execz .LBB4_149
; %bb.148:                              ;   in Loop: Header=BB4_147 Depth=3
	v_add_nc_u64_e32 v[60:61], v[16:17], v[98:99]
	global_store_b128 v[16:17], v[8:11], off th:TH_STORE_NT
	s_wait_xcnt 0x0
	v_mov_b64_e32 v[16:17], v[60:61]
.LBB4_149:                              ;   in Loop: Header=BB4_147 Depth=3
	s_or_b32 exec_lo, exec_lo, s13
	v_sub_nc_u32_e32 v58, v58, v76
	v_add_nc_u64_e32 v[18:19], v[18:19], v[98:99]
	s_delay_alu instid0(VALU_DEP_2)
	v_cmp_lt_i32_e64 s91, 15, v58
	s_and_saveexec_b32 s13, s91
	s_cbranch_execz .LBB4_151
; %bb.150:                              ;   in Loop: Header=BB4_147 Depth=3
	global_load_b128 v[8:11], v[18:19], off th:TH_LOAD_NT
	s_wait_xcnt 0x0
	v_add_nc_u64_e32 v[18:19], 0x200, v[18:19]
.LBB4_151:                              ;   in Loop: Header=BB4_147 Depth=3
	s_or_b32 exec_lo, exec_lo, s13
	s_wait_loadcnt 0x0
	global_store_b128 v[16:17], v[12:15], off th:TH_STORE_NT
	s_wait_xcnt 0x0
	v_add_nc_u64_e32 v[16:17], 0x200, v[16:17]
	v_sub_nc_u32_e32 v43, v43, v52
	s_and_saveexec_b32 s13, s91
	s_cbranch_execz .LBB4_146
; %bb.152:                              ;   in Loop: Header=BB4_147 Depth=3
	v_add_nc_u64_e32 v[18:19], v[18:19], v[82:83]
	s_delay_alu instid0(VALU_DEP_3)
	v_add_nc_u64_e32 v[16:17], v[16:17], v[82:83]
	v_sub_nc_u32_e32 v43, v43, v52
	v_sub_nc_u32_e32 v58, v58, v76
	s_branch .LBB4_146
.LBB4_153:                              ;   in Loop: Header=BB4_57 Depth=2
	s_or_b32 exec_lo, exec_lo, s89
	s_delay_alu instid0(SALU_CYCLE_1)
	s_and_b32 s89, s90, exec_lo
.LBB4_154:                              ;   in Loop: Header=BB4_57 Depth=2
	s_or_b32 exec_lo, exec_lo, s88
	s_and_saveexec_b32 s13, s89
	s_cbranch_execz .LBB4_156
; %bb.155:                              ;   in Loop: Header=BB4_57 Depth=2
	global_store_b128 v[16:17], v[8:11], off th:TH_STORE_NT
.LBB4_156:                              ;   in Loop: Header=BB4_57 Depth=2
	s_wait_xcnt 0x0
	s_or_b32 exec_lo, exec_lo, s13
	v_and_b32_e32 v9, 14, v41
	s_mov_b32 s89, s40
	s_mov_b32 s88, exec_lo
                                        ; implicit-def: $vgpr14
                                        ; implicit-def: $vgpr15
                                        ; implicit-def: $vgpr8
	s_delay_alu instid0(VALU_DEP_1) | instskip(NEXT) | instid1(VALU_DEP_1)
	v_cndmask_b32_e32 v41, v23, v9, vcc_lo
	v_cmpx_ne_u32_e32 0, v41
	s_cbranch_execz .LBB4_158
; %bb.157:                              ;   in Loop: Header=BB4_57 Depth=2
	v_cmp_lt_i32_e64 s13, 0, v43
	s_or_b32 s89, s40, exec_lo
	v_dual_sub_nc_u32 v9, v23, v9 :: v_dual_cndmask_b32 v8, 0, v52, s13
	s_delay_alu instid0(VALU_DEP_1) | instskip(NEXT) | instid1(VALU_DEP_1)
	v_dual_cndmask_b32 v9, 0, v9 :: v_dual_sub_nc_u32 v8, v8, v43
	v_add3_u32 v14, v21, v20, v9
	s_delay_alu instid0(VALU_DEP_2) | instskip(NEXT) | instid1(VALU_DEP_1)
	v_lshl_add_u32 v10, v8, 5, v22
	v_ashrrev_i32_e32 v8, 31, v10
	s_delay_alu instid0(VALU_DEP_1) | instskip(NEXT) | instid1(VALU_DEP_1)
	v_lshrrev_b32_e32 v8, 27, v8
	v_add_nc_u32_e32 v8, v10, v8
	s_delay_alu instid0(VALU_DEP_1) | instskip(NEXT) | instid1(VALU_DEP_1)
	v_and_b32_e32 v11, 0xffffffe0, v8
	v_dual_ashrrev_i32 v8, 5, v8 :: v_dual_sub_nc_u32 v15, v10, v11
.LBB4_158:                              ;   in Loop: Header=BB4_57 Depth=2
	s_or_b32 exec_lo, exec_lo, s88
	s_delay_alu instid0(SALU_CYCLE_1) | instskip(SKIP_1) | instid1(SALU_CYCLE_1)
	s_and_not1_b32 s13, s40, exec_lo
	s_and_b32 s40, s89, exec_lo
	s_or_b32 s40, s13, s40
.LBB4_159:                              ;   in Loop: Header=BB4_57 Depth=2
	s_or_b32 exec_lo, exec_lo, s41
	s_and_saveexec_b32 s13, s40
	s_cbranch_execz .LBB4_180
.LBB4_160:                              ;   in Loop: Header=BB4_57 Depth=2
	s_delay_alu instid0(VALU_DEP_1) | instskip(SKIP_2) | instid1(VALU_DEP_1)
	v_dual_ashrrev_i32 v9, 31, v41 :: v_dual_lshlrev_b32 v10, 8, v8
	s_mov_b32 s41, 0
	s_mov_b32 s40, exec_lo
                                        ; implicit-def: $vgpr17
                                        ; implicit-def: $vgpr18
                                        ; implicit-def: $vgpr19
                                        ; implicit-def: $vgpr20
	v_dual_lshlrev_b32 v11, 1, v15 :: v_dual_lshrrev_b32 v9, 24, v9
	s_delay_alu instid0(VALU_DEP_1) | instskip(NEXT) | instid1(VALU_DEP_1)
	v_add3_u32 v10, v14, v11, v10
	v_dual_add_nc_u32 v9, v41, v9 :: v_dual_ashrrev_i32 v11, 31, v10
	s_delay_alu instid0(VALU_DEP_1) | instskip(NEXT) | instid1(VALU_DEP_1)
	v_ashrrev_i32_e32 v16, 8, v9
	v_sub_nc_u32_e32 v21, v16, v8
	s_delay_alu instid0(VALU_DEP_3) | instskip(NEXT) | instid1(VALU_DEP_2)
	v_add_nc_u64_e32 v[8:9], v[56:57], v[10:11]
	v_cmpx_lt_i32_e32 0, v21
	s_cbranch_execz .LBB4_168
; %bb.161:                              ;   in Loop: Header=BB4_57 Depth=2
	v_add_nc_u64_e32 v[10:11], v[10:11], v[46:47]
	s_mov_b32 s89, 0
                                        ; implicit-def: $sgpr88
                                        ; implicit-def: $vgpr17
                                        ; implicit-def: $vgpr18
                                        ; implicit-def: $vgpr19
                                        ; implicit-def: $vgpr20
	s_branch .LBB4_163
.LBB4_162:                              ;   in Loop: Header=BB4_163 Depth=3
	s_or_b32 exec_lo, exec_lo, s90
	s_delay_alu instid0(VALU_DEP_1) | instskip(NEXT) | instid1(VALU_DEP_3)
	v_sub_nc_u32_e32 v21, v21, v59
	v_add_nc_u64_e32 v[60:61], v[8:9], v[12:13]
	s_wait_loadcnt_dscnt 0x303
	flat_store_b16 v[8:9], v22 th:TH_STORE_NT
	s_wait_loadcnt_dscnt 0x203
	flat_store_b16 v[8:9], v23 offset:64 th:TH_STORE_NT
	s_wait_loadcnt_dscnt 0x103
	flat_store_b16 v[8:9], v43 offset:128 th:TH_STORE_NT
	;; [unrolled: 2-line block ×3, first 2 shown]
	v_add_nc_u64_e32 v[10:11], v[10:11], v[12:13]
	v_cmp_gt_i32_e32 vcc_lo, 1, v21
	s_wait_xcnt 0x0
	v_add_nc_u64_e32 v[8:9], 0x100, v[60:61]
	s_or_b32 s41, vcc_lo, s41
	s_and_not1_b32 s88, s88, exec_lo
	s_and_b32 s90, s89, exec_lo
	s_delay_alu instid0(SALU_CYCLE_1)
	s_or_b32 s88, s88, s90
	s_and_not1_b32 exec_lo, exec_lo, s41
	s_cbranch_execz .LBB4_167
.LBB4_163:                              ;   Parent Loop BB4_47 Depth=1
                                        ;     Parent Loop BB4_57 Depth=2
                                        ; =>    This Inner Loop Header: Depth=3
	s_clause 0x3
	flat_load_u16 v22, v[10:11] th:TH_LOAD_NT
	flat_load_u16 v23, v[10:11] offset:64 th:TH_LOAD_NT
	flat_load_u16 v43, v[10:11] offset:128 th:TH_LOAD_NT
	;; [unrolled: 1-line block ×3, first 2 shown]
	s_wait_xcnt 0x0
	s_and_saveexec_b32 s90, s89
	s_cbranch_execz .LBB4_165
; %bb.164:                              ;   in Loop: Header=BB4_163 Depth=3
	s_clause 0x3
	flat_store_b16 v[8:9], v17 th:TH_STORE_NT
	flat_store_b16 v[8:9], v18 offset:64 th:TH_STORE_NT
	flat_store_b16 v[8:9], v19 offset:128 th:TH_STORE_NT
	;; [unrolled: 1-line block ×3, first 2 shown]
	s_wait_xcnt 0x0
	v_add_nc_u64_e32 v[8:9], v[8:9], v[96:97]
.LBB4_165:                              ;   in Loop: Header=BB4_163 Depth=3
	s_or_b32 exec_lo, exec_lo, s90
	v_dual_sub_nc_u32 v21, v21, v52 :: v_dual_mov_b32 v59, 0
	v_add_nc_u64_e32 v[10:11], v[10:11], v[96:97]
	v_mov_b64_e32 v[12:13], 0
	s_delay_alu instid0(VALU_DEP_3)
	v_cmp_lt_i32_e64 s89, 0, v21
	s_and_saveexec_b32 s90, s89
	s_cbranch_execz .LBB4_162
; %bb.166:                              ;   in Loop: Header=BB4_163 Depth=3
	s_clause 0x3
	flat_load_u16 v17, v[10:11] th:TH_LOAD_NT
	flat_load_u16 v18, v[10:11] offset:64 th:TH_LOAD_NT
	flat_load_u16 v19, v[10:11] offset:128 th:TH_LOAD_NT
	;; [unrolled: 1-line block ×3, first 2 shown]
	s_wait_xcnt 0x0
	v_add_nc_u64_e32 v[10:11], 0x100, v[10:11]
	v_mov_b64_e32 v[12:13], v[80:81]
	v_mov_b32_e32 v59, v52
	s_branch .LBB4_162
.LBB4_167:                              ;   in Loop: Header=BB4_57 Depth=2
	s_or_b32 exec_lo, exec_lo, s41
	s_delay_alu instid0(SALU_CYCLE_1)
	s_and_b32 s41, s88, exec_lo
.LBB4_168:                              ;   in Loop: Header=BB4_57 Depth=2
	s_or_b32 exec_lo, exec_lo, s40
	s_and_saveexec_b32 s40, s41
	s_cbranch_execz .LBB4_170
; %bb.169:                              ;   in Loop: Header=BB4_57 Depth=2
	s_clause 0x3
	flat_store_b16 v[8:9], v17 th:TH_STORE_NT
	flat_store_b16 v[8:9], v18 offset:64 th:TH_STORE_NT
	flat_store_b16 v[8:9], v19 offset:128 th:TH_STORE_NT
	;; [unrolled: 1-line block ×3, first 2 shown]
.LBB4_170:                              ;   in Loop: Header=BB4_57 Depth=2
	s_wait_xcnt 0x0
	s_or_b32 exec_lo, exec_lo, s40
	v_lshlrev_b32_e32 v8, 8, v16
	s_delay_alu instid0(VALU_DEP_1)
	v_cmp_ne_u32_e32 vcc_lo, v41, v8
	s_and_b32 exec_lo, exec_lo, vcc_lo
	s_cbranch_execz .LBB4_180
; %bb.171:                              ;   in Loop: Header=BB4_57 Depth=2
	v_lshlrev_b32_e32 v9, 5, v21
	s_delay_alu instid0(VALU_DEP_1) | instskip(NEXT) | instid1(VALU_DEP_1)
	v_sub_nc_u32_e32 v9, v15, v9
	v_ashrrev_i32_e32 v10, 31, v9
	s_delay_alu instid0(VALU_DEP_1) | instskip(NEXT) | instid1(VALU_DEP_1)
	v_lshrrev_b32_e32 v10, 27, v10
	v_add_nc_u32_e32 v10, v9, v10
	s_delay_alu instid0(VALU_DEP_1) | instskip(NEXT) | instid1(VALU_DEP_1)
	v_and_b32_e32 v11, 0x7fffffe0, v10
	v_dual_lshlrev_b32 v10, 1, v10 :: v_dual_sub_nc_u32 v9, v9, v11
	s_delay_alu instid0(VALU_DEP_1) | instskip(NEXT) | instid1(VALU_DEP_2)
	v_and_b32_e32 v10, 0xffffffc0, v10
	v_lshlrev_b32_e32 v9, 1, v9
	s_delay_alu instid0(VALU_DEP_1) | instskip(NEXT) | instid1(VALU_DEP_1)
	v_add3_u32 v8, v10, v9, v8
	v_sub_nc_u32_e32 v15, v41, v8
	s_delay_alu instid0(VALU_DEP_1)
	v_cmp_lt_i32_e32 vcc_lo, 1, v15
	s_and_b32 exec_lo, exec_lo, vcc_lo
	s_cbranch_execz .LBB4_180
; %bb.172:                              ;   in Loop: Header=BB4_57 Depth=2
	v_add_nc_u32_e32 v10, v8, v14
	s_mov_b32 s88, 0
	s_mov_b32 s40, 0
                                        ; implicit-def: $sgpr41
                                        ; implicit-def: $vgpr14
	s_delay_alu instid0(VALU_DEP_1) | instskip(NEXT) | instid1(VALU_DEP_1)
	v_ashrrev_i32_e32 v11, 31, v10
	v_add_nc_u64_e32 v[8:9], v[56:57], v[10:11]
	v_add_nc_u64_e32 v[10:11], v[10:11], v[46:47]
	s_branch .LBB4_174
.LBB4_173:                              ;   in Loop: Header=BB4_174 Depth=3
	s_or_b32 exec_lo, exec_lo, s89
	s_delay_alu instid0(VALU_DEP_1) | instskip(NEXT) | instid1(VALU_DEP_3)
	v_sub_nc_u32_e32 v15, v15, v17
	v_add_nc_u64_e32 v[18:19], v[8:9], v[12:13]
	s_wait_loadcnt_dscnt 0x0
	flat_store_b16 v[8:9], v16 th:TH_STORE_NT
	v_add_nc_u64_e32 v[10:11], v[10:11], v[12:13]
	v_cmp_gt_i32_e32 vcc_lo, 2, v15
	s_wait_xcnt 0x0
	v_add_nc_u64_e32 v[8:9], 64, v[18:19]
	s_or_b32 s40, vcc_lo, s40
	s_and_not1_b32 s41, s41, exec_lo
	s_and_b32 s89, s88, exec_lo
	s_delay_alu instid0(SALU_CYCLE_1)
	s_or_b32 s41, s41, s89
	s_and_not1_b32 exec_lo, exec_lo, s40
	s_cbranch_execz .LBB4_178
.LBB4_174:                              ;   Parent Loop BB4_47 Depth=1
                                        ;     Parent Loop BB4_57 Depth=2
                                        ; =>    This Inner Loop Header: Depth=3
	flat_load_u16 v16, v[10:11] th:TH_LOAD_NT
	s_wait_xcnt 0x0
	s_and_saveexec_b32 s89, s88
	s_cbranch_execz .LBB4_176
; %bb.175:                              ;   in Loop: Header=BB4_174 Depth=3
	v_add_nc_u64_e32 v[12:13], v[8:9], v[100:101]
	flat_store_b16 v[8:9], v14 th:TH_STORE_NT
	s_wait_xcnt 0x0
	v_mov_b64_e32 v[8:9], v[12:13]
.LBB4_176:                              ;   in Loop: Header=BB4_174 Depth=3
	s_or_b32 exec_lo, exec_lo, s89
	v_dual_sub_nc_u32 v15, v15, v77 :: v_dual_mov_b32 v17, 0
	v_add_nc_u64_e32 v[10:11], v[10:11], v[100:101]
	v_mov_b64_e32 v[12:13], 0
	s_delay_alu instid0(VALU_DEP_3)
	v_cmp_lt_i32_e64 s88, 1, v15
	s_and_saveexec_b32 s89, s88
	s_cbranch_execz .LBB4_173
; %bb.177:                              ;   in Loop: Header=BB4_174 Depth=3
	flat_load_u16 v14, v[10:11] th:TH_LOAD_NT
	s_wait_xcnt 0x0
	v_add_nc_u64_e32 v[10:11], 64, v[10:11]
	v_mov_b64_e32 v[12:13], v[84:85]
	v_mov_b32_e32 v17, v77
	s_branch .LBB4_173
.LBB4_178:                              ;   in Loop: Header=BB4_57 Depth=2
	s_or_b32 exec_lo, exec_lo, s40
	s_delay_alu instid0(SALU_CYCLE_1)
	s_and_b32 exec_lo, exec_lo, s41
	s_cbranch_execz .LBB4_180
; %bb.179:                              ;   in Loop: Header=BB4_57 Depth=2
	flat_store_b16 v[8:9], v14 th:TH_STORE_NT
.LBB4_180:                              ;   in Loop: Header=BB4_57 Depth=2
	s_wait_xcnt 0x0
	s_or_b32 exec_lo, exec_lo, s13
	v_cmp_lt_i32_e64 s13, 0, v2
	s_and_saveexec_b32 s40, s2
	s_cbranch_execz .LBB4_199
.LBB4_181:                              ;   in Loop: Header=BB4_57 Depth=2
	s_and_saveexec_b32 s41, s3
	s_delay_alu instid0(SALU_CYCLE_1)
	s_xor_b32 s41, exec_lo, s41
	s_cbranch_execz .LBB4_196
; %bb.182:                              ;   in Loop: Header=BB4_57 Depth=2
	s_and_saveexec_b32 s88, s6
	s_cbranch_execz .LBB4_195
; %bb.183:                              ;   in Loop: Header=BB4_57 Depth=2
	s_mov_b32 s90, exec_lo
	s_mov_b32 s89, exec_lo
	v_mbcnt_lo_u32_b32 v2, s90, 0
	global_wb scope:SCOPE_DEV
	s_wait_storecnt 0x0
	s_wait_loadcnt_dscnt 0x0
	global_inv scope:SCOPE_DEV
	v_cmpx_eq_u32_e32 0, v2
	s_cbranch_execz .LBB4_185
; %bb.184:                              ;   in Loop: Header=BB4_57 Depth=2
	s_bcnt1_i32_b32 s90, s90
	s_delay_alu instid0(SALU_CYCLE_1)
	v_mov_b32_e32 v2, s90
	s_wait_loadcnt 0x0
	ds_add_u64 v0, v[2:3]
	s_trap 2
.LBB4_185:                              ;   in Loop: Header=BB4_57 Depth=2
	s_or_b32 exec_lo, exec_lo, s89
	s_trap 2
	ds_load_b64 v[8:9], v0
	s_wait_dscnt 0x0
	v_add_nc_u64_e32 v[48:49], v[48:49], v[52:53]
	s_mov_b32 s89, exec_lo
	s_delay_alu instid0(VALU_DEP_1)
	v_cmpx_lt_u64_e64 v[8:9], v[48:49]
	s_cbranch_execz .LBB4_194
; %bb.186:                              ;   in Loop: Header=BB4_57 Depth=2
	s_mov_b32 s90, 0
	s_mov_b32 s93, 0
                                        ; implicit-def: $sgpr91
                                        ; implicit-def: $sgpr92
	s_branch .LBB4_188
.LBB4_187:                              ;   in Loop: Header=BB4_188 Depth=3
	s_or_b32 exec_lo, exec_lo, s95
	s_delay_alu instid0(SALU_CYCLE_1) | instskip(NEXT) | instid1(SALU_CYCLE_1)
	s_and_b32 s94, exec_lo, vcc_lo
	s_or_b32 s90, s94, s90
	s_and_not1_b32 s91, s91, exec_lo
	s_and_b32 s94, s92, exec_lo
	s_delay_alu instid0(SALU_CYCLE_1)
	s_or_b32 s91, s91, s94
	s_and_not1_b32 exec_lo, exec_lo, s90
	s_cbranch_execz .LBB4_192
.LBB4_188:                              ;   Parent Loop BB4_47 Depth=1
                                        ;     Parent Loop BB4_57 Depth=2
                                        ; =>    This Inner Loop Header: Depth=3
	s_add_co_i32 s93, s93, 1
	s_delay_alu instid0(SALU_CYCLE_1) | instskip(SKIP_1) | instid1(SALU_CYCLE_1)
	s_cmp_lg_u32 s93, 0x2710
	s_cselect_b32 s94, -1, 0
	s_and_b32 vcc_lo, exec_lo, s94
	s_cbranch_vccz .LBB4_190
; %bb.189:                              ;   in Loop: Header=BB4_188 Depth=3
	s_mov_b32 vcc_lo, -1
	s_or_b32 s92, s92, exec_lo
	s_and_saveexec_b32 s95, s94
	s_cbranch_execz .LBB4_187
	s_branch .LBB4_191
.LBB4_190:                              ;   in Loop: Header=BB4_188 Depth=3
	s_trap 2
	ds_load_b64 v[8:9], v0
	s_and_not1_b32 s94, s94, exec_lo
	s_mov_b32 s93, 0
	s_wait_loadcnt_dscnt 0x0
	flat_load_b32 v2, v[8:9] scope:SCOPE_SYS
	s_wait_loadcnt_dscnt 0x0
	global_inv scope:SCOPE_SYS
	v_cmp_eq_u32_e32 vcc_lo, 0, v2
	s_and_b32 s95, vcc_lo, exec_lo
	s_delay_alu instid0(SALU_CYCLE_1)
	s_or_b32 s94, s94, s95
	s_mov_b32 vcc_lo, -1
	s_or_b32 s92, s92, exec_lo
	s_and_saveexec_b32 s95, s94
	s_cbranch_execz .LBB4_187
.LBB4_191:                              ;   in Loop: Header=BB4_188 Depth=3
	s_sleep 1
	s_trap 2
	ds_load_b64 v[8:9], v0
	s_wait_dscnt 0x0
	s_and_not1_b32 s92, s92, exec_lo
	v_cmp_ge_u64_e32 vcc_lo, v[8:9], v[48:49]
	s_or_not1_b32 vcc_lo, vcc_lo, exec_lo
	s_branch .LBB4_187
.LBB4_192:                              ;   in Loop: Header=BB4_57 Depth=2
	s_or_b32 exec_lo, exec_lo, s90
	s_and_saveexec_b32 s90, s91
	s_delay_alu instid0(SALU_CYCLE_1)
	s_xor_b32 s90, exec_lo, s90
	s_cbranch_execz .LBB4_194
; %bb.193:                              ;   in Loop: Header=BB4_57 Depth=2
	ds_store_b32 v0, v73
	s_trap 2
.LBB4_194:                              ;   in Loop: Header=BB4_57 Depth=2
	s_or_b32 exec_lo, exec_lo, s89
	;;#ASMSTART
	s_wakeup
	;;#ASMEND
.LBB4_195:                              ;   in Loop: Header=BB4_57 Depth=2
	s_or_b32 exec_lo, exec_lo, s88
.LBB4_196:                              ;   in Loop: Header=BB4_57 Depth=2
	s_and_not1_saveexec_b32 s41, s41
	s_cbranch_execz .LBB4_198
; %bb.197:                              ;   in Loop: Header=BB4_57 Depth=2
	global_wb scope:SCOPE_DEV
	s_wait_storecnt 0x0
	s_wait_loadcnt_dscnt 0x0
	global_inv scope:SCOPE_DEV
	s_barrier_signal -1
	s_barrier_wait -1
.LBB4_198:                              ;   in Loop: Header=BB4_57 Depth=2
	s_or_b32 exec_lo, exec_lo, s41
.LBB4_199:                              ;   in Loop: Header=BB4_57 Depth=2
	s_delay_alu instid0(SALU_CYCLE_1) | instskip(SKIP_2) | instid1(SALU_CYCLE_1)
	s_or_b32 exec_lo, exec_lo, s40
	v_and_b32_e32 v8, 16, v30
	s_and_saveexec_b32 s40, s7
	s_xor_b32 s40, exec_lo, s40
	s_cbranch_execz .LBB4_203
; %bb.200:                              ;   in Loop: Header=BB4_57 Depth=2
	v_and_b32_e32 v2, 16, v30
	v_and_b32_e32 v8, 16, v30
	s_delay_alu instid0(VALU_DEP_2) | instskip(SKIP_1) | instid1(SALU_CYCLE_1)
	v_cmp_ne_u32_e32 vcc_lo, 0, v2
	s_and_b32 s41, vcc_lo, s13
	s_and_saveexec_b32 s13, s41
	s_cbranch_execz .LBB4_202
; %bb.201:                              ;   in Loop: Header=BB4_57 Depth=2
	v_mov_b32_e32 v8, 1
	global_wb scope:SCOPE_SYS
	s_wait_storecnt 0x0
	s_wait_loadcnt_dscnt 0x0
	global_inv scope:SCOPE_SYS
.LBB4_202:                              ;   in Loop: Header=BB4_57 Depth=2
	s_or_b32 exec_lo, exec_lo, s13
.LBB4_203:                              ;   in Loop: Header=BB4_57 Depth=2
	s_and_not1_saveexec_b32 s13, s40
	s_cbranch_execz .LBB4_222
; %bb.204:                              ;   in Loop: Header=BB4_57 Depth=2
	s_and_saveexec_b32 s40, s3
	s_delay_alu instid0(SALU_CYCLE_1)
	s_xor_b32 s40, exec_lo, s40
	s_cbranch_execz .LBB4_219
; %bb.205:                              ;   in Loop: Header=BB4_57 Depth=2
	s_and_saveexec_b32 s41, s6
	s_cbranch_execz .LBB4_218
; %bb.206:                              ;   in Loop: Header=BB4_57 Depth=2
	s_mov_b32 s89, exec_lo
	s_mov_b32 s88, exec_lo
	v_mbcnt_lo_u32_b32 v2, s89, 0
	;;#ASMSTART
	s_waitcnt lgkmcnt(0) vmcnt(0)
	;;#ASMEND
	s_delay_alu instid0(VALU_DEP_1)
	v_cmpx_eq_u32_e32 0, v2
	s_cbranch_execz .LBB4_208
; %bb.207:                              ;   in Loop: Header=BB4_57 Depth=2
	s_bcnt1_i32_b32 s89, s89
	s_delay_alu instid0(SALU_CYCLE_1)
	v_mov_b32_e32 v2, s89
	s_wait_storecnt 0x0
	s_wait_loadcnt_dscnt 0x0
	ds_add_u64 v0, v[2:3]
	s_trap 2
.LBB4_208:                              ;   in Loop: Header=BB4_57 Depth=2
	s_or_b32 exec_lo, exec_lo, s88
	s_trap 2
	ds_load_b64 v[10:11], v0
	s_wait_dscnt 0x0
	v_add_nc_u64_e32 v[48:49], v[48:49], v[52:53]
	s_mov_b32 s88, exec_lo
	s_delay_alu instid0(VALU_DEP_1)
	v_cmpx_lt_u64_e64 v[10:11], v[48:49]
	s_cbranch_execz .LBB4_217
; %bb.209:                              ;   in Loop: Header=BB4_57 Depth=2
	s_mov_b32 s89, 0
	s_mov_b32 s92, 0
                                        ; implicit-def: $sgpr90
                                        ; implicit-def: $sgpr91
	s_branch .LBB4_211
.LBB4_210:                              ;   in Loop: Header=BB4_211 Depth=3
	s_or_b32 exec_lo, exec_lo, s94
	s_delay_alu instid0(SALU_CYCLE_1) | instskip(NEXT) | instid1(SALU_CYCLE_1)
	s_and_b32 s93, exec_lo, s95
	s_or_b32 s89, s93, s89
	s_and_not1_b32 s90, s90, exec_lo
	s_and_b32 s93, s91, exec_lo
	s_delay_alu instid0(SALU_CYCLE_1)
	s_or_b32 s90, s90, s93
	s_and_not1_b32 exec_lo, exec_lo, s89
	s_cbranch_execz .LBB4_215
.LBB4_211:                              ;   Parent Loop BB4_47 Depth=1
                                        ;     Parent Loop BB4_57 Depth=2
                                        ; =>    This Inner Loop Header: Depth=3
	s_add_co_i32 s92, s92, 1
	s_delay_alu instid0(SALU_CYCLE_1) | instskip(SKIP_1) | instid1(SALU_CYCLE_1)
	s_cmp_lg_u32 s92, 0x2710
	s_cselect_b32 s93, -1, 0
	s_and_b32 vcc_lo, exec_lo, s93
	s_cbranch_vccz .LBB4_213
; %bb.212:                              ;   in Loop: Header=BB4_211 Depth=3
	s_mov_b32 s95, -1
	s_or_b32 s91, s91, exec_lo
	s_and_saveexec_b32 s94, s93
	s_cbranch_execz .LBB4_210
	s_branch .LBB4_214
.LBB4_213:                              ;   in Loop: Header=BB4_211 Depth=3
	s_trap 2
	ds_load_b64 v[10:11], v0
	s_and_not1_b32 s93, s93, exec_lo
	s_mov_b32 s92, 0
	s_wait_storecnt 0x0
	s_wait_loadcnt_dscnt 0x0
	flat_load_b32 v2, v[10:11] scope:SCOPE_SYS
	s_wait_loadcnt_dscnt 0x0
	global_inv scope:SCOPE_SYS
	v_cmp_eq_u32_e32 vcc_lo, 0, v2
	s_and_b32 s94, vcc_lo, exec_lo
	s_delay_alu instid0(SALU_CYCLE_1)
	s_or_b32 s93, s93, s94
	s_mov_b32 s95, -1
	s_or_b32 s91, s91, exec_lo
	s_and_saveexec_b32 s94, s93
	s_cbranch_execz .LBB4_210
.LBB4_214:                              ;   in Loop: Header=BB4_211 Depth=3
	s_sleep 1
	s_trap 2
	ds_load_b64 v[10:11], v0
	s_wait_dscnt 0x0
	s_and_not1_b32 s91, s91, exec_lo
	v_cmp_ge_u64_e32 vcc_lo, v[10:11], v[48:49]
	s_or_not1_b32 s95, vcc_lo, exec_lo
	s_branch .LBB4_210
.LBB4_215:                              ;   in Loop: Header=BB4_57 Depth=2
	s_or_b32 exec_lo, exec_lo, s89
	s_and_saveexec_b32 s89, s90
	s_delay_alu instid0(SALU_CYCLE_1)
	s_xor_b32 s89, exec_lo, s89
	s_cbranch_execz .LBB4_217
; %bb.216:                              ;   in Loop: Header=BB4_57 Depth=2
	ds_store_b32 v0, v73
	s_trap 2
.LBB4_217:                              ;   in Loop: Header=BB4_57 Depth=2
	s_or_b32 exec_lo, exec_lo, s88
	;;#ASMSTART
	s_wakeup
	;;#ASMEND
.LBB4_218:                              ;   in Loop: Header=BB4_57 Depth=2
	s_or_b32 exec_lo, exec_lo, s41
.LBB4_219:                              ;   in Loop: Header=BB4_57 Depth=2
	s_and_not1_saveexec_b32 s40, s40
	s_cbranch_execz .LBB4_221
; %bb.220:                              ;   in Loop: Header=BB4_57 Depth=2
	;;#ASMSTART
	s_waitcnt lgkmcnt(0) vmcnt(0)
	;;#ASMEND
	s_barrier_signal -1
	s_barrier_wait -1
.LBB4_221:                              ;   in Loop: Header=BB4_57 Depth=2
	s_or_b32 exec_lo, exec_lo, s40
.LBB4_222:                              ;   in Loop: Header=BB4_57 Depth=2
	s_delay_alu instid0(SALU_CYCLE_1) | instskip(NEXT) | instid1(SALU_CYCLE_1)
	s_or_b32 exec_lo, exec_lo, s13
	s_mov_b32 s13, exec_lo
	v_cmpx_ne_u32_e32 0, v8
	s_cbranch_execz .LBB4_56
; %bb.223:                              ;   in Loop: Header=BB4_57 Depth=2
	s_and_saveexec_b32 s40, s5
	s_cbranch_execz .LBB4_55
; %bb.224:                              ;   in Loop: Header=BB4_57 Depth=2
	global_wb scope:SCOPE_SYS
	s_wait_storecnt 0x0
	s_wait_loadcnt_dscnt 0x0
	flat_store_b32 v[38:39], v73 scope:SCOPE_SYS
	s_branch .LBB4_55
.LBB4_225:                              ;   in Loop: Header=BB4_47 Depth=1
	s_or_b32 exec_lo, exec_lo, s15
.LBB4_226:                              ;   in Loop: Header=BB4_47 Depth=1
	s_delay_alu instid0(SALU_CYCLE_1) | instskip(NEXT) | instid1(SALU_CYCLE_1)
	s_or_b32 exec_lo, exec_lo, s14
	s_mov_b32 s14, exec_lo
	v_cmpx_gt_i32_e32 2, v2
	s_cbranch_execz .LBB4_300
; %bb.227:                              ;   in Loop: Header=BB4_47 Depth=1
	v_cmp_eq_u32_e64 s18, 0, v2
	s_mov_b32 s15, 0
	s_branch .LBB4_230
.LBB4_228:                              ;   in Loop: Header=BB4_230 Depth=2
	s_wait_xcnt 0x0
	s_or_b32 exec_lo, exec_lo, s18
	v_add_nc_u64_e32 v[114:115], 2, v[114:115]
	global_wb scope:SCOPE_SYS
	s_wait_storecnt 0x0
	s_wait_loadcnt_dscnt 0x0
	flat_store_b64 v[32:33], v[114:115] scope:SCOPE_SYS
.LBB4_229:                              ;   in Loop: Header=BB4_230 Depth=2
	s_wait_xcnt 0x0
	s_or_b32 exec_lo, exec_lo, s13
	v_add_nc_u32_e32 v42, v40, v42
	s_mov_b32 s18, 0
	s_and_not1_b32 exec_lo, exec_lo, s15
	s_cbranch_execz .LBB4_299
.LBB4_230:                              ;   Parent Loop BB4_47 Depth=1
                                        ; =>  This Loop Header: Depth=2
                                        ;       Child Loop BB4_236 Depth 3
                                        ;       Child Loop BB4_260 Depth 3
	;; [unrolled: 1-line block ×3, first 2 shown]
	s_delay_alu instid0(VALU_DEP_1) | instskip(SKIP_2) | instid1(VALU_DEP_2)
	v_sub_nc_u32_e32 v2, v88, v42
	v_and_b32_e32 v8, 8, v30
	s_mov_b32 s27, exec_lo
	v_min_i32_e32 v40, v40, v2
	s_delay_alu instid0(VALU_DEP_2)
	v_cmpx_ne_u32_e32 0, v8
	s_cbranch_execz .LBB4_252
; %bb.231:                              ;   in Loop: Header=BB4_230 Depth=2
	s_wait_loadcnt_dscnt 0x1
	v_add_nc_u64_e32 v[10:11], 8, v[50:51]
	v_add_nc_u64_e32 v[8:9], 2, v[114:115]
	s_mov_b32 s40, exec_lo
	s_delay_alu instid0(VALU_DEP_1)
	v_cmpx_lt_u64_e64 v[10:11], v[8:9]
	s_cbranch_execz .LBB4_243
; %bb.232:                              ;   in Loop: Header=BB4_230 Depth=2
	v_and_b32_e32 v2, 64, v30
	s_mov_b32 s41, 0
	s_mov_b32 s91, 0
                                        ; implicit-def: $sgpr88
                                        ; implicit-def: $sgpr89
                                        ; implicit-def: $sgpr90
	s_delay_alu instid0(VALU_DEP_1)
	v_cmp_eq_u32_e32 vcc_lo, 0, v2
	s_branch .LBB4_236
.LBB4_233:                              ;   in Loop: Header=BB4_236 Depth=3
	s_wait_loadcnt_dscnt 0x0
	v_add_nc_u64_e32 v[10:11], 8, v[50:51]
	s_or_b32 s94, s94, exec_lo
	s_delay_alu instid0(VALU_DEP_1)
	v_cmp_ge_u64_e64 s13, v[10:11], v[8:9]
	s_or_not1_b32 s93, s13, exec_lo
.LBB4_234:                              ;   in Loop: Header=BB4_236 Depth=3
	s_or_b32 exec_lo, exec_lo, vcc_hi
	s_delay_alu instid0(SALU_CYCLE_1)
	s_and_not1_b32 s13, s90, exec_lo
	s_and_b32 s90, s94, exec_lo
	s_and_not1_b32 s89, s89, exec_lo
	s_and_b32 s93, s93, exec_lo
	s_or_b32 s90, s13, s90
	s_or_b32 s89, s89, s93
.LBB4_235:                              ;   in Loop: Header=BB4_236 Depth=3
	s_or_b32 exec_lo, exec_lo, s92
	s_delay_alu instid0(SALU_CYCLE_1) | instskip(NEXT) | instid1(SALU_CYCLE_1)
	s_and_b32 s13, exec_lo, s89
	s_or_b32 s41, s13, s41
	s_and_not1_b32 s13, s88, exec_lo
	s_and_b32 s88, s90, exec_lo
	s_delay_alu instid0(SALU_CYCLE_1)
	s_or_b32 s88, s13, s88
	s_and_not1_b32 exec_lo, exec_lo, s41
	s_cbranch_execz .LBB4_240
.LBB4_236:                              ;   Parent Loop BB4_47 Depth=1
                                        ;     Parent Loop BB4_230 Depth=2
                                        ; =>    This Inner Loop Header: Depth=3
	s_sleep 1
	s_wait_loadcnt_dscnt 0x0
	flat_load_b64 v[50:51], v[32:33] scope:SCOPE_SYS
	s_or_b32 s90, s90, exec_lo
	s_or_b32 s89, s89, exec_lo
                                        ; implicit-def: $vgpr2
	s_wait_xcnt 0x0
	s_and_saveexec_b32 s92, vcc_lo
	s_cbranch_execz .LBB4_235
; %bb.237:                              ;   in Loop: Header=BB4_236 Depth=3
	s_cmp_lt_i32 s91, 0x270f
	s_mov_b32 s93, -1
	s_cselect_b32 s95, -1, 0
	s_cmp_gt_i32 s91, 0x270e
	s_cbranch_scc0 .LBB4_239
; %bb.238:                              ;   in Loop: Header=BB4_236 Depth=3
	s_trap 2
	ds_load_b64 v[10:11], v0
	s_and_not1_b32 s91, s95, exec_lo
	s_mov_b32 s94, 0
	s_wait_storecnt 0x0
	s_wait_loadcnt_dscnt 0x0
	flat_load_b32 v2, v[10:11] scope:SCOPE_SYS
	s_wait_loadcnt_dscnt 0x0
	global_inv scope:SCOPE_SYS
	v_cmp_eq_u32_e64 s13, 0, v2
	s_and_b32 s13, s13, exec_lo
	s_delay_alu instid0(SALU_CYCLE_1)
	s_or_b32 s95, s91, s13
	s_mov_b32 s91, 0
	s_and_saveexec_b32 vcc_hi, s95
	s_cbranch_execz .LBB4_234
	s_branch .LBB4_233
.LBB4_239:                              ;   in Loop: Header=BB4_236 Depth=3
	s_add_co_i32 s91, s91, 1
	s_mov_b32 s94, -1
                                        ; implicit-def: $vgpr2
	s_and_saveexec_b32 vcc_hi, s95
	s_cbranch_execz .LBB4_234
	s_branch .LBB4_233
.LBB4_240:                              ;   in Loop: Header=BB4_230 Depth=2
	s_or_b32 exec_lo, exec_lo, s41
	s_xor_b32 s13, s88, -1
	s_delay_alu instid0(SALU_CYCLE_1) | instskip(NEXT) | instid1(SALU_CYCLE_1)
	s_and_saveexec_b32 s41, s13
	s_xor_b32 s13, exec_lo, s41
	s_cbranch_execz .LBB4_242
; %bb.241:                              ;   in Loop: Header=BB4_230 Depth=2
	v_or_b32_e32 v30, 64, v30
	s_wait_storecnt 0x0
	s_wait_loadcnt_dscnt 0x0
	ds_store_b32 v0, v2
	s_trap 2
.LBB4_242:                              ;   in Loop: Header=BB4_230 Depth=2
	s_or_b32 exec_lo, exec_lo, s13
.LBB4_243:                              ;   in Loop: Header=BB4_230 Depth=2
	s_delay_alu instid0(SALU_CYCLE_1) | instskip(SKIP_4) | instid1(VALU_DEP_1)
	s_or_b32 exec_lo, exec_lo, s40
	v_and_b32_e32 v2, 0x100, v30
	s_mov_b32 s40, 0
	s_mov_b32 s13, exec_lo
	;;#ASMSTART
	s_wakeup
	;;#ASMEND
                                        ; implicit-def: $vgpr10_vgpr11
	v_cmpx_ne_u32_e32 0, v2
	s_xor_b32 s13, exec_lo, s13
	s_cbranch_execz .LBB4_264
; %bb.244:                              ;   in Loop: Header=BB4_230 Depth=2
	v_dual_ashrrev_i32 v41, 31, v40 :: v_dual_bitop2_b32 v2, 7, v114 bitop3:0x40
	s_mov_b32 s40, -1
	s_mov_b32 s41, exec_lo
	s_delay_alu instid0(VALU_DEP_1) | instskip(NEXT) | instid1(VALU_DEP_2)
	v_mad_nc_u64_u32 v[12:13], v2, 24, v[6:7]
	v_lshlrev_b64_e32 v[10:11], 1, v[40:41]
	s_clause 0x1
	flat_load_b32 v14, v[12:13]
	flat_store_b64 v[12:13], v[10:11] offset:8
                                        ; implicit-def: $vgpr10_vgpr11
	s_wait_loadcnt_dscnt 0x1
	v_cmpx_eq_u32_e32 1, v14
	s_cbranch_execz .LBB4_246
; %bb.245:                              ;   in Loop: Header=BB4_230 Depth=2
	flat_load_b32 v10, v[12:13] offset:4 scope:SCOPE_SYS
	s_xor_b32 s40, exec_lo, -1
	s_wait_loadcnt_dscnt 0x0
	v_ashrrev_i32_e32 v11, 31, v10
	s_delay_alu instid0(VALU_DEP_1)
	v_lshrrev_b64 v[10:11], 1, v[10:11]
.LBB4_246:                              ;   in Loop: Header=BB4_230 Depth=2
	s_wait_xcnt 0x0
	s_or_b32 exec_lo, exec_lo, s41
	s_delay_alu instid0(SALU_CYCLE_1)
	s_and_b32 s40, s40, exec_lo
                                        ; implicit-def: $vgpr114_vgpr115
	s_and_not1_saveexec_b32 s13, s13
	s_cbranch_execnz .LBB4_265
.LBB4_247:                              ;   in Loop: Header=BB4_230 Depth=2
	s_or_b32 exec_lo, exec_lo, s13
	s_and_saveexec_b32 s13, s40
.LBB4_248:                              ;   in Loop: Header=BB4_230 Depth=2
	v_mul_u64_e32 v[10:11], v[2:3], v[34:35]
.LBB4_249:                              ;   in Loop: Header=BB4_230 Depth=2
	s_or_b32 exec_lo, exec_lo, s13
	v_and_b32_e32 v2, 0x2000, v30
	s_delay_alu instid0(VALU_DEP_2)
	v_lshl_add_u64 v[10:11], v[10:11], 1, v[36:37]
	s_mov_b32 s13, exec_lo
	ds_store_b64 v0, v[10:11] offset:784
	v_cmpx_ne_u32_e32 0, v2
	s_cbranch_execz .LBB4_251
; %bb.250:                              ;   in Loop: Header=BB4_230 Depth=2
	ds_load_b64 v[10:11], v0 offset:872
	s_wait_dscnt 0x0
	v_add_nc_u64_e32 v[10:11], 1, v[10:11]
	ds_store_b64 v0, v[10:11] offset:872
.LBB4_251:                              ;   in Loop: Header=BB4_230 Depth=2
	s_or_b32 exec_lo, exec_lo, s13
	v_mov_b64_e32 v[114:115], v[8:9]
.LBB4_252:                              ;   in Loop: Header=BB4_230 Depth=2
	s_or_b32 exec_lo, exec_lo, s27
	s_xor_b32 s13, s18, -1
	s_delay_alu instid0(SALU_CYCLE_1) | instskip(NEXT) | instid1(SALU_CYCLE_1)
	s_and_b32 s13, exec_lo, s13
	s_or_b32 s15, s13, s15
	s_and_saveexec_b32 s13, s2
	s_cbranch_execz .LBB4_273
; %bb.253:                              ;   in Loop: Header=BB4_230 Depth=2
	s_and_saveexec_b32 s18, s3
	s_delay_alu instid0(SALU_CYCLE_1)
	s_xor_b32 s18, exec_lo, s18
	s_cbranch_execz .LBB4_270
; %bb.254:                              ;   in Loop: Header=BB4_230 Depth=2
	s_and_saveexec_b32 s27, s6
	s_cbranch_execz .LBB4_269
; %bb.255:                              ;   in Loop: Header=BB4_230 Depth=2
	s_mov_b32 s41, exec_lo
	s_mov_b32 s40, exec_lo
	v_mbcnt_lo_u32_b32 v2, s41, 0
	global_wb scope:SCOPE_DEV
	s_wait_storecnt 0x0
	s_wait_loadcnt_dscnt 0x0
	global_inv scope:SCOPE_DEV
	v_cmpx_eq_u32_e32 0, v2
	s_cbranch_execz .LBB4_257
; %bb.256:                              ;   in Loop: Header=BB4_230 Depth=2
	s_bcnt1_i32_b32 s41, s41
	s_delay_alu instid0(SALU_CYCLE_1)
	v_mov_b32_e32 v2, s41
	s_wait_loadcnt 0x0
	ds_add_u64 v0, v[2:3]
	s_trap 2
.LBB4_257:                              ;   in Loop: Header=BB4_230 Depth=2
	s_or_b32 exec_lo, exec_lo, s40
	s_trap 2
	ds_load_b64 v[8:9], v0
	s_wait_dscnt 0x0
	v_add_nc_u64_e32 v[48:49], v[48:49], v[52:53]
	s_mov_b32 s40, exec_lo
	s_delay_alu instid0(VALU_DEP_1)
	v_cmpx_lt_u64_e64 v[8:9], v[48:49]
	s_cbranch_execz .LBB4_268
; %bb.258:                              ;   in Loop: Header=BB4_230 Depth=2
	s_mov_b32 s41, 0
	s_mov_b32 s90, 0
                                        ; implicit-def: $sgpr88
                                        ; implicit-def: $sgpr89
	s_branch .LBB4_260
.LBB4_259:                              ;   in Loop: Header=BB4_260 Depth=3
	s_or_b32 exec_lo, exec_lo, s92
	s_delay_alu instid0(SALU_CYCLE_1) | instskip(NEXT) | instid1(SALU_CYCLE_1)
	s_and_b32 s91, exec_lo, s93
	s_or_b32 s41, s91, s41
	s_and_not1_b32 s88, s88, exec_lo
	s_and_b32 s91, s89, exec_lo
	s_delay_alu instid0(SALU_CYCLE_1)
	s_or_b32 s88, s88, s91
	s_and_not1_b32 exec_lo, exec_lo, s41
	s_cbranch_execz .LBB4_266
.LBB4_260:                              ;   Parent Loop BB4_47 Depth=1
                                        ;     Parent Loop BB4_230 Depth=2
                                        ; =>    This Inner Loop Header: Depth=3
	s_add_co_i32 s90, s90, 1
	s_delay_alu instid0(SALU_CYCLE_1) | instskip(SKIP_1) | instid1(SALU_CYCLE_1)
	s_cmp_lg_u32 s90, 0x2710
	s_cselect_b32 s91, -1, 0
	s_and_b32 vcc_lo, exec_lo, s91
	s_cbranch_vccz .LBB4_262
; %bb.261:                              ;   in Loop: Header=BB4_260 Depth=3
	s_mov_b32 s93, -1
	s_or_b32 s89, s89, exec_lo
	s_and_saveexec_b32 s92, s91
	s_cbranch_execz .LBB4_259
	s_branch .LBB4_263
.LBB4_262:                              ;   in Loop: Header=BB4_260 Depth=3
	s_trap 2
	ds_load_b64 v[8:9], v0
	s_and_not1_b32 s91, s91, exec_lo
	s_mov_b32 s90, 0
	s_wait_loadcnt_dscnt 0x0
	flat_load_b32 v2, v[8:9] scope:SCOPE_SYS
	s_wait_loadcnt_dscnt 0x0
	global_inv scope:SCOPE_SYS
	v_cmp_eq_u32_e32 vcc_lo, 0, v2
	s_and_b32 s92, vcc_lo, exec_lo
	s_delay_alu instid0(SALU_CYCLE_1)
	s_or_b32 s91, s91, s92
	s_mov_b32 s93, -1
	s_or_b32 s89, s89, exec_lo
	s_and_saveexec_b32 s92, s91
	s_cbranch_execz .LBB4_259
.LBB4_263:                              ;   in Loop: Header=BB4_260 Depth=3
	s_sleep 1
	s_trap 2
	ds_load_b64 v[8:9], v0
	s_wait_dscnt 0x0
	s_and_not1_b32 s89, s89, exec_lo
	v_cmp_ge_u64_e32 vcc_lo, v[8:9], v[48:49]
	s_or_not1_b32 s93, vcc_lo, exec_lo
	s_branch .LBB4_259
.LBB4_264:                              ;   in Loop: Header=BB4_230 Depth=2
	s_and_not1_saveexec_b32 s13, s13
	s_cbranch_execz .LBB4_247
.LBB4_265:                              ;   in Loop: Header=BB4_230 Depth=2
	v_and_b32_e32 v2, 7, v114
	s_or_b32 s40, s40, exec_lo
	s_or_b32 exec_lo, exec_lo, s13
	s_and_saveexec_b32 s13, s40
	s_cbranch_execnz .LBB4_248
	s_branch .LBB4_249
.LBB4_266:                              ;   in Loop: Header=BB4_230 Depth=2
	s_or_b32 exec_lo, exec_lo, s41
	s_and_saveexec_b32 s41, s88
	s_delay_alu instid0(SALU_CYCLE_1)
	s_xor_b32 s41, exec_lo, s41
	s_cbranch_execz .LBB4_268
; %bb.267:                              ;   in Loop: Header=BB4_230 Depth=2
	ds_store_b32 v0, v73
	s_trap 2
.LBB4_268:                              ;   in Loop: Header=BB4_230 Depth=2
	s_or_b32 exec_lo, exec_lo, s40
	;;#ASMSTART
	s_wakeup
	;;#ASMEND
.LBB4_269:                              ;   in Loop: Header=BB4_230 Depth=2
	s_or_b32 exec_lo, exec_lo, s27
.LBB4_270:                              ;   in Loop: Header=BB4_230 Depth=2
	s_and_not1_saveexec_b32 s18, s18
	s_cbranch_execz .LBB4_272
; %bb.271:                              ;   in Loop: Header=BB4_230 Depth=2
	global_wb scope:SCOPE_DEV
	s_wait_storecnt 0x0
	s_wait_loadcnt_dscnt 0x0
	global_inv scope:SCOPE_DEV
	s_barrier_signal -1
	s_barrier_wait -1
.LBB4_272:                              ;   in Loop: Header=BB4_230 Depth=2
	s_or_b32 exec_lo, exec_lo, s18
.LBB4_273:                              ;   in Loop: Header=BB4_230 Depth=2
	s_delay_alu instid0(SALU_CYCLE_1) | instskip(SKIP_2) | instid1(SALU_CYCLE_1)
	s_or_b32 exec_lo, exec_lo, s13
	v_and_b32_e32 v8, 16, v30
	s_and_saveexec_b32 s13, s7
	s_xor_b32 s18, exec_lo, s13
	s_cbranch_execz .LBB4_277
; %bb.274:                              ;   in Loop: Header=BB4_230 Depth=2
	s_trap 2
	ds_load_b32 v2, v0
	v_cmp_lt_i32_e32 vcc_lo, 0, v40
	v_and_b32_e32 v8, 16, v30
	s_wait_dscnt 0x0
	v_readfirstlane_b32 s13, v2
	v_and_b32_e32 v2, 16, v30
	s_cmp_eq_u32 s13, 0
	s_delay_alu instid0(VALU_DEP_1) | instskip(SKIP_1) | instid1(SALU_CYCLE_1)
	v_cmp_ne_u32_e64 s13, 0, v2
	s_cselect_b32 s27, -1, 0
	s_and_b32 s27, vcc_lo, s27
	s_delay_alu instid0(SALU_CYCLE_1) | instskip(NEXT) | instid1(SALU_CYCLE_1)
	s_and_b32 s27, s13, s27
	s_and_saveexec_b32 s13, s27
	s_cbranch_execz .LBB4_276
; %bb.275:                              ;   in Loop: Header=BB4_230 Depth=2
	v_mov_b32_e32 v8, 1
	global_wb scope:SCOPE_SYS
	s_wait_loadcnt 0x0
	s_wait_storecnt 0x0
	global_inv scope:SCOPE_SYS
.LBB4_276:                              ;   in Loop: Header=BB4_230 Depth=2
	s_or_b32 exec_lo, exec_lo, s13
.LBB4_277:                              ;   in Loop: Header=BB4_230 Depth=2
	s_and_not1_saveexec_b32 s13, s18
	s_cbranch_execz .LBB4_296
; %bb.278:                              ;   in Loop: Header=BB4_230 Depth=2
	s_and_saveexec_b32 s18, s3
	s_delay_alu instid0(SALU_CYCLE_1)
	s_xor_b32 s18, exec_lo, s18
	s_cbranch_execz .LBB4_293
; %bb.279:                              ;   in Loop: Header=BB4_230 Depth=2
	s_and_saveexec_b32 s27, s6
	s_cbranch_execz .LBB4_292
; %bb.280:                              ;   in Loop: Header=BB4_230 Depth=2
	s_mov_b32 s41, exec_lo
	s_mov_b32 s40, exec_lo
	v_mbcnt_lo_u32_b32 v2, s41, 0
	;;#ASMSTART
	s_waitcnt lgkmcnt(0) vmcnt(0)
	;;#ASMEND
	s_delay_alu instid0(VALU_DEP_1)
	v_cmpx_eq_u32_e32 0, v2
	s_cbranch_execz .LBB4_282
; %bb.281:                              ;   in Loop: Header=BB4_230 Depth=2
	s_bcnt1_i32_b32 s41, s41
	s_delay_alu instid0(SALU_CYCLE_1)
	v_mov_b32_e32 v2, s41
	s_wait_storecnt 0x0
	s_wait_loadcnt_dscnt 0x0
	ds_add_u64 v0, v[2:3]
	s_trap 2
.LBB4_282:                              ;   in Loop: Header=BB4_230 Depth=2
	s_or_b32 exec_lo, exec_lo, s40
	s_trap 2
	ds_load_b64 v[10:11], v0
	s_wait_dscnt 0x0
	v_add_nc_u64_e32 v[48:49], v[48:49], v[52:53]
	s_mov_b32 s40, exec_lo
	s_delay_alu instid0(VALU_DEP_1)
	v_cmpx_lt_u64_e64 v[10:11], v[48:49]
	s_cbranch_execz .LBB4_291
; %bb.283:                              ;   in Loop: Header=BB4_230 Depth=2
	s_mov_b32 s41, 0
	s_mov_b32 s90, 0
                                        ; implicit-def: $sgpr88
                                        ; implicit-def: $sgpr89
	s_branch .LBB4_285
.LBB4_284:                              ;   in Loop: Header=BB4_285 Depth=3
	s_or_b32 exec_lo, exec_lo, s92
	s_delay_alu instid0(SALU_CYCLE_1) | instskip(NEXT) | instid1(SALU_CYCLE_1)
	s_and_b32 s91, exec_lo, s93
	s_or_b32 s41, s91, s41
	s_and_not1_b32 s88, s88, exec_lo
	s_and_b32 s91, s89, exec_lo
	s_delay_alu instid0(SALU_CYCLE_1)
	s_or_b32 s88, s88, s91
	s_and_not1_b32 exec_lo, exec_lo, s41
	s_cbranch_execz .LBB4_289
.LBB4_285:                              ;   Parent Loop BB4_47 Depth=1
                                        ;     Parent Loop BB4_230 Depth=2
                                        ; =>    This Inner Loop Header: Depth=3
	s_add_co_i32 s90, s90, 1
	s_delay_alu instid0(SALU_CYCLE_1) | instskip(SKIP_1) | instid1(SALU_CYCLE_1)
	s_cmp_lg_u32 s90, 0x2710
	s_cselect_b32 s91, -1, 0
	s_and_b32 vcc_lo, exec_lo, s91
	s_cbranch_vccz .LBB4_287
; %bb.286:                              ;   in Loop: Header=BB4_285 Depth=3
	s_mov_b32 s93, -1
	s_or_b32 s89, s89, exec_lo
	s_and_saveexec_b32 s92, s91
	s_cbranch_execz .LBB4_284
	s_branch .LBB4_288
.LBB4_287:                              ;   in Loop: Header=BB4_285 Depth=3
	s_trap 2
	ds_load_b64 v[10:11], v0
	s_and_not1_b32 s91, s91, exec_lo
	s_mov_b32 s90, 0
	s_wait_storecnt 0x0
	s_wait_loadcnt_dscnt 0x0
	flat_load_b32 v2, v[10:11] scope:SCOPE_SYS
	s_wait_loadcnt_dscnt 0x0
	global_inv scope:SCOPE_SYS
	v_cmp_eq_u32_e32 vcc_lo, 0, v2
	s_and_b32 s92, vcc_lo, exec_lo
	s_delay_alu instid0(SALU_CYCLE_1)
	s_or_b32 s91, s91, s92
	s_mov_b32 s93, -1
	s_or_b32 s89, s89, exec_lo
	s_and_saveexec_b32 s92, s91
	s_cbranch_execz .LBB4_284
.LBB4_288:                              ;   in Loop: Header=BB4_285 Depth=3
	s_sleep 1
	s_trap 2
	ds_load_b64 v[10:11], v0
	s_wait_dscnt 0x0
	s_and_not1_b32 s89, s89, exec_lo
	v_cmp_ge_u64_e32 vcc_lo, v[10:11], v[48:49]
	s_or_not1_b32 s93, vcc_lo, exec_lo
	s_branch .LBB4_284
.LBB4_289:                              ;   in Loop: Header=BB4_230 Depth=2
	s_or_b32 exec_lo, exec_lo, s41
	s_and_saveexec_b32 s41, s88
	s_delay_alu instid0(SALU_CYCLE_1)
	s_xor_b32 s41, exec_lo, s41
	s_cbranch_execz .LBB4_291
; %bb.290:                              ;   in Loop: Header=BB4_230 Depth=2
	ds_store_b32 v0, v73
	s_trap 2
.LBB4_291:                              ;   in Loop: Header=BB4_230 Depth=2
	s_or_b32 exec_lo, exec_lo, s40
	;;#ASMSTART
	s_wakeup
	;;#ASMEND
.LBB4_292:                              ;   in Loop: Header=BB4_230 Depth=2
	s_or_b32 exec_lo, exec_lo, s27
.LBB4_293:                              ;   in Loop: Header=BB4_230 Depth=2
	s_and_not1_saveexec_b32 s18, s18
	s_cbranch_execz .LBB4_295
; %bb.294:                              ;   in Loop: Header=BB4_230 Depth=2
	;;#ASMSTART
	s_waitcnt lgkmcnt(0) vmcnt(0)
	;;#ASMEND
	s_barrier_signal -1
	s_barrier_wait -1
.LBB4_295:                              ;   in Loop: Header=BB4_230 Depth=2
	s_or_b32 exec_lo, exec_lo, s18
.LBB4_296:                              ;   in Loop: Header=BB4_230 Depth=2
	s_delay_alu instid0(SALU_CYCLE_1) | instskip(NEXT) | instid1(SALU_CYCLE_1)
	s_or_b32 exec_lo, exec_lo, s13
	s_mov_b32 s13, exec_lo
	v_cmpx_ne_u32_e32 0, v8
	s_cbranch_execz .LBB4_229
; %bb.297:                              ;   in Loop: Header=BB4_230 Depth=2
	s_and_saveexec_b32 s18, s5
	s_cbranch_execz .LBB4_228
; %bb.298:                              ;   in Loop: Header=BB4_230 Depth=2
	global_wb scope:SCOPE_SYS
	s_wait_storecnt 0x0
	s_wait_loadcnt_dscnt 0x0
	flat_store_b32 v[38:39], v73 scope:SCOPE_SYS
	s_branch .LBB4_228
.LBB4_299:                              ;   in Loop: Header=BB4_47 Depth=1
	s_or_b32 exec_lo, exec_lo, s15
.LBB4_300:                              ;   in Loop: Header=BB4_47 Depth=1
	s_delay_alu instid0(SALU_CYCLE_1) | instskip(NEXT) | instid1(SALU_CYCLE_1)
	s_or_b32 exec_lo, exec_lo, s14
	s_and_not1_b32 vcc_lo, exec_lo, s46
	s_cbranch_vccnz .LBB4_817
; %bb.301:                              ;   in Loop: Header=BB4_47 Depth=1
	s_mov_b32 s18, 2
	s_branch .LBB4_304
.LBB4_302:                              ;   in Loop: Header=BB4_304 Depth=2
	s_or_b32 exec_lo, exec_lo, s15
.LBB4_303:                              ;   in Loop: Header=BB4_304 Depth=2
	s_delay_alu instid0(SALU_CYCLE_1) | instskip(SKIP_1) | instid1(SALU_CYCLE_1)
	s_or_b32 exec_lo, exec_lo, s14
	s_add_co_i32 s18, s18, 1
	s_cmp_eq_u32 s18, s16
	s_cbranch_scc1 .LBB4_817
.LBB4_304:                              ;   Parent Loop BB4_47 Depth=1
                                        ; =>  This Loop Header: Depth=2
                                        ;       Child Loop BB4_307 Depth 3
                                        ;         Child Loop BB4_315 Depth 4
                                        ;         Child Loop BB4_343 Depth 4
	;; [unrolled: 1-line block ×4, first 2 shown]
                                        ;           Child Loop BB4_392 Depth 5
                                        ;           Child Loop BB4_429 Depth 5
                                        ;         Child Loop BB4_504 Depth 4
                                        ;           Child Loop BB4_505 Depth 5
                                        ;           Child Loop BB4_542 Depth 5
                                        ;         Child Loop BB4_619 Depth 4
                                        ;         Child Loop BB4_678 Depth 4
                                        ;           Child Loop BB4_679 Depth 5
                                        ;           Child Loop BB4_688 Depth 5
                                        ;         Child Loop BB4_707 Depth 4
                                        ;         Child Loop BB4_726 Depth 4
                                        ;       Child Loop BB4_745 Depth 3
                                        ;         Child Loop BB4_751 Depth 4
                                        ;         Child Loop BB4_779 Depth 4
	;; [unrolled: 1-line block ×3, first 2 shown]
	s_sub_co_i32 s13, s44, s18
	s_mov_b32 s88, 0
	s_cmp_ge_i32 s13, s16
	v_mov_b32_e32 v18, 0
	s_cselect_b32 s14, s16, 0
	s_delay_alu instid0(SALU_CYCLE_1) | instskip(NEXT) | instid1(SALU_CYCLE_1)
	s_sub_co_i32 s14, s13, s14
	s_ashr_i32 s15, s14, 31
	s_delay_alu instid0(SALU_CYCLE_1) | instskip(NEXT) | instid1(VALU_DEP_1)
	v_mul_u64_e32 v[20:21], s[14:15], v[112:113]
	v_sub_nc_u64_e32 v[8:9], v[116:117], v[20:21]
	s_delay_alu instid0(VALU_DEP_1) | instskip(NEXT) | instid1(VALU_DEP_1)
	v_min_i64 v[8:9], v[112:113], v[8:9]
	v_max_i32_e32 v60, 0, v8
	v_cmp_lt_i32_e32 vcc_lo, 0, v8
	s_delay_alu instid0(VALU_DEP_2) | instskip(SKIP_1) | instid1(VALU_DEP_1)
	v_add_nc_u32_e32 v2, 31, v60
	s_and_b32 s13, s77, vcc_lo
	v_lshrrev_b32_e32 v2, 1, v2
	s_delay_alu instid0(VALU_DEP_1) | instskip(NEXT) | instid1(VALU_DEP_1)
	v_and_b32_e32 v9, 0x3ffffff0, v2
	v_dual_mov_b32 v2, 0 :: v_dual_max_i32 v16, s45, v9
	s_and_saveexec_b32 s27, s13
	s_cbranch_execz .LBB4_742
; %bb.305:                              ;   in Loop: Header=BB4_304 Depth=2
	v_mov_b32_e32 v18, 0
	s_mov_b32 s90, 1
	s_mov_b32 s89, -1
	s_branch .LBB4_307
.LBB4_306:                              ;   in Loop: Header=BB4_307 Depth=3
	s_wait_xcnt 0x0
	s_or_b32 exec_lo, exec_lo, s13
	v_dual_add_nc_u32 v18, v16, v18 :: v_dual_mov_b32 v2, s90
	s_xor_b32 s13, s89, -1
	s_mov_b32 s89, 0
	s_mov_b32 s90, 2
	s_delay_alu instid0(VALU_DEP_1) | instskip(SKIP_1) | instid1(SALU_CYCLE_1)
	v_cmp_ge_i32_e32 vcc_lo, v18, v60
	s_or_b32 s13, s13, vcc_lo
	s_and_b32 s13, exec_lo, s13
	s_delay_alu instid0(SALU_CYCLE_1) | instskip(NEXT) | instid1(SALU_CYCLE_1)
	s_or_b32 s88, s13, s88
	s_and_not1_b32 exec_lo, exec_lo, s88
	s_cbranch_execz .LBB4_741
.LBB4_307:                              ;   Parent Loop BB4_47 Depth=1
                                        ;     Parent Loop BB4_304 Depth=2
                                        ; =>    This Loop Header: Depth=3
                                        ;         Child Loop BB4_315 Depth 4
                                        ;         Child Loop BB4_343 Depth 4
	;; [unrolled: 1-line block ×4, first 2 shown]
                                        ;           Child Loop BB4_392 Depth 5
                                        ;           Child Loop BB4_429 Depth 5
                                        ;         Child Loop BB4_504 Depth 4
                                        ;           Child Loop BB4_505 Depth 5
                                        ;           Child Loop BB4_542 Depth 5
                                        ;         Child Loop BB4_619 Depth 4
                                        ;         Child Loop BB4_678 Depth 4
                                        ;           Child Loop BB4_679 Depth 5
                                        ;           Child Loop BB4_688 Depth 5
                                        ;         Child Loop BB4_707 Depth 4
                                        ;         Child Loop BB4_726 Depth 4
	s_and_saveexec_b32 s13, s0
	s_cbranch_execz .LBB4_309
; %bb.308:                              ;   in Loop: Header=BB4_307 Depth=3
	s_trap 2
	ds_load_b64 v[8:9], v0
	v_ashrrev_i32_e32 v19, 31, v18
	s_wait_dscnt 0x0
	v_lshl_add_u64 v[8:9], v[118:119], 1, v[8:9]
	s_delay_alu instid0(VALU_DEP_1) | instskip(NEXT) | instid1(VALU_DEP_1)
	v_lshl_add_u64 v[8:9], v[20:21], 1, v[8:9]
	v_lshl_add_u64 v[8:9], v[18:19], 1, v[8:9]
	ds_store_b64 v0, v[8:9]
	ds_store_b64 v0, v[54:55]
.LBB4_309:                              ;   in Loop: Header=BB4_307 Depth=3
	s_or_b32 exec_lo, exec_lo, s13
	v_sub_nc_u32_e32 v2, v60, v18
	v_and_b32_e32 v8, 12, v30
	s_mov_b32 s14, exec_lo
	s_delay_alu instid0(VALU_DEP_2) | instskip(NEXT) | instid1(VALU_DEP_2)
	v_min_i32_e32 v16, v16, v2
	v_cmpx_ne_u32_e32 0, v8
	s_cbranch_execz .LBB4_335
; %bb.310:                              ;   in Loop: Header=BB4_307 Depth=3
	v_and_b32_e32 v2, 8, v30
	v_add_nc_u64_e32 v[8:9], 2, v[114:115]
	s_mov_b32 s15, exec_lo
	s_wait_loadcnt_dscnt 0x1
	s_delay_alu instid0(VALU_DEP_2) | instskip(NEXT) | instid1(VALU_DEP_1)
	v_add_nc_u64_e32 v[10:11], v[50:51], v[2:3]
	v_cmpx_lt_u64_e64 v[10:11], v[8:9]
	s_cbranch_execz .LBB4_322
; %bb.311:                              ;   in Loop: Header=BB4_307 Depth=3
	v_and_b32_e32 v10, 64, v30
	s_mov_b32 s40, 0
	s_mov_b32 s93, 0
                                        ; implicit-def: $sgpr41
                                        ; implicit-def: $sgpr91
                                        ; implicit-def: $sgpr92
	s_delay_alu instid0(VALU_DEP_1)
	v_cmp_eq_u32_e32 vcc_lo, 0, v10
	s_branch .LBB4_315
.LBB4_312:                              ;   in Loop: Header=BB4_315 Depth=4
	s_wait_loadcnt_dscnt 0x0
	v_add_nc_u64_e32 v[12:13], v[50:51], v[2:3]
	s_or_b32 vcc_hi, vcc_hi, exec_lo
	s_delay_alu instid0(VALU_DEP_1)
	v_cmp_ge_u64_e64 s13, v[12:13], v[8:9]
	s_or_not1_b32 s95, s13, exec_lo
.LBB4_313:                              ;   in Loop: Header=BB4_315 Depth=4
	s_or_b32 exec_lo, exec_lo, s31
	s_delay_alu instid0(SALU_CYCLE_1)
	s_and_not1_b32 s13, s92, exec_lo
	s_and_b32 s92, vcc_hi, exec_lo
	s_and_not1_b32 s91, s91, exec_lo
	s_and_b32 s95, s95, exec_lo
	s_or_b32 s92, s13, s92
	s_or_b32 s91, s91, s95
.LBB4_314:                              ;   in Loop: Header=BB4_315 Depth=4
	s_or_b32 exec_lo, exec_lo, s94
	s_delay_alu instid0(SALU_CYCLE_1) | instskip(NEXT) | instid1(SALU_CYCLE_1)
	s_and_b32 s13, exec_lo, s91
	s_or_b32 s40, s13, s40
	s_and_not1_b32 s13, s41, exec_lo
	s_and_b32 s41, s92, exec_lo
	s_delay_alu instid0(SALU_CYCLE_1)
	s_or_b32 s41, s13, s41
	s_and_not1_b32 exec_lo, exec_lo, s40
	s_cbranch_execz .LBB4_319
.LBB4_315:                              ;   Parent Loop BB4_47 Depth=1
                                        ;     Parent Loop BB4_304 Depth=2
                                        ;       Parent Loop BB4_307 Depth=3
                                        ; =>      This Inner Loop Header: Depth=4
	s_sleep 1
	s_wait_loadcnt_dscnt 0x0
	flat_load_b64 v[50:51], v[32:33] scope:SCOPE_SYS
	s_or_b32 s92, s92, exec_lo
	s_or_b32 s91, s91, exec_lo
                                        ; implicit-def: $vgpr10
	s_wait_xcnt 0x0
	s_and_saveexec_b32 s94, vcc_lo
	s_cbranch_execz .LBB4_314
; %bb.316:                              ;   in Loop: Header=BB4_315 Depth=4
	s_cmp_lt_i32 s93, 0x270f
	s_mov_b32 s95, -1
	s_cselect_b32 s30, -1, 0
	s_cmp_gt_i32 s93, 0x270e
	s_cbranch_scc0 .LBB4_318
; %bb.317:                              ;   in Loop: Header=BB4_315 Depth=4
	s_trap 2
	ds_load_b64 v[10:11], v0
	s_and_not1_b32 s93, s30, exec_lo
	s_mov_b32 vcc_hi, 0
	s_wait_storecnt 0x0
	s_wait_loadcnt_dscnt 0x0
	flat_load_b32 v10, v[10:11] scope:SCOPE_SYS
	s_wait_loadcnt_dscnt 0x0
	global_inv scope:SCOPE_SYS
	v_cmp_eq_u32_e64 s13, 0, v10
	s_and_b32 s13, s13, exec_lo
	s_delay_alu instid0(SALU_CYCLE_1)
	s_or_b32 s30, s93, s13
	s_mov_b32 s93, 0
	s_and_saveexec_b32 s31, s30
	s_cbranch_execz .LBB4_313
	s_branch .LBB4_312
.LBB4_318:                              ;   in Loop: Header=BB4_315 Depth=4
	s_add_co_i32 s93, s93, 1
	s_mov_b32 vcc_hi, -1
                                        ; implicit-def: $vgpr10
	s_and_saveexec_b32 s31, s30
	s_cbranch_execz .LBB4_313
	s_branch .LBB4_312
.LBB4_319:                              ;   in Loop: Header=BB4_307 Depth=3
	s_or_b32 exec_lo, exec_lo, s40
	s_xor_b32 s13, s41, -1
	s_delay_alu instid0(SALU_CYCLE_1) | instskip(NEXT) | instid1(SALU_CYCLE_1)
	s_and_saveexec_b32 s40, s13
	s_xor_b32 s13, exec_lo, s40
	s_cbranch_execz .LBB4_321
; %bb.320:                              ;   in Loop: Header=BB4_307 Depth=3
	v_or_b32_e32 v30, 64, v30
	s_wait_storecnt 0x0
	s_wait_loadcnt_dscnt 0x0
	ds_store_b32 v0, v10
	s_trap 2
.LBB4_321:                              ;   in Loop: Header=BB4_307 Depth=3
	s_or_b32 exec_lo, exec_lo, s13
.LBB4_322:                              ;   in Loop: Header=BB4_307 Depth=3
	s_delay_alu instid0(SALU_CYCLE_1) | instskip(SKIP_2) | instid1(VALU_DEP_1)
	s_or_b32 exec_lo, exec_lo, s15
	v_and_b32_e32 v10, 0x108, v30
	;;#ASMSTART
	s_wakeup
	;;#ASMEND
	v_cmp_ne_u32_e32 vcc_lo, 0x108, v10
                                        ; implicit-def: $vgpr10_vgpr11
	s_and_saveexec_b32 s13, vcc_lo
	s_delay_alu instid0(SALU_CYCLE_1)
	s_xor_b32 s13, exec_lo, s13
; %bb.323:                              ;   in Loop: Header=BB4_307 Depth=3
	v_dual_mov_b32 v11, v3 :: v_dual_bitop2_b32 v10, 7, v114 bitop3:0x40
                                        ; implicit-def: $vgpr114_vgpr115
; %bb.324:                              ;   in Loop: Header=BB4_307 Depth=3
	s_and_not1_saveexec_b32 s13, s13
	s_cbranch_execz .LBB4_326
; %bb.325:                              ;   in Loop: Header=BB4_307 Depth=3
	v_dual_ashrrev_i32 v17, 31, v16 :: v_dual_bitop2_b32 v10, 7, v114 bitop3:0x40
	v_mov_b32_e32 v11, v3
	s_delay_alu instid0(VALU_DEP_2) | instskip(NEXT) | instid1(VALU_DEP_3)
	v_mad_nc_u64_u32 v[12:13], v10, 24, v[6:7]
	v_lshlrev_b64_e32 v[14:15], 1, v[16:17]
	flat_store_b64 v[12:13], v[14:15] offset:8
.LBB4_326:                              ;   in Loop: Header=BB4_307 Depth=3
	s_wait_xcnt 0x0
	s_or_b32 exec_lo, exec_lo, s13
	v_and_b32_e32 v12, 0x100, v30
	s_mov_b32 s13, -1
	s_delay_alu instid0(VALU_DEP_1)
	v_cmp_ne_u32_e32 vcc_lo, 0, v12
                                        ; implicit-def: $vgpr12_vgpr13
	s_and_saveexec_b32 s15, vcc_lo
	s_cbranch_execz .LBB4_330
; %bb.327:                              ;   in Loop: Header=BB4_307 Depth=3
	v_mad_nc_u64_u32 v[14:15], v10, 24, v[6:7]
	s_delay_alu instid0(VALU_DEP_1)
	v_mad_u32 v15, v11, 24, v15
	flat_load_b32 v12, v[14:15]
	s_wait_loadcnt_dscnt 0x0
	v_cmp_eq_u32_e64 s13, 1, v12
	v_cmp_ne_u32_e32 vcc_lo, 1, v12
                                        ; implicit-def: $vgpr12_vgpr13
	s_wait_xcnt 0x0
	s_and_saveexec_b32 s40, s13
	s_cbranch_execz .LBB4_329
; %bb.328:                              ;   in Loop: Header=BB4_307 Depth=3
	flat_load_b32 v12, v[14:15] offset:4 scope:SCOPE_SYS
	s_wait_loadcnt_dscnt 0x0
	v_ashrrev_i32_e32 v13, 31, v12
	s_delay_alu instid0(VALU_DEP_1)
	v_lshrrev_b64 v[12:13], 1, v[12:13]
.LBB4_329:                              ;   in Loop: Header=BB4_307 Depth=3
	s_wait_xcnt 0x0
	s_or_b32 exec_lo, exec_lo, s40
	s_delay_alu instid0(SALU_CYCLE_1)
	s_or_not1_b32 s13, vcc_lo, exec_lo
.LBB4_330:                              ;   in Loop: Header=BB4_307 Depth=3
	s_or_b32 exec_lo, exec_lo, s15
	s_and_saveexec_b32 s15, s13
; %bb.331:                              ;   in Loop: Header=BB4_307 Depth=3
	v_mul_u64_e32 v[12:13], v[10:11], v[34:35]
; %bb.332:                              ;   in Loop: Header=BB4_307 Depth=3
	s_or_b32 exec_lo, exec_lo, s15
	v_cmp_eq_u32_e32 vcc_lo, 0, v2
	v_and_b32_e32 v14, 0x2000, v30
	s_delay_alu instid0(VALU_DEP_3) | instskip(SKIP_2) | instid1(VALU_DEP_1)
	v_lshl_add_u64 v[10:11], v[12:13], 1, v[36:37]
	s_mov_b32 s13, exec_lo
	v_cndmask_b32_e32 v2, 0xc8, v74, vcc_lo
	v_add_nc_u32_e32 v2, v0, v2
	ds_store_b64 v2, v[10:11] offset:584
	v_cmpx_ne_u32_e32 0, v14
	s_cbranch_execz .LBB4_334
; %bb.333:                              ;   in Loop: Header=BB4_307 Depth=3
	ds_load_b64 v[10:11], v0 offset:872
	s_wait_dscnt 0x0
	v_add_nc_u64_e32 v[10:11], 1, v[10:11]
	ds_store_b64 v0, v[10:11] offset:872
.LBB4_334:                              ;   in Loop: Header=BB4_307 Depth=3
	s_or_b32 exec_lo, exec_lo, s13
	v_mov_b64_e32 v[114:115], v[8:9]
.LBB4_335:                              ;   in Loop: Header=BB4_307 Depth=3
	s_or_b32 exec_lo, exec_lo, s14
	s_and_saveexec_b32 s13, s2
	s_cbranch_execz .LBB4_354
; %bb.336:                              ;   in Loop: Header=BB4_307 Depth=3
	s_and_saveexec_b32 s14, s3
	s_delay_alu instid0(SALU_CYCLE_1)
	s_xor_b32 s14, exec_lo, s14
	s_cbranch_execz .LBB4_351
; %bb.337:                              ;   in Loop: Header=BB4_307 Depth=3
	s_and_saveexec_b32 s15, s6
	s_cbranch_execz .LBB4_350
; %bb.338:                              ;   in Loop: Header=BB4_307 Depth=3
	s_mov_b32 s41, exec_lo
	s_mov_b32 s40, exec_lo
	v_mbcnt_lo_u32_b32 v2, s41, 0
	global_wb scope:SCOPE_DEV
	s_wait_storecnt 0x0
	s_wait_loadcnt_dscnt 0x0
	global_inv scope:SCOPE_DEV
	v_cmpx_eq_u32_e32 0, v2
	s_cbranch_execz .LBB4_340
; %bb.339:                              ;   in Loop: Header=BB4_307 Depth=3
	s_bcnt1_i32_b32 s41, s41
	s_delay_alu instid0(SALU_CYCLE_1)
	v_mov_b32_e32 v2, s41
	s_wait_loadcnt 0x0
	ds_add_u64 v0, v[2:3]
	s_trap 2
.LBB4_340:                              ;   in Loop: Header=BB4_307 Depth=3
	s_or_b32 exec_lo, exec_lo, s40
	s_trap 2
	ds_load_b64 v[8:9], v0
	s_wait_dscnt 0x0
	v_add_nc_u64_e32 v[48:49], v[48:49], v[52:53]
	s_mov_b32 s40, exec_lo
	s_delay_alu instid0(VALU_DEP_1)
	v_cmpx_lt_u64_e64 v[8:9], v[48:49]
	s_cbranch_execz .LBB4_349
; %bb.341:                              ;   in Loop: Header=BB4_307 Depth=3
	s_mov_b32 s41, 0
	s_mov_b32 s93, 0
                                        ; implicit-def: $sgpr91
                                        ; implicit-def: $sgpr92
	s_branch .LBB4_343
.LBB4_342:                              ;   in Loop: Header=BB4_343 Depth=4
	s_or_b32 exec_lo, exec_lo, s95
	s_delay_alu instid0(SALU_CYCLE_1) | instskip(NEXT) | instid1(SALU_CYCLE_1)
	s_and_b32 s94, exec_lo, vcc_lo
	s_or_b32 s41, s94, s41
	s_and_not1_b32 s91, s91, exec_lo
	s_and_b32 s94, s92, exec_lo
	s_delay_alu instid0(SALU_CYCLE_1)
	s_or_b32 s91, s91, s94
	s_and_not1_b32 exec_lo, exec_lo, s41
	s_cbranch_execz .LBB4_347
.LBB4_343:                              ;   Parent Loop BB4_47 Depth=1
                                        ;     Parent Loop BB4_304 Depth=2
                                        ;       Parent Loop BB4_307 Depth=3
                                        ; =>      This Inner Loop Header: Depth=4
	s_add_co_i32 s93, s93, 1
	s_delay_alu instid0(SALU_CYCLE_1) | instskip(SKIP_1) | instid1(SALU_CYCLE_1)
	s_cmp_lg_u32 s93, 0x2710
	s_cselect_b32 s94, -1, 0
	s_and_b32 vcc_lo, exec_lo, s94
	s_cbranch_vccz .LBB4_345
; %bb.344:                              ;   in Loop: Header=BB4_343 Depth=4
	s_mov_b32 vcc_lo, -1
	s_or_b32 s92, s92, exec_lo
	s_and_saveexec_b32 s95, s94
	s_cbranch_execz .LBB4_342
	s_branch .LBB4_346
.LBB4_345:                              ;   in Loop: Header=BB4_343 Depth=4
	s_trap 2
	ds_load_b64 v[8:9], v0
	s_and_not1_b32 s94, s94, exec_lo
	s_mov_b32 s93, 0
	s_wait_loadcnt_dscnt 0x0
	flat_load_b32 v2, v[8:9] scope:SCOPE_SYS
	s_wait_loadcnt_dscnt 0x0
	global_inv scope:SCOPE_SYS
	v_cmp_eq_u32_e32 vcc_lo, 0, v2
	s_and_b32 s95, vcc_lo, exec_lo
	s_delay_alu instid0(SALU_CYCLE_1)
	s_or_b32 s94, s94, s95
	s_mov_b32 vcc_lo, -1
	s_or_b32 s92, s92, exec_lo
	s_and_saveexec_b32 s95, s94
	s_cbranch_execz .LBB4_342
.LBB4_346:                              ;   in Loop: Header=BB4_343 Depth=4
	s_sleep 1
	s_trap 2
	ds_load_b64 v[8:9], v0
	s_wait_dscnt 0x0
	s_and_not1_b32 s92, s92, exec_lo
	v_cmp_ge_u64_e32 vcc_lo, v[8:9], v[48:49]
	s_or_not1_b32 vcc_lo, vcc_lo, exec_lo
	s_branch .LBB4_342
.LBB4_347:                              ;   in Loop: Header=BB4_307 Depth=3
	s_or_b32 exec_lo, exec_lo, s41
	s_and_saveexec_b32 s41, s91
	s_delay_alu instid0(SALU_CYCLE_1)
	s_xor_b32 s41, exec_lo, s41
	s_cbranch_execz .LBB4_349
; %bb.348:                              ;   in Loop: Header=BB4_307 Depth=3
	ds_store_b32 v0, v73
	s_trap 2
.LBB4_349:                              ;   in Loop: Header=BB4_307 Depth=3
	s_or_b32 exec_lo, exec_lo, s40
	;;#ASMSTART
	s_wakeup
	;;#ASMEND
.LBB4_350:                              ;   in Loop: Header=BB4_307 Depth=3
	s_or_b32 exec_lo, exec_lo, s15
.LBB4_351:                              ;   in Loop: Header=BB4_307 Depth=3
	s_and_not1_saveexec_b32 s14, s14
	s_cbranch_execz .LBB4_353
; %bb.352:                              ;   in Loop: Header=BB4_307 Depth=3
	global_wb scope:SCOPE_DEV
	s_wait_storecnt 0x0
	s_wait_loadcnt_dscnt 0x0
	global_inv scope:SCOPE_DEV
	s_barrier_signal -1
	s_barrier_wait -1
.LBB4_353:                              ;   in Loop: Header=BB4_307 Depth=3
	s_or_b32 exec_lo, exec_lo, s14
.LBB4_354:                              ;   in Loop: Header=BB4_307 Depth=3
	s_delay_alu instid0(SALU_CYCLE_1) | instskip(SKIP_4) | instid1(VALU_DEP_1)
	s_or_b32 exec_lo, exec_lo, s13
	s_trap 2
	ds_load_b32 v8, v0
	v_and_b32_e32 v2, 0x4000, v30
	s_xor_b32 s13, s1, -1
	v_cmp_ne_u32_e32 vcc_lo, 0, v2
	s_and_b32 s14, s13, vcc_lo
	s_delay_alu instid0(SALU_CYCLE_1)
	s_and_saveexec_b32 s13, s14
	s_cbranch_execz .LBB4_373
; %bb.355:                              ;   in Loop: Header=BB4_307 Depth=3
	s_and_saveexec_b32 s14, s3
	s_delay_alu instid0(SALU_CYCLE_1)
	s_xor_b32 s14, exec_lo, s14
	s_cbranch_execz .LBB4_370
; %bb.356:                              ;   in Loop: Header=BB4_307 Depth=3
	s_and_saveexec_b32 s15, s6
	s_cbranch_execz .LBB4_369
; %bb.357:                              ;   in Loop: Header=BB4_307 Depth=3
	s_mov_b32 s41, exec_lo
	s_mov_b32 s40, exec_lo
	v_mbcnt_lo_u32_b32 v2, s41, 0
	global_wb scope:SCOPE_DEV
	s_wait_storecnt 0x0
	s_wait_loadcnt_dscnt 0x0
	global_inv scope:SCOPE_DEV
	v_cmpx_eq_u32_e32 0, v2
	s_cbranch_execz .LBB4_359
; %bb.358:                              ;   in Loop: Header=BB4_307 Depth=3
	s_bcnt1_i32_b32 s41, s41
	s_delay_alu instid0(SALU_CYCLE_1)
	v_mov_b32_e32 v2, s41
	s_wait_loadcnt 0x0
	ds_add_u64 v0, v[2:3]
	s_trap 2
.LBB4_359:                              ;   in Loop: Header=BB4_307 Depth=3
	s_or_b32 exec_lo, exec_lo, s40
	s_trap 2
	ds_load_b64 v[10:11], v0
	s_wait_dscnt 0x0
	v_add_nc_u64_e32 v[48:49], v[48:49], v[52:53]
	s_mov_b32 s40, exec_lo
	s_delay_alu instid0(VALU_DEP_1)
	v_cmpx_lt_u64_e64 v[10:11], v[48:49]
	s_cbranch_execz .LBB4_368
; %bb.360:                              ;   in Loop: Header=BB4_307 Depth=3
	s_mov_b32 s41, 0
	s_mov_b32 s93, 0
                                        ; implicit-def: $sgpr91
                                        ; implicit-def: $sgpr92
	s_branch .LBB4_362
.LBB4_361:                              ;   in Loop: Header=BB4_362 Depth=4
	s_or_b32 exec_lo, exec_lo, s95
	s_delay_alu instid0(SALU_CYCLE_1) | instskip(NEXT) | instid1(SALU_CYCLE_1)
	s_and_b32 s94, exec_lo, vcc_lo
	s_or_b32 s41, s94, s41
	s_and_not1_b32 s91, s91, exec_lo
	s_and_b32 s94, s92, exec_lo
	s_delay_alu instid0(SALU_CYCLE_1)
	s_or_b32 s91, s91, s94
	s_and_not1_b32 exec_lo, exec_lo, s41
	s_cbranch_execz .LBB4_366
.LBB4_362:                              ;   Parent Loop BB4_47 Depth=1
                                        ;     Parent Loop BB4_304 Depth=2
                                        ;       Parent Loop BB4_307 Depth=3
                                        ; =>      This Inner Loop Header: Depth=4
	s_add_co_i32 s93, s93, 1
	s_delay_alu instid0(SALU_CYCLE_1) | instskip(SKIP_1) | instid1(SALU_CYCLE_1)
	s_cmp_lg_u32 s93, 0x2710
	s_cselect_b32 s94, -1, 0
	s_and_b32 vcc_lo, exec_lo, s94
	s_cbranch_vccz .LBB4_364
; %bb.363:                              ;   in Loop: Header=BB4_362 Depth=4
	s_mov_b32 vcc_lo, -1
	s_or_b32 s92, s92, exec_lo
	s_and_saveexec_b32 s95, s94
	s_cbranch_execz .LBB4_361
	s_branch .LBB4_365
.LBB4_364:                              ;   in Loop: Header=BB4_362 Depth=4
	s_trap 2
	ds_load_b64 v[10:11], v0
	s_and_not1_b32 s94, s94, exec_lo
	s_mov_b32 s93, 0
	s_wait_loadcnt_dscnt 0x0
	flat_load_b32 v2, v[10:11] scope:SCOPE_SYS
	s_wait_loadcnt_dscnt 0x0
	global_inv scope:SCOPE_SYS
	v_cmp_eq_u32_e32 vcc_lo, 0, v2
	s_and_b32 s95, vcc_lo, exec_lo
	s_delay_alu instid0(SALU_CYCLE_1)
	s_or_b32 s94, s94, s95
	s_mov_b32 vcc_lo, -1
	s_or_b32 s92, s92, exec_lo
	s_and_saveexec_b32 s95, s94
	s_cbranch_execz .LBB4_361
.LBB4_365:                              ;   in Loop: Header=BB4_362 Depth=4
	s_sleep 1
	s_trap 2
	ds_load_b64 v[10:11], v0
	s_wait_dscnt 0x0
	s_and_not1_b32 s92, s92, exec_lo
	v_cmp_ge_u64_e32 vcc_lo, v[10:11], v[48:49]
	s_or_not1_b32 vcc_lo, vcc_lo, exec_lo
	s_branch .LBB4_361
.LBB4_366:                              ;   in Loop: Header=BB4_307 Depth=3
	s_or_b32 exec_lo, exec_lo, s41
	s_and_saveexec_b32 s41, s91
	s_delay_alu instid0(SALU_CYCLE_1)
	s_xor_b32 s41, exec_lo, s41
	s_cbranch_execz .LBB4_368
; %bb.367:                              ;   in Loop: Header=BB4_307 Depth=3
	ds_store_b32 v0, v73
	s_trap 2
.LBB4_368:                              ;   in Loop: Header=BB4_307 Depth=3
	s_or_b32 exec_lo, exec_lo, s40
	;;#ASMSTART
	s_wakeup
	;;#ASMEND
.LBB4_369:                              ;   in Loop: Header=BB4_307 Depth=3
	s_or_b32 exec_lo, exec_lo, s15
.LBB4_370:                              ;   in Loop: Header=BB4_307 Depth=3
	s_and_not1_saveexec_b32 s14, s14
	s_cbranch_execz .LBB4_372
; %bb.371:                              ;   in Loop: Header=BB4_307 Depth=3
	global_wb scope:SCOPE_DEV
	s_wait_storecnt 0x0
	s_wait_loadcnt_dscnt 0x0
	global_inv scope:SCOPE_DEV
	s_barrier_signal -1
	s_barrier_wait -1
.LBB4_372:                              ;   in Loop: Header=BB4_307 Depth=3
	s_or_b32 exec_lo, exec_lo, s14
.LBB4_373:                              ;   in Loop: Header=BB4_307 Depth=3
	s_delay_alu instid0(SALU_CYCLE_1)
	s_or_b32 exec_lo, exec_lo, s13
	s_trap 2
	ds_load_b64 v[22:23], v0
	s_wait_dscnt 0x0
	v_cmp_eq_u64_e32 vcc_lo, 0, v[22:23]
	s_cbranch_vccnz .LBB4_381
; %bb.374:                              ;   in Loop: Header=BB4_307 Depth=3
	s_trap 2
	ds_load_b64 v[40:41], v0
	s_wait_dscnt 0x0
	v_cmp_eq_u64_e32 vcc_lo, 0, v[40:41]
	s_cbranch_vccnz .LBB4_381
; %bb.375:                              ;   in Loop: Header=BB4_307 Depth=3
	s_mov_b32 s13, -1
	s_and_saveexec_b32 s14, s12
	s_cbranch_execz .LBB4_377
; %bb.376:                              ;   in Loop: Header=BB4_307 Depth=3
	ds_load_b32 v2, v0 offset:720
	s_wait_dscnt 0x0
	v_and_b32_e32 v2, 15, v2
	s_delay_alu instid0(VALU_DEP_1)
	v_cmp_eq_u32_e32 vcc_lo, 0, v2
	s_or_not1_b32 s13, vcc_lo, exec_lo
.LBB4_377:                              ;   in Loop: Header=BB4_307 Depth=3
	s_or_b32 exec_lo, exec_lo, s14
	s_and_saveexec_b32 s14, s11
	s_cbranch_execz .LBB4_379
; %bb.378:                              ;   in Loop: Header=BB4_307 Depth=3
	ds_load_b32 v2, v0 offset:784
	s_wait_dscnt 0x0
	v_and_b32_e32 v2, 15, v2
	s_delay_alu instid0(VALU_DEP_1) | instskip(SKIP_3) | instid1(SALU_CYCLE_1)
	v_cmp_eq_u32_e32 vcc_lo, 0, v2
	s_and_b32 s15, s13, vcc_lo
	s_and_not1_b32 s13, s13, exec_lo
	s_and_b32 s15, s15, exec_lo
	s_or_b32 s13, s13, s15
.LBB4_379:                              ;   in Loop: Header=BB4_307 Depth=3
	s_or_b32 exec_lo, exec_lo, s14
	s_xor_b32 s13, s13, -1
	s_mov_b32 s14, -1
	v_cndmask_b32_e64 v2, 0, 1, s13
	v_cmp_eq_u32_e64 s13, 0, v8
	s_delay_alu instid0(VALU_DEP_2)
	v_cmp_ne_u32_e32 vcc_lo, 0, v2
	s_cbranch_vccz .LBB4_386
; %bb.380:                              ;   in Loop: Header=BB4_307 Depth=3
	s_mov_b32 s14, 0
	s_mov_b32 s91, -1
	s_branch .LBB4_387
.LBB4_381:                              ;   in Loop: Header=BB4_307 Depth=3
	s_mov_b32 s13, 0
	s_and_saveexec_b32 s14, s2
	s_cbranch_execnz .LBB4_700
.LBB4_382:                              ;   in Loop: Header=BB4_307 Depth=3
	s_or_b32 exec_lo, exec_lo, s14
                                        ; implicit-def: $vgpr2
	s_and_saveexec_b32 s14, s7
	s_delay_alu instid0(SALU_CYCLE_1)
	s_xor_b32 s14, exec_lo, s14
	s_cbranch_execz .LBB4_718
.LBB4_383:                              ;   in Loop: Header=BB4_307 Depth=3
	v_and_b32_e32 v2, 16, v30
	s_delay_alu instid0(VALU_DEP_1) | instskip(SKIP_2) | instid1(SALU_CYCLE_1)
	v_cmp_ne_u32_e32 vcc_lo, 0, v2
	v_and_b32_e32 v2, 16, v30
	s_and_b32 s15, vcc_lo, s13
	s_and_saveexec_b32 s13, s15
	s_cbranch_execz .LBB4_385
; %bb.384:                              ;   in Loop: Header=BB4_307 Depth=3
	v_mov_b32_e32 v2, 1
	global_wb scope:SCOPE_SYS
	s_wait_storecnt 0x0
	s_wait_loadcnt_dscnt 0x0
	global_inv scope:SCOPE_SYS
.LBB4_385:                              ;   in Loop: Header=BB4_307 Depth=3
	s_or_b32 exec_lo, exec_lo, s13
	s_and_not1_saveexec_b32 s13, s14
	s_cbranch_execz .LBB4_737
	s_branch .LBB4_719
.LBB4_386:                              ;   in Loop: Header=BB4_307 Depth=3
	s_mov_b32 s91, 0
.LBB4_387:                              ;   in Loop: Header=BB4_307 Depth=3
	v_dual_cndmask_b32 v2, 0, v16, s13 :: v_dual_mov_b32 v14, 0
	s_and_not1_b32 vcc_lo, exec_lo, s14
	s_delay_alu instid0(VALU_DEP_1)
	v_lshlrev_b32_e32 v17, 1, v2
	s_cbranch_vccnz .LBB4_464
; %bb.388:                              ;   in Loop: Header=BB4_307 Depth=3
	s_delay_alu instid0(VALU_DEP_1)
	v_dual_ashrrev_i32 v8, 31, v17 :: v_dual_sub_nc_u32 v19, v17, v64
	s_trap 2
	ds_load_b64 v[42:43], v0
	v_add_nc_u64_e32 v[44:45], v[40:41], v[64:65]
	v_lshrrev_b32_e32 v8, 23, v8
	s_mov_b32 s15, 0
	s_mov_b32 s92, exec_lo
	s_delay_alu instid0(VALU_DEP_1) | instskip(NEXT) | instid1(VALU_DEP_1)
	v_add_nc_u32_e32 v8, v17, v8
	v_and_b32_e32 v61, 0xfffffe00, v8
	s_delay_alu instid0(VALU_DEP_1) | instskip(NEXT) | instid1(VALU_DEP_1)
	v_dual_ashrrev_i32 v8, 9, v8 :: v_dual_sub_nc_u32 v62, v17, v61
	v_cmp_lt_i32_e64 s13, 15, v62
	s_delay_alu instid0(VALU_DEP_1)
	v_add_co_ci_u32_e64 v63, null, v8, v79, s13
	v_cmpx_lt_i32_e32 15, v19
	s_cbranch_execz .LBB4_466
; %bb.389:                              ;   in Loop: Header=BB4_307 Depth=3
	v_add_nc_u64_e32 v[46:47], v[22:23], v[64:65]
	s_wait_dscnt 0x0
	v_add_nc_u64_e32 v[56:57], v[42:43], v[64:65]
	s_mov_b32 s95, 0
	s_mov_b32 s93, 0
                                        ; implicit-def: $sgpr94
	s_branch .LBB4_391
.LBB4_390:                              ;   in Loop: Header=BB4_391 Depth=4
	s_or_b32 exec_lo, exec_lo, s14
	s_delay_alu instid0(VALU_DEP_2) | instskip(SKIP_3) | instid1(SALU_CYCLE_1)
	v_cmp_gt_i32_e32 vcc_lo, 16, v19
	s_or_b32 s93, vcc_lo, s93
	s_and_not1_b32 s14, s94, exec_lo
	s_and_b32 s15, s95, exec_lo
	s_or_b32 s94, s14, s15
	s_and_not1_b32 exec_lo, exec_lo, s93
	s_cbranch_execz .LBB4_465
.LBB4_391:                              ;   Parent Loop BB4_47 Depth=1
                                        ;     Parent Loop BB4_304 Depth=2
                                        ;       Parent Loop BB4_307 Depth=3
                                        ; =>      This Loop Header: Depth=4
                                        ;           Child Loop BB4_392 Depth 5
                                        ;           Child Loop BB4_429 Depth 5
	s_add_co_i32 s14, s33, 0x90
	s_mov_b64 s[40:41], 0
	s_mov_b32 vcc_hi, s14
	s_mov_b32 s30, -1
.LBB4_392:                              ;   Parent Loop BB4_47 Depth=1
                                        ;     Parent Loop BB4_304 Depth=2
                                        ;       Parent Loop BB4_307 Depth=3
                                        ;         Parent Loop BB4_391 Depth=4
                                        ; =>        This Inner Loop Header: Depth=5
	s_cmp_eq_u32 s40, 1
	s_cselect_b32 vcc_lo, -1, 0
	s_cmp_eq_u32 s40, 0
	v_dual_cndmask_b32 v13, v47, v57 :: v_dual_cndmask_b32 v12, v46, v56
	s_cselect_b32 s14, -1, 0
	s_and_b32 s15, exec_lo, s30
	s_mov_b64 s[40:41], 1
	s_mov_b32 s30, 0
	global_load_b128 v[8:11], v[12:13], off th:TH_LOAD_NT
	s_wait_xcnt 0x0
	v_add_nc_u64_e32 v[12:13], 0x200, v[12:13]
	s_delay_alu instid0(VALU_DEP_1)
	v_dual_cndmask_b32 v47, v47, v13, s14 :: v_dual_cndmask_b32 v46, v46, v12, s14
	v_dual_cndmask_b32 v57, v57, v13 :: v_dual_cndmask_b32 v56, v56, v12
	s_mov_b32 vcc_lo, s15
	s_wait_loadcnt 0x0
	scratch_store_b128 off, v[8:11], vcc_hi
	s_wait_xcnt 0x0
	s_mov_b32 vcc_hi, s56
	s_cbranch_vccnz .LBB4_392
; %bb.393:                              ;   in Loop: Header=BB4_391 Depth=4
	s_and_saveexec_b32 s14, s95
	s_cbranch_execz .LBB4_427
; %bb.394:                              ;   in Loop: Header=BB4_391 Depth=4
	s_clause 0x1
	scratch_load_b128 v[8:11], off, s33 offset:176
	scratch_load_b128 v[12:15], off, s33 offset:192
	s_mov_b32 s15, exec_lo
                                        ; implicit-def: $vgpr88
	s_wait_loadcnt 0x1
	v_lshlrev_b32_e32 v58, 16, v8
	s_wait_loadcnt 0x0
	v_lshlrev_b32_e32 v59, 16, v12
	s_delay_alu instid0(VALU_DEP_1) | instskip(NEXT) | instid1(VALU_DEP_1)
	v_mul_f32_e32 v58, v58, v59
	v_and_b32_e32 v59, 0x7f800000, v58
	s_wait_xcnt 0x0
	s_delay_alu instid0(VALU_DEP_1)
	v_cmpx_ne_u32_e32 0x7f800000, v59
	s_xor_b32 s15, exec_lo, s15
; %bb.395:                              ;   in Loop: Header=BB4_391 Depth=4
	v_bfe_u32 v59, v58, 16, 1
	s_delay_alu instid0(VALU_DEP_1)
	v_add3_u32 v88, v58, v59, 0x7fff
                                        ; implicit-def: $vgpr58
; %bb.396:                              ;   in Loop: Header=BB4_391 Depth=4
	s_and_not1_saveexec_b32 s15, s15
; %bb.397:                              ;   in Loop: Header=BB4_391 Depth=4
	v_and_b32_e32 v59, 0xffff, v58
	v_or_b32_e32 v88, 0x10000, v58
	s_delay_alu instid0(VALU_DEP_2) | instskip(NEXT) | instid1(VALU_DEP_2)
	v_cmp_eq_u32_e32 vcc_lo, 0, v59
	v_cndmask_b32_e32 v88, v88, v58, vcc_lo
; %bb.398:                              ;   in Loop: Header=BB4_391 Depth=4
	s_or_b32 exec_lo, exec_lo, s15
	v_and_b32_e32 v59, 0xffff0000, v12
	v_and_b32_e32 v58, 0xffff0000, v8
	s_mov_b32 s15, exec_lo
                                        ; implicit-def: $vgpr12
	s_delay_alu instid0(VALU_DEP_2) | instskip(NEXT) | instid1(VALU_DEP_1)
	v_mov_b32_e32 v8, v59
	v_pk_mul_f32 v[58:59], v[8:9], v[58:59]
	s_delay_alu instid0(VALU_DEP_1) | instskip(NEXT) | instid1(VALU_DEP_1)
	v_and_b32_e32 v8, 0x7f800000, v58
	v_cmpx_ne_u32_e32 0x7f800000, v8
	s_xor_b32 s15, exec_lo, s15
; %bb.399:                              ;   in Loop: Header=BB4_391 Depth=4
	v_bfe_u32 v8, v58, 16, 1
	s_delay_alu instid0(VALU_DEP_1)
	v_add3_u32 v12, v58, v8, 0x7fff
                                        ; implicit-def: $vgpr58_vgpr59
; %bb.400:                              ;   in Loop: Header=BB4_391 Depth=4
	s_and_not1_saveexec_b32 s15, s15
; %bb.401:                              ;   in Loop: Header=BB4_391 Depth=4
	v_and_b32_e32 v8, 0xffff, v58
	v_or_b32_e32 v12, 0x10000, v58
	s_delay_alu instid0(VALU_DEP_2) | instskip(NEXT) | instid1(VALU_DEP_2)
	v_cmp_eq_u32_e32 vcc_lo, 0, v8
	v_cndmask_b32_e32 v12, v12, v58, vcc_lo
; %bb.402:                              ;   in Loop: Header=BB4_391 Depth=4
	s_or_b32 exec_lo, exec_lo, s15
	v_lshlrev_b32_e32 v8, 16, v9
	v_lshlrev_b32_e32 v58, 16, v13
	s_delay_alu instid0(VALU_DEP_1) | instskip(NEXT) | instid1(VALU_DEP_1)
	v_mul_f32_e32 v8, v58, v8
	v_and_b32_e32 v58, 0x7f800000, v8
	s_delay_alu instid0(VALU_DEP_1) | instskip(SKIP_1) | instid1(SALU_CYCLE_1)
	v_cmp_ne_u32_e32 vcc_lo, 0x7f800000, v58
                                        ; implicit-def: $vgpr58
	s_and_saveexec_b32 s15, vcc_lo
	s_xor_b32 s15, exec_lo, s15
; %bb.403:                              ;   in Loop: Header=BB4_391 Depth=4
	v_bfe_u32 v58, v8, 16, 1
	s_delay_alu instid0(VALU_DEP_1)
	v_add3_u32 v58, v8, v58, 0x7fff
                                        ; implicit-def: $vgpr8
; %bb.404:                              ;   in Loop: Header=BB4_391 Depth=4
	s_and_not1_saveexec_b32 s15, s15
; %bb.405:                              ;   in Loop: Header=BB4_391 Depth=4
	v_and_b32_e32 v58, 0xffff, v8
	v_or_b32_e32 v59, 0x10000, v8
	s_delay_alu instid0(VALU_DEP_2) | instskip(NEXT) | instid1(VALU_DEP_2)
	v_cmp_eq_u32_e32 vcc_lo, 0, v58
	v_cndmask_b32_e32 v58, v59, v8, vcc_lo
; %bb.406:                              ;   in Loop: Header=BB4_391 Depth=4
	s_or_b32 exec_lo, exec_lo, s15
	v_and_b32_e32 v91, 0xffff0000, v13
	v_and_b32_e32 v90, 0xffff0000, v9
	s_mov_b32 s15, exec_lo
                                        ; implicit-def: $vgpr13
	s_delay_alu instid0(VALU_DEP_2) | instskip(NEXT) | instid1(VALU_DEP_1)
	v_mov_b32_e32 v8, v91
	v_pk_mul_f32 v[8:9], v[8:9], v[90:91]
	s_delay_alu instid0(VALU_DEP_1) | instskip(NEXT) | instid1(VALU_DEP_1)
	v_and_b32_e32 v9, 0x7f800000, v8
	v_cmpx_ne_u32_e32 0x7f800000, v9
	s_xor_b32 s15, exec_lo, s15
; %bb.407:                              ;   in Loop: Header=BB4_391 Depth=4
	v_bfe_u32 v9, v8, 16, 1
	s_delay_alu instid0(VALU_DEP_1)
	v_add3_u32 v13, v8, v9, 0x7fff
                                        ; implicit-def: $vgpr8_vgpr9
; %bb.408:                              ;   in Loop: Header=BB4_391 Depth=4
	s_and_not1_saveexec_b32 s15, s15
; %bb.409:                              ;   in Loop: Header=BB4_391 Depth=4
	v_and_b32_e32 v9, 0xffff, v8
	v_or_b32_e32 v13, 0x10000, v8
	s_delay_alu instid0(VALU_DEP_2) | instskip(NEXT) | instid1(VALU_DEP_2)
	v_cmp_eq_u32_e32 vcc_lo, 0, v9
	v_cndmask_b32_e32 v13, v13, v8, vcc_lo
; %bb.410:                              ;   in Loop: Header=BB4_391 Depth=4
	s_or_b32 exec_lo, exec_lo, s15
	v_lshlrev_b32_e32 v8, 16, v10
	v_lshlrev_b32_e32 v9, 16, v14
	s_mov_b32 s15, exec_lo
                                        ; implicit-def: $vgpr59
	s_delay_alu instid0(VALU_DEP_1) | instskip(NEXT) | instid1(VALU_DEP_1)
	v_mul_f32_e32 v8, v9, v8
	v_and_b32_e32 v9, 0x7f800000, v8
	s_delay_alu instid0(VALU_DEP_1)
	v_cmpx_ne_u32_e32 0x7f800000, v9
	s_xor_b32 s15, exec_lo, s15
; %bb.411:                              ;   in Loop: Header=BB4_391 Depth=4
	v_bfe_u32 v9, v8, 16, 1
	s_delay_alu instid0(VALU_DEP_1)
	v_add3_u32 v59, v8, v9, 0x7fff
                                        ; implicit-def: $vgpr8
; %bb.412:                              ;   in Loop: Header=BB4_391 Depth=4
	s_and_not1_saveexec_b32 s15, s15
; %bb.413:                              ;   in Loop: Header=BB4_391 Depth=4
	v_and_b32_e32 v9, 0xffff, v8
	v_or_b32_e32 v59, 0x10000, v8
	s_delay_alu instid0(VALU_DEP_2) | instskip(NEXT) | instid1(VALU_DEP_2)
	v_cmp_eq_u32_e32 vcc_lo, 0, v9
	v_cndmask_b32_e32 v59, v59, v8, vcc_lo
; %bb.414:                              ;   in Loop: Header=BB4_391 Depth=4
	s_or_b32 exec_lo, exec_lo, s15
	v_and_b32_e32 v9, 0xffff0000, v14
	v_and_b32_e32 v8, 0xffff0000, v10
	s_mov_b32 s15, exec_lo
	s_delay_alu instid0(VALU_DEP_2) | instskip(NEXT) | instid1(VALU_DEP_1)
	v_mov_b32_e32 v10, v9
	v_pk_mul_f32 v[8:9], v[10:11], v[8:9]
                                        ; implicit-def: $vgpr10
	s_delay_alu instid0(VALU_DEP_1) | instskip(NEXT) | instid1(VALU_DEP_1)
	v_and_b32_e32 v9, 0x7f800000, v8
	v_cmpx_ne_u32_e32 0x7f800000, v9
	s_xor_b32 s15, exec_lo, s15
; %bb.415:                              ;   in Loop: Header=BB4_391 Depth=4
	v_bfe_u32 v9, v8, 16, 1
	s_delay_alu instid0(VALU_DEP_1)
	v_add3_u32 v10, v8, v9, 0x7fff
                                        ; implicit-def: $vgpr8_vgpr9
; %bb.416:                              ;   in Loop: Header=BB4_391 Depth=4
	s_and_not1_saveexec_b32 s15, s15
; %bb.417:                              ;   in Loop: Header=BB4_391 Depth=4
	v_and_b32_e32 v9, 0xffff, v8
	v_or_b32_e32 v10, 0x10000, v8
	s_delay_alu instid0(VALU_DEP_2) | instskip(NEXT) | instid1(VALU_DEP_2)
	v_cmp_eq_u32_e32 vcc_lo, 0, v9
	v_cndmask_b32_e32 v10, v10, v8, vcc_lo
; %bb.418:                              ;   in Loop: Header=BB4_391 Depth=4
	s_or_b32 exec_lo, exec_lo, s15
	v_lshlrev_b32_e32 v8, 16, v11
	v_lshlrev_b32_e32 v9, 16, v15
	s_mov_b32 s15, exec_lo
                                        ; implicit-def: $vgpr14
	s_delay_alu instid0(VALU_DEP_1) | instskip(NEXT) | instid1(VALU_DEP_1)
	v_mul_f32_e32 v8, v9, v8
	v_and_b32_e32 v9, 0x7f800000, v8
	s_delay_alu instid0(VALU_DEP_1)
	v_cmpx_ne_u32_e32 0x7f800000, v9
	s_xor_b32 s15, exec_lo, s15
; %bb.419:                              ;   in Loop: Header=BB4_391 Depth=4
	v_bfe_u32 v9, v8, 16, 1
	s_delay_alu instid0(VALU_DEP_1)
	v_add3_u32 v14, v8, v9, 0x7fff
                                        ; implicit-def: $vgpr8
; %bb.420:                              ;   in Loop: Header=BB4_391 Depth=4
	s_and_not1_saveexec_b32 s15, s15
; %bb.421:                              ;   in Loop: Header=BB4_391 Depth=4
	v_and_b32_e32 v9, 0xffff, v8
	v_or_b32_e32 v14, 0x10000, v8
	s_delay_alu instid0(VALU_DEP_2) | instskip(NEXT) | instid1(VALU_DEP_2)
	v_cmp_eq_u32_e32 vcc_lo, 0, v9
	v_cndmask_b32_e32 v14, v14, v8, vcc_lo
; %bb.422:                              ;   in Loop: Header=BB4_391 Depth=4
	s_or_b32 exec_lo, exec_lo, s15
	v_and_b32_e32 v9, 0xffff0000, v15
	v_and_b32_e32 v8, 0xffff0000, v11
	s_mov_b32 s15, exec_lo
                                        ; implicit-def: $vgpr11
	s_delay_alu instid0(VALU_DEP_2) | instskip(NEXT) | instid1(VALU_DEP_1)
	v_mov_b32_e32 v90, v9
	v_pk_mul_f32 v[8:9], v[90:91], v[8:9]
	s_delay_alu instid0(VALU_DEP_1) | instskip(NEXT) | instid1(VALU_DEP_1)
	v_and_b32_e32 v9, 0x7f800000, v8
	v_cmpx_ne_u32_e32 0x7f800000, v9
	s_xor_b32 s15, exec_lo, s15
; %bb.423:                              ;   in Loop: Header=BB4_391 Depth=4
	v_bfe_u32 v9, v8, 16, 1
	s_delay_alu instid0(VALU_DEP_1)
	v_add3_u32 v11, v8, v9, 0x7fff
                                        ; implicit-def: $vgpr8_vgpr9
; %bb.424:                              ;   in Loop: Header=BB4_391 Depth=4
	s_and_not1_saveexec_b32 s15, s15
; %bb.425:                              ;   in Loop: Header=BB4_391 Depth=4
	v_and_b32_e32 v9, 0xffff, v8
	v_or_b32_e32 v11, 0x10000, v8
	s_delay_alu instid0(VALU_DEP_2) | instskip(NEXT) | instid1(VALU_DEP_2)
	v_cmp_eq_u32_e32 vcc_lo, 0, v9
	v_cndmask_b32_e32 v11, v11, v8, vcc_lo
; %bb.426:                              ;   in Loop: Header=BB4_391 Depth=4
	s_or_b32 exec_lo, exec_lo, s15
	v_dual_lshrrev_b32 v8, 16, v58 :: v_dual_lshrrev_b32 v15, 16, v88
	v_dual_lshrrev_b32 v58, 16, v59 :: v_dual_lshrrev_b32 v14, 16, v14
	s_delay_alu instid0(VALU_DEP_2) | instskip(NEXT) | instid1(VALU_DEP_3)
	v_and_or_b32 v9, 0xffff0000, v13, v8
	v_and_or_b32 v8, 0xffff0000, v12, v15
	s_delay_alu instid0(VALU_DEP_3) | instskip(NEXT) | instid1(VALU_DEP_4)
	v_and_or_b32 v10, 0xffff0000, v10, v58
	v_and_or_b32 v11, 0xffff0000, v11, v14
	global_store_b128 v[44:45], v[8:11], off th:TH_STORE_NT
	s_wait_xcnt 0x0
	v_add_nc_u64_e32 v[44:45], v[98:99], v[44:45]
	scratch_store_b128 off, v[8:11], s33 offset:176
.LBB4_427:                              ;   in Loop: Header=BB4_391 Depth=4
	s_wait_xcnt 0x0
	s_or_b32 exec_lo, exec_lo, s14
	v_sub_nc_u32_e32 v19, v19, v76
	v_add_nc_u64_e32 v[46:47], v[46:47], v[82:83]
	v_add_nc_u64_e32 v[56:57], v[56:57], v[82:83]
	s_delay_alu instid0(VALU_DEP_3)
	v_cmp_lt_i32_e64 s95, 15, v19
	s_and_saveexec_b32 vcc_hi, s95
	s_cbranch_execz .LBB4_430
; %bb.428:                              ;   in Loop: Header=BB4_391 Depth=4
	s_add_co_i32 s14, s33, 0xb0
	s_mov_b64 s[40:41], 0
	s_mov_b32 s30, s14
	s_mov_b32 s31, -1
.LBB4_429:                              ;   Parent Loop BB4_47 Depth=1
                                        ;     Parent Loop BB4_304 Depth=2
                                        ;       Parent Loop BB4_307 Depth=3
                                        ;         Parent Loop BB4_391 Depth=4
                                        ; =>        This Inner Loop Header: Depth=5
	s_cmp_eq_u32 s40, 1
	s_cselect_b32 vcc_lo, -1, 0
	s_cmp_eq_u32 s40, 0
	v_dual_cndmask_b32 v13, v47, v57 :: v_dual_cndmask_b32 v12, v46, v56
	s_cselect_b32 s14, -1, 0
	s_and_b32 s15, exec_lo, s31
	s_mov_b64 s[40:41], 1
	s_mov_b32 s31, 0
	global_load_b128 v[8:11], v[12:13], off th:TH_LOAD_NT
	s_wait_xcnt 0x0
	v_add_nc_u64_e32 v[12:13], 0x200, v[12:13]
	s_delay_alu instid0(VALU_DEP_1)
	v_dual_cndmask_b32 v47, v47, v13, s14 :: v_dual_cndmask_b32 v46, v46, v12, s14
	v_dual_cndmask_b32 v57, v57, v13 :: v_dual_cndmask_b32 v56, v56, v12
	s_mov_b32 vcc_lo, s15
	s_wait_loadcnt 0x0
	scratch_store_b128 off, v[8:11], s30
	s_wait_xcnt 0x0
	s_mov_b32 s30, s47
	s_cbranch_vccnz .LBB4_429
.LBB4_430:                              ;   in Loop: Header=BB4_391 Depth=4
	s_or_b32 exec_lo, exec_lo, vcc_hi
	s_clause 0x1
	scratch_load_b128 v[8:11], off, s33 offset:144
	scratch_load_b128 v[12:15], off, s33 offset:160
	s_mov_b32 s14, exec_lo
                                        ; implicit-def: $vgpr88
	s_wait_loadcnt 0x1
	v_lshlrev_b32_e32 v58, 16, v8
	s_wait_loadcnt 0x0
	v_lshlrev_b32_e32 v59, 16, v12
	s_delay_alu instid0(VALU_DEP_1) | instskip(NEXT) | instid1(VALU_DEP_1)
	v_mul_f32_e32 v58, v58, v59
	v_and_b32_e32 v59, 0x7f800000, v58
	s_wait_xcnt 0x0
	s_delay_alu instid0(VALU_DEP_1)
	v_cmpx_ne_u32_e32 0x7f800000, v59
	s_xor_b32 s14, exec_lo, s14
; %bb.431:                              ;   in Loop: Header=BB4_391 Depth=4
	v_bfe_u32 v59, v58, 16, 1
	s_delay_alu instid0(VALU_DEP_1)
	v_add3_u32 v88, v58, v59, 0x7fff
                                        ; implicit-def: $vgpr58
; %bb.432:                              ;   in Loop: Header=BB4_391 Depth=4
	s_and_not1_saveexec_b32 s14, s14
; %bb.433:                              ;   in Loop: Header=BB4_391 Depth=4
	v_and_b32_e32 v59, 0xffff, v58
	v_or_b32_e32 v88, 0x10000, v58
	s_delay_alu instid0(VALU_DEP_2) | instskip(NEXT) | instid1(VALU_DEP_2)
	v_cmp_eq_u32_e32 vcc_lo, 0, v59
	v_cndmask_b32_e32 v88, v88, v58, vcc_lo
; %bb.434:                              ;   in Loop: Header=BB4_391 Depth=4
	s_or_b32 exec_lo, exec_lo, s14
	v_and_b32_e32 v59, 0xffff0000, v12
	v_and_b32_e32 v58, 0xffff0000, v8
	s_mov_b32 s14, exec_lo
                                        ; implicit-def: $vgpr12
	s_delay_alu instid0(VALU_DEP_2) | instskip(NEXT) | instid1(VALU_DEP_1)
	v_mov_b32_e32 v8, v59
	v_pk_mul_f32 v[58:59], v[8:9], v[58:59]
	s_delay_alu instid0(VALU_DEP_1) | instskip(NEXT) | instid1(VALU_DEP_1)
	v_and_b32_e32 v8, 0x7f800000, v58
	v_cmpx_ne_u32_e32 0x7f800000, v8
	s_xor_b32 s14, exec_lo, s14
; %bb.435:                              ;   in Loop: Header=BB4_391 Depth=4
	v_bfe_u32 v8, v58, 16, 1
	s_delay_alu instid0(VALU_DEP_1)
	v_add3_u32 v12, v58, v8, 0x7fff
                                        ; implicit-def: $vgpr58_vgpr59
; %bb.436:                              ;   in Loop: Header=BB4_391 Depth=4
	s_and_not1_saveexec_b32 s14, s14
; %bb.437:                              ;   in Loop: Header=BB4_391 Depth=4
	v_and_b32_e32 v8, 0xffff, v58
	v_or_b32_e32 v12, 0x10000, v58
	s_delay_alu instid0(VALU_DEP_2) | instskip(NEXT) | instid1(VALU_DEP_2)
	v_cmp_eq_u32_e32 vcc_lo, 0, v8
	v_cndmask_b32_e32 v12, v12, v58, vcc_lo
; %bb.438:                              ;   in Loop: Header=BB4_391 Depth=4
	s_or_b32 exec_lo, exec_lo, s14
	v_lshlrev_b32_e32 v8, 16, v9
	v_lshlrev_b32_e32 v58, 16, v13
	s_delay_alu instid0(VALU_DEP_1) | instskip(NEXT) | instid1(VALU_DEP_1)
	v_mul_f32_e32 v8, v58, v8
	v_and_b32_e32 v58, 0x7f800000, v8
	s_delay_alu instid0(VALU_DEP_1) | instskip(SKIP_1) | instid1(SALU_CYCLE_1)
	v_cmp_ne_u32_e32 vcc_lo, 0x7f800000, v58
                                        ; implicit-def: $vgpr58
	s_and_saveexec_b32 s14, vcc_lo
	s_xor_b32 s14, exec_lo, s14
; %bb.439:                              ;   in Loop: Header=BB4_391 Depth=4
	v_bfe_u32 v58, v8, 16, 1
	s_delay_alu instid0(VALU_DEP_1)
	v_add3_u32 v58, v8, v58, 0x7fff
                                        ; implicit-def: $vgpr8
; %bb.440:                              ;   in Loop: Header=BB4_391 Depth=4
	s_and_not1_saveexec_b32 s14, s14
; %bb.441:                              ;   in Loop: Header=BB4_391 Depth=4
	v_and_b32_e32 v58, 0xffff, v8
	v_or_b32_e32 v59, 0x10000, v8
	s_delay_alu instid0(VALU_DEP_2) | instskip(NEXT) | instid1(VALU_DEP_2)
	v_cmp_eq_u32_e32 vcc_lo, 0, v58
	v_cndmask_b32_e32 v58, v59, v8, vcc_lo
; %bb.442:                              ;   in Loop: Header=BB4_391 Depth=4
	s_or_b32 exec_lo, exec_lo, s14
	v_and_b32_e32 v91, 0xffff0000, v13
	v_and_b32_e32 v90, 0xffff0000, v9
	s_mov_b32 s14, exec_lo
                                        ; implicit-def: $vgpr13
	s_delay_alu instid0(VALU_DEP_2) | instskip(NEXT) | instid1(VALU_DEP_1)
	v_mov_b32_e32 v8, v91
	v_pk_mul_f32 v[8:9], v[8:9], v[90:91]
	s_delay_alu instid0(VALU_DEP_1) | instskip(NEXT) | instid1(VALU_DEP_1)
	v_and_b32_e32 v9, 0x7f800000, v8
	v_cmpx_ne_u32_e32 0x7f800000, v9
	s_xor_b32 s14, exec_lo, s14
; %bb.443:                              ;   in Loop: Header=BB4_391 Depth=4
	v_bfe_u32 v9, v8, 16, 1
	s_delay_alu instid0(VALU_DEP_1)
	v_add3_u32 v13, v8, v9, 0x7fff
                                        ; implicit-def: $vgpr8_vgpr9
; %bb.444:                              ;   in Loop: Header=BB4_391 Depth=4
	s_and_not1_saveexec_b32 s14, s14
; %bb.445:                              ;   in Loop: Header=BB4_391 Depth=4
	v_and_b32_e32 v9, 0xffff, v8
	v_or_b32_e32 v13, 0x10000, v8
	s_delay_alu instid0(VALU_DEP_2) | instskip(NEXT) | instid1(VALU_DEP_2)
	v_cmp_eq_u32_e32 vcc_lo, 0, v9
	v_cndmask_b32_e32 v13, v13, v8, vcc_lo
; %bb.446:                              ;   in Loop: Header=BB4_391 Depth=4
	s_or_b32 exec_lo, exec_lo, s14
	v_lshlrev_b32_e32 v8, 16, v10
	v_lshlrev_b32_e32 v9, 16, v14
	s_mov_b32 s14, exec_lo
                                        ; implicit-def: $vgpr59
	s_delay_alu instid0(VALU_DEP_1) | instskip(NEXT) | instid1(VALU_DEP_1)
	v_mul_f32_e32 v8, v9, v8
	v_and_b32_e32 v9, 0x7f800000, v8
	s_delay_alu instid0(VALU_DEP_1)
	v_cmpx_ne_u32_e32 0x7f800000, v9
	s_xor_b32 s14, exec_lo, s14
; %bb.447:                              ;   in Loop: Header=BB4_391 Depth=4
	v_bfe_u32 v9, v8, 16, 1
	s_delay_alu instid0(VALU_DEP_1)
	v_add3_u32 v59, v8, v9, 0x7fff
                                        ; implicit-def: $vgpr8
; %bb.448:                              ;   in Loop: Header=BB4_391 Depth=4
	s_and_not1_saveexec_b32 s14, s14
; %bb.449:                              ;   in Loop: Header=BB4_391 Depth=4
	v_and_b32_e32 v9, 0xffff, v8
	v_or_b32_e32 v59, 0x10000, v8
	s_delay_alu instid0(VALU_DEP_2) | instskip(NEXT) | instid1(VALU_DEP_2)
	v_cmp_eq_u32_e32 vcc_lo, 0, v9
	v_cndmask_b32_e32 v59, v59, v8, vcc_lo
; %bb.450:                              ;   in Loop: Header=BB4_391 Depth=4
	s_or_b32 exec_lo, exec_lo, s14
	v_and_b32_e32 v9, 0xffff0000, v14
	v_and_b32_e32 v8, 0xffff0000, v10
	s_mov_b32 s14, exec_lo
	s_delay_alu instid0(VALU_DEP_2) | instskip(NEXT) | instid1(VALU_DEP_1)
	v_mov_b32_e32 v10, v9
	v_pk_mul_f32 v[8:9], v[10:11], v[8:9]
                                        ; implicit-def: $vgpr10
	s_delay_alu instid0(VALU_DEP_1) | instskip(NEXT) | instid1(VALU_DEP_1)
	v_and_b32_e32 v9, 0x7f800000, v8
	v_cmpx_ne_u32_e32 0x7f800000, v9
	s_xor_b32 s14, exec_lo, s14
; %bb.451:                              ;   in Loop: Header=BB4_391 Depth=4
	v_bfe_u32 v9, v8, 16, 1
	s_delay_alu instid0(VALU_DEP_1)
	v_add3_u32 v10, v8, v9, 0x7fff
                                        ; implicit-def: $vgpr8_vgpr9
; %bb.452:                              ;   in Loop: Header=BB4_391 Depth=4
	s_and_not1_saveexec_b32 s14, s14
; %bb.453:                              ;   in Loop: Header=BB4_391 Depth=4
	v_and_b32_e32 v9, 0xffff, v8
	v_or_b32_e32 v10, 0x10000, v8
	s_delay_alu instid0(VALU_DEP_2) | instskip(NEXT) | instid1(VALU_DEP_2)
	v_cmp_eq_u32_e32 vcc_lo, 0, v9
	v_cndmask_b32_e32 v10, v10, v8, vcc_lo
; %bb.454:                              ;   in Loop: Header=BB4_391 Depth=4
	s_or_b32 exec_lo, exec_lo, s14
	v_lshlrev_b32_e32 v8, 16, v11
	v_lshlrev_b32_e32 v9, 16, v15
	s_mov_b32 s14, exec_lo
                                        ; implicit-def: $vgpr14
	s_delay_alu instid0(VALU_DEP_1) | instskip(NEXT) | instid1(VALU_DEP_1)
	v_mul_f32_e32 v8, v9, v8
	v_and_b32_e32 v9, 0x7f800000, v8
	s_delay_alu instid0(VALU_DEP_1)
	v_cmpx_ne_u32_e32 0x7f800000, v9
	s_xor_b32 s14, exec_lo, s14
; %bb.455:                              ;   in Loop: Header=BB4_391 Depth=4
	v_bfe_u32 v9, v8, 16, 1
	s_delay_alu instid0(VALU_DEP_1)
	v_add3_u32 v14, v8, v9, 0x7fff
                                        ; implicit-def: $vgpr8
; %bb.456:                              ;   in Loop: Header=BB4_391 Depth=4
	s_and_not1_saveexec_b32 s14, s14
; %bb.457:                              ;   in Loop: Header=BB4_391 Depth=4
	v_and_b32_e32 v9, 0xffff, v8
	v_or_b32_e32 v14, 0x10000, v8
	s_delay_alu instid0(VALU_DEP_2) | instskip(NEXT) | instid1(VALU_DEP_2)
	v_cmp_eq_u32_e32 vcc_lo, 0, v9
	v_cndmask_b32_e32 v14, v14, v8, vcc_lo
; %bb.458:                              ;   in Loop: Header=BB4_391 Depth=4
	s_or_b32 exec_lo, exec_lo, s14
	v_and_b32_e32 v9, 0xffff0000, v15
	v_and_b32_e32 v8, 0xffff0000, v11
	s_mov_b32 s14, exec_lo
                                        ; implicit-def: $vgpr11
	s_delay_alu instid0(VALU_DEP_2) | instskip(NEXT) | instid1(VALU_DEP_1)
	v_mov_b32_e32 v90, v9
	v_pk_mul_f32 v[8:9], v[90:91], v[8:9]
	s_delay_alu instid0(VALU_DEP_1) | instskip(NEXT) | instid1(VALU_DEP_1)
	v_and_b32_e32 v9, 0x7f800000, v8
	v_cmpx_ne_u32_e32 0x7f800000, v9
	s_xor_b32 s14, exec_lo, s14
; %bb.459:                              ;   in Loop: Header=BB4_391 Depth=4
	v_bfe_u32 v9, v8, 16, 1
	s_delay_alu instid0(VALU_DEP_1)
	v_add3_u32 v11, v8, v9, 0x7fff
                                        ; implicit-def: $vgpr8_vgpr9
; %bb.460:                              ;   in Loop: Header=BB4_391 Depth=4
	s_and_not1_saveexec_b32 s14, s14
; %bb.461:                              ;   in Loop: Header=BB4_391 Depth=4
	v_and_b32_e32 v9, 0xffff, v8
	v_or_b32_e32 v11, 0x10000, v8
	s_delay_alu instid0(VALU_DEP_2) | instskip(NEXT) | instid1(VALU_DEP_2)
	v_cmp_eq_u32_e32 vcc_lo, 0, v9
	v_cndmask_b32_e32 v11, v11, v8, vcc_lo
; %bb.462:                              ;   in Loop: Header=BB4_391 Depth=4
	s_or_b32 exec_lo, exec_lo, s14
	v_dual_lshrrev_b32 v8, 16, v58 :: v_dual_lshrrev_b32 v15, 16, v88
	v_dual_lshrrev_b32 v58, 16, v59 :: v_dual_lshrrev_b32 v14, 16, v14
	v_sub_nc_u32_e32 v63, v63, v52
	s_delay_alu instid0(VALU_DEP_3) | instskip(NEXT) | instid1(VALU_DEP_4)
	v_and_or_b32 v9, 0xffff0000, v13, v8
	v_and_or_b32 v8, 0xffff0000, v12, v15
	s_delay_alu instid0(VALU_DEP_4)
	v_and_or_b32 v10, 0xffff0000, v10, v58
	v_and_or_b32 v11, 0xffff0000, v11, v14
	global_store_b128 v[44:45], v[8:11], off th:TH_STORE_NT
	s_wait_xcnt 0x0
	v_add_nc_u64_e32 v[44:45], 0x200, v[44:45]
	scratch_store_b128 off, v[8:11], s33 offset:144
	s_wait_xcnt 0x0
	s_and_saveexec_b32 s14, s95
	s_cbranch_execz .LBB4_390
; %bb.463:                              ;   in Loop: Header=BB4_391 Depth=4
	v_add_nc_u64_e32 v[46:47], v[46:47], v[82:83]
	v_add_nc_u64_e32 v[56:57], v[56:57], v[82:83]
	;; [unrolled: 1-line block ×3, first 2 shown]
	v_sub_nc_u32_e32 v19, v19, v76
	v_sub_nc_u32_e32 v63, v63, v52
	s_branch .LBB4_390
.LBB4_464:                              ;   in Loop: Header=BB4_307 Depth=3
	v_dual_mov_b32 v15, v0 :: v_dual_mov_b32 v8, v78
	s_and_saveexec_b32 s15, s91
	s_cbranch_execnz .LBB4_616
	s_branch .LBB4_699
.LBB4_465:                              ;   in Loop: Header=BB4_307 Depth=3
	s_or_b32 exec_lo, exec_lo, s93
	s_delay_alu instid0(SALU_CYCLE_1)
	s_and_b32 s15, s94, exec_lo
.LBB4_466:                              ;   in Loop: Header=BB4_307 Depth=3
	s_or_b32 exec_lo, exec_lo, s92
	s_and_saveexec_b32 s14, s15
	s_cbranch_execz .LBB4_500
; %bb.467:                              ;   in Loop: Header=BB4_307 Depth=3
	s_clause 0x1
	scratch_load_b128 v[8:11], off, s33 offset:176
	scratch_load_b128 v[12:15], off, s33 offset:192
	s_wait_loadcnt 0x1
	v_lshlrev_b32_e32 v19, 16, v8
	s_wait_loadcnt 0x0
	v_lshlrev_b32_e32 v46, 16, v12
	s_delay_alu instid0(VALU_DEP_1) | instskip(NEXT) | instid1(VALU_DEP_1)
	v_mul_f32_e32 v46, v19, v46
	v_and_b32_e32 v19, 0x7f800000, v46
	s_delay_alu instid0(VALU_DEP_1) | instskip(SKIP_2) | instid1(SALU_CYCLE_1)
	v_cmp_ne_u32_e32 vcc_lo, 0x7f800000, v19
                                        ; implicit-def: $vgpr19
	s_wait_xcnt 0x0
	s_and_saveexec_b32 s15, vcc_lo
	s_xor_b32 s15, exec_lo, s15
; %bb.468:                              ;   in Loop: Header=BB4_307 Depth=3
	v_bfe_u32 v19, v46, 16, 1
	s_delay_alu instid0(VALU_DEP_1)
	v_add3_u32 v19, v46, v19, 0x7fff
                                        ; implicit-def: $vgpr46
; %bb.469:                              ;   in Loop: Header=BB4_307 Depth=3
	s_and_not1_saveexec_b32 s15, s15
; %bb.470:                              ;   in Loop: Header=BB4_307 Depth=3
	v_and_b32_e32 v19, 0xffff, v46
	v_or_b32_e32 v47, 0x10000, v46
	s_delay_alu instid0(VALU_DEP_2) | instskip(NEXT) | instid1(VALU_DEP_2)
	v_cmp_eq_u32_e32 vcc_lo, 0, v19
	v_cndmask_b32_e32 v19, v47, v46, vcc_lo
; %bb.471:                              ;   in Loop: Header=BB4_307 Depth=3
	s_or_b32 exec_lo, exec_lo, s15
	v_and_b32_e32 v47, 0xffff0000, v12
	v_and_b32_e32 v46, 0xffff0000, v8
	s_mov_b32 s15, exec_lo
                                        ; implicit-def: $vgpr12
	s_delay_alu instid0(VALU_DEP_2) | instskip(NEXT) | instid1(VALU_DEP_1)
	v_mov_b32_e32 v8, v47
	v_pk_mul_f32 v[46:47], v[8:9], v[46:47]
	s_delay_alu instid0(VALU_DEP_1) | instskip(NEXT) | instid1(VALU_DEP_1)
	v_and_b32_e32 v8, 0x7f800000, v46
	v_cmpx_ne_u32_e32 0x7f800000, v8
	s_xor_b32 s15, exec_lo, s15
; %bb.472:                              ;   in Loop: Header=BB4_307 Depth=3
	v_bfe_u32 v8, v46, 16, 1
	s_delay_alu instid0(VALU_DEP_1)
	v_add3_u32 v12, v46, v8, 0x7fff
                                        ; implicit-def: $vgpr46_vgpr47
; %bb.473:                              ;   in Loop: Header=BB4_307 Depth=3
	s_and_not1_saveexec_b32 s15, s15
; %bb.474:                              ;   in Loop: Header=BB4_307 Depth=3
	v_and_b32_e32 v8, 0xffff, v46
	v_or_b32_e32 v12, 0x10000, v46
	s_delay_alu instid0(VALU_DEP_2) | instskip(NEXT) | instid1(VALU_DEP_2)
	v_cmp_eq_u32_e32 vcc_lo, 0, v8
	v_cndmask_b32_e32 v12, v12, v46, vcc_lo
; %bb.475:                              ;   in Loop: Header=BB4_307 Depth=3
	s_or_b32 exec_lo, exec_lo, s15
	v_lshlrev_b32_e32 v8, 16, v9
	v_lshlrev_b32_e32 v46, 16, v13
	s_delay_alu instid0(VALU_DEP_1) | instskip(NEXT) | instid1(VALU_DEP_1)
	v_mul_f32_e32 v8, v46, v8
	v_and_b32_e32 v46, 0x7f800000, v8
	s_delay_alu instid0(VALU_DEP_1) | instskip(SKIP_1) | instid1(SALU_CYCLE_1)
	v_cmp_ne_u32_e32 vcc_lo, 0x7f800000, v46
                                        ; implicit-def: $vgpr46
	s_and_saveexec_b32 s15, vcc_lo
	s_xor_b32 s15, exec_lo, s15
; %bb.476:                              ;   in Loop: Header=BB4_307 Depth=3
	v_bfe_u32 v46, v8, 16, 1
	s_delay_alu instid0(VALU_DEP_1)
	v_add3_u32 v46, v8, v46, 0x7fff
                                        ; implicit-def: $vgpr8
; %bb.477:                              ;   in Loop: Header=BB4_307 Depth=3
	s_and_not1_saveexec_b32 s15, s15
; %bb.478:                              ;   in Loop: Header=BB4_307 Depth=3
	v_and_b32_e32 v46, 0xffff, v8
	v_or_b32_e32 v47, 0x10000, v8
	s_delay_alu instid0(VALU_DEP_2) | instskip(NEXT) | instid1(VALU_DEP_2)
	v_cmp_eq_u32_e32 vcc_lo, 0, v46
	v_cndmask_b32_e32 v46, v47, v8, vcc_lo
; %bb.479:                              ;   in Loop: Header=BB4_307 Depth=3
	s_or_b32 exec_lo, exec_lo, s15
	v_and_b32_e32 v57, 0xffff0000, v13
	v_and_b32_e32 v56, 0xffff0000, v9
	s_mov_b32 s15, exec_lo
                                        ; implicit-def: $vgpr13
	s_delay_alu instid0(VALU_DEP_2) | instskip(NEXT) | instid1(VALU_DEP_1)
	v_mov_b32_e32 v8, v57
	v_pk_mul_f32 v[8:9], v[8:9], v[56:57]
	s_delay_alu instid0(VALU_DEP_1) | instskip(NEXT) | instid1(VALU_DEP_1)
	v_and_b32_e32 v9, 0x7f800000, v8
	v_cmpx_ne_u32_e32 0x7f800000, v9
	s_xor_b32 s15, exec_lo, s15
; %bb.480:                              ;   in Loop: Header=BB4_307 Depth=3
	v_bfe_u32 v9, v8, 16, 1
	s_delay_alu instid0(VALU_DEP_1)
	v_add3_u32 v13, v8, v9, 0x7fff
                                        ; implicit-def: $vgpr8_vgpr9
; %bb.481:                              ;   in Loop: Header=BB4_307 Depth=3
	s_and_not1_saveexec_b32 s15, s15
; %bb.482:                              ;   in Loop: Header=BB4_307 Depth=3
	v_and_b32_e32 v9, 0xffff, v8
	v_or_b32_e32 v13, 0x10000, v8
	s_delay_alu instid0(VALU_DEP_2) | instskip(NEXT) | instid1(VALU_DEP_2)
	v_cmp_eq_u32_e32 vcc_lo, 0, v9
	v_cndmask_b32_e32 v13, v13, v8, vcc_lo
; %bb.483:                              ;   in Loop: Header=BB4_307 Depth=3
	s_or_b32 exec_lo, exec_lo, s15
	v_lshlrev_b32_e32 v8, 16, v10
	v_lshlrev_b32_e32 v9, 16, v14
	s_mov_b32 s15, exec_lo
                                        ; implicit-def: $vgpr47
	s_delay_alu instid0(VALU_DEP_1) | instskip(NEXT) | instid1(VALU_DEP_1)
	v_mul_f32_e32 v8, v9, v8
	v_and_b32_e32 v9, 0x7f800000, v8
	s_delay_alu instid0(VALU_DEP_1)
	v_cmpx_ne_u32_e32 0x7f800000, v9
	s_xor_b32 s15, exec_lo, s15
; %bb.484:                              ;   in Loop: Header=BB4_307 Depth=3
	v_bfe_u32 v9, v8, 16, 1
	s_delay_alu instid0(VALU_DEP_1)
	v_add3_u32 v47, v8, v9, 0x7fff
                                        ; implicit-def: $vgpr8
; %bb.485:                              ;   in Loop: Header=BB4_307 Depth=3
	s_and_not1_saveexec_b32 s15, s15
; %bb.486:                              ;   in Loop: Header=BB4_307 Depth=3
	v_and_b32_e32 v9, 0xffff, v8
	v_or_b32_e32 v47, 0x10000, v8
	s_delay_alu instid0(VALU_DEP_2) | instskip(NEXT) | instid1(VALU_DEP_2)
	v_cmp_eq_u32_e32 vcc_lo, 0, v9
	v_cndmask_b32_e32 v47, v47, v8, vcc_lo
; %bb.487:                              ;   in Loop: Header=BB4_307 Depth=3
	s_or_b32 exec_lo, exec_lo, s15
	v_and_b32_e32 v9, 0xffff0000, v14
	v_and_b32_e32 v8, 0xffff0000, v10
	s_mov_b32 s15, exec_lo
	s_delay_alu instid0(VALU_DEP_2) | instskip(NEXT) | instid1(VALU_DEP_1)
	v_mov_b32_e32 v10, v9
	v_pk_mul_f32 v[8:9], v[10:11], v[8:9]
                                        ; implicit-def: $vgpr10
	s_delay_alu instid0(VALU_DEP_1) | instskip(NEXT) | instid1(VALU_DEP_1)
	v_and_b32_e32 v9, 0x7f800000, v8
	v_cmpx_ne_u32_e32 0x7f800000, v9
	s_xor_b32 s15, exec_lo, s15
; %bb.488:                              ;   in Loop: Header=BB4_307 Depth=3
	v_bfe_u32 v9, v8, 16, 1
	s_delay_alu instid0(VALU_DEP_1)
	v_add3_u32 v10, v8, v9, 0x7fff
                                        ; implicit-def: $vgpr8_vgpr9
; %bb.489:                              ;   in Loop: Header=BB4_307 Depth=3
	s_and_not1_saveexec_b32 s15, s15
; %bb.490:                              ;   in Loop: Header=BB4_307 Depth=3
	v_and_b32_e32 v9, 0xffff, v8
	v_or_b32_e32 v10, 0x10000, v8
	s_delay_alu instid0(VALU_DEP_2) | instskip(NEXT) | instid1(VALU_DEP_2)
	v_cmp_eq_u32_e32 vcc_lo, 0, v9
	v_cndmask_b32_e32 v10, v10, v8, vcc_lo
; %bb.491:                              ;   in Loop: Header=BB4_307 Depth=3
	s_or_b32 exec_lo, exec_lo, s15
	v_lshlrev_b32_e32 v8, 16, v11
	v_lshlrev_b32_e32 v9, 16, v15
	s_mov_b32 s15, exec_lo
                                        ; implicit-def: $vgpr14
	s_delay_alu instid0(VALU_DEP_1) | instskip(NEXT) | instid1(VALU_DEP_1)
	v_mul_f32_e32 v8, v9, v8
	v_and_b32_e32 v9, 0x7f800000, v8
	s_delay_alu instid0(VALU_DEP_1)
	v_cmpx_ne_u32_e32 0x7f800000, v9
	s_xor_b32 s15, exec_lo, s15
; %bb.492:                              ;   in Loop: Header=BB4_307 Depth=3
	v_bfe_u32 v9, v8, 16, 1
	s_delay_alu instid0(VALU_DEP_1)
	v_add3_u32 v14, v8, v9, 0x7fff
                                        ; implicit-def: $vgpr8
; %bb.493:                              ;   in Loop: Header=BB4_307 Depth=3
	s_and_not1_saveexec_b32 s15, s15
; %bb.494:                              ;   in Loop: Header=BB4_307 Depth=3
	v_and_b32_e32 v9, 0xffff, v8
	v_or_b32_e32 v14, 0x10000, v8
	s_delay_alu instid0(VALU_DEP_2) | instskip(NEXT) | instid1(VALU_DEP_2)
	v_cmp_eq_u32_e32 vcc_lo, 0, v9
	v_cndmask_b32_e32 v14, v14, v8, vcc_lo
; %bb.495:                              ;   in Loop: Header=BB4_307 Depth=3
	s_or_b32 exec_lo, exec_lo, s15
	v_and_b32_e32 v9, 0xffff0000, v15
	v_and_b32_e32 v8, 0xffff0000, v11
	s_mov_b32 s15, exec_lo
                                        ; implicit-def: $vgpr11
	s_delay_alu instid0(VALU_DEP_2) | instskip(NEXT) | instid1(VALU_DEP_1)
	v_mov_b32_e32 v56, v9
	v_pk_mul_f32 v[8:9], v[56:57], v[8:9]
	s_delay_alu instid0(VALU_DEP_1) | instskip(NEXT) | instid1(VALU_DEP_1)
	v_and_b32_e32 v9, 0x7f800000, v8
	v_cmpx_ne_u32_e32 0x7f800000, v9
	s_xor_b32 s15, exec_lo, s15
; %bb.496:                              ;   in Loop: Header=BB4_307 Depth=3
	v_bfe_u32 v9, v8, 16, 1
	s_delay_alu instid0(VALU_DEP_1)
	v_add3_u32 v11, v8, v9, 0x7fff
                                        ; implicit-def: $vgpr8_vgpr9
; %bb.497:                              ;   in Loop: Header=BB4_307 Depth=3
	s_and_not1_saveexec_b32 s15, s15
; %bb.498:                              ;   in Loop: Header=BB4_307 Depth=3
	v_and_b32_e32 v9, 0xffff, v8
	v_or_b32_e32 v11, 0x10000, v8
	s_delay_alu instid0(VALU_DEP_2) | instskip(NEXT) | instid1(VALU_DEP_2)
	v_cmp_eq_u32_e32 vcc_lo, 0, v9
	v_cndmask_b32_e32 v11, v11, v8, vcc_lo
; %bb.499:                              ;   in Loop: Header=BB4_307 Depth=3
	s_or_b32 exec_lo, exec_lo, s15
	v_dual_lshrrev_b32 v8, 16, v46 :: v_dual_lshrrev_b32 v15, 16, v19
	v_dual_lshrrev_b32 v19, 16, v47 :: v_dual_lshrrev_b32 v14, 16, v14
	s_delay_alu instid0(VALU_DEP_2) | instskip(NEXT) | instid1(VALU_DEP_3)
	v_and_or_b32 v9, 0xffff0000, v13, v8
	v_and_or_b32 v8, 0xffff0000, v12, v15
	s_delay_alu instid0(VALU_DEP_3) | instskip(NEXT) | instid1(VALU_DEP_4)
	v_and_or_b32 v10, 0xffff0000, v10, v19
	v_and_or_b32 v11, 0xffff0000, v11, v14
	global_store_b128 v[44:45], v[8:11], off th:TH_STORE_NT
.LBB4_500:                              ;   in Loop: Header=BB4_307 Depth=3
	s_wait_xcnt 0x0
	s_or_b32 exec_lo, exec_lo, s14
	v_and_b32_e32 v9, 14, v17
	s_mov_b32 s92, exec_lo
                                        ; implicit-def: $vgpr17
                                        ; implicit-def: $vgpr14
                                        ; implicit-def: $vgpr15
                                        ; implicit-def: $vgpr8
	s_delay_alu instid0(VALU_DEP_1) | instskip(NEXT) | instid1(VALU_DEP_1)
	v_cndmask_b32_e64 v19, v62, v9, s13
	v_cmpx_ne_u32_e32 0, v19
	s_cbranch_execz .LBB4_615
; %bb.501:                              ;   in Loop: Header=BB4_307 Depth=3
	v_cmp_lt_i32_e32 vcc_lo, 0, v63
	s_mov_b32 s15, 0
	s_mov_b32 s93, exec_lo
	v_dual_sub_nc_u32 v9, v62, v9 :: v_dual_ashrrev_i32 v12, 31, v19
	s_delay_alu instid0(VALU_DEP_1) | instskip(NEXT) | instid1(VALU_DEP_1)
	v_dual_cndmask_b32 v8, 0, v52, vcc_lo :: v_dual_cndmask_b32 v9, 0, v9, s13
	v_dual_sub_nc_u32 v8, v8, v63 :: v_dual_add_nc_u32 v58, v9, v61
	s_delay_alu instid0(VALU_DEP_1) | instskip(NEXT) | instid1(VALU_DEP_1)
	v_lshl_add_u32 v8, v8, 5, v0
	v_ashrrev_i32_e32 v10, 31, v8
	s_delay_alu instid0(VALU_DEP_1) | instskip(NEXT) | instid1(VALU_DEP_1)
	v_lshrrev_b32_e32 v10, 27, v10
	v_add_nc_u32_e32 v10, v8, v10
	s_delay_alu instid0(VALU_DEP_1) | instskip(NEXT) | instid1(VALU_DEP_1)
	v_and_b32_e32 v11, 0xffffffe0, v10
	v_dual_sub_nc_u32 v59, v8, v11 :: v_dual_lshrrev_b32 v8, 23, v12
	s_delay_alu instid0(VALU_DEP_1) | instskip(NEXT) | instid1(VALU_DEP_2)
	v_dual_ashrrev_i32 v10, 5, v10 :: v_dual_lshlrev_b32 v11, 4, v59
	v_add_nc_u32_e32 v12, v19, v8
	s_delay_alu instid0(VALU_DEP_2) | instskip(NEXT) | instid1(VALU_DEP_2)
	v_lshl_add_u32 v11, v10, 9, v11
	v_and_b32_e32 v61, 0xfffffe00, v12
	s_delay_alu instid0(VALU_DEP_2) | instskip(NEXT) | instid1(VALU_DEP_1)
	v_dual_ashrrev_i32 v12, 9, v12 :: v_dual_add_nc_u32 v8, v11, v58
	v_dual_sub_nc_u32 v62, v19, v61 :: v_dual_ashrrev_i32 v9, 31, v8
	s_delay_alu instid0(VALU_DEP_1) | instskip(NEXT) | instid1(VALU_DEP_2)
	v_cmp_lt_i32_e64 s13, 15, v62
	v_add_nc_u64_e32 v[44:45], v[8:9], v[40:41]
	s_delay_alu instid0(VALU_DEP_2) | instskip(NEXT) | instid1(VALU_DEP_1)
	v_add_co_ci_u32_e64 v12, null, 0, v12, s13
	v_dual_sub_nc_u32 v17, v19, v11 :: v_dual_sub_nc_u32 v63, v12, v10
	s_delay_alu instid0(VALU_DEP_1)
	v_cmpx_lt_i32_e32 15, v17
	s_cbranch_execz .LBB4_578
; %bb.502:                              ;   in Loop: Header=BB4_307 Depth=3
	v_add_nc_u64_e32 v[46:47], v[8:9], v[22:23]
	s_wait_dscnt 0x0
	v_add_nc_u64_e32 v[42:43], v[8:9], v[42:43]
	s_mov_b32 vcc_hi, 0
	s_mov_b32 s94, 0
                                        ; implicit-def: $sgpr95
	s_branch .LBB4_504
.LBB4_503:                              ;   in Loop: Header=BB4_504 Depth=4
	s_or_b32 exec_lo, exec_lo, s14
	s_delay_alu instid0(VALU_DEP_2) | instskip(SKIP_3) | instid1(SALU_CYCLE_1)
	v_cmp_gt_i32_e32 vcc_lo, 16, v17
	s_or_b32 s94, vcc_lo, s94
	s_and_not1_b32 s14, s95, exec_lo
	s_and_b32 s15, vcc_hi, exec_lo
	s_or_b32 s95, s14, s15
	s_and_not1_b32 exec_lo, exec_lo, s94
	s_cbranch_execz .LBB4_577
.LBB4_504:                              ;   Parent Loop BB4_47 Depth=1
                                        ;     Parent Loop BB4_304 Depth=2
                                        ;       Parent Loop BB4_307 Depth=3
                                        ; =>      This Loop Header: Depth=4
                                        ;           Child Loop BB4_505 Depth 5
                                        ;           Child Loop BB4_542 Depth 5
	s_add_co_i32 s14, s33, 0x90
	s_mov_b64 s[40:41], 0
	s_mov_b32 s30, s14
	s_mov_b32 s31, -1
.LBB4_505:                              ;   Parent Loop BB4_47 Depth=1
                                        ;     Parent Loop BB4_304 Depth=2
                                        ;       Parent Loop BB4_307 Depth=3
                                        ;         Parent Loop BB4_504 Depth=4
                                        ; =>        This Inner Loop Header: Depth=5
	s_cmp_eq_u32 s40, 1
	s_cselect_b32 vcc_lo, -1, 0
	s_cmp_eq_u32 s40, 0
	v_dual_cndmask_b32 v13, v47, v43 :: v_dual_cndmask_b32 v12, v46, v42
	s_cselect_b32 s14, -1, 0
	s_and_b32 s15, exec_lo, s31
	s_mov_b64 s[40:41], 1
	s_mov_b32 s31, 0
	global_load_b128 v[8:11], v[12:13], off th:TH_LOAD_NT
	s_wait_xcnt 0x0
	v_add_nc_u64_e32 v[12:13], 0x200, v[12:13]
	s_delay_alu instid0(VALU_DEP_1)
	v_dual_cndmask_b32 v47, v47, v13, s14 :: v_dual_cndmask_b32 v46, v46, v12, s14
	v_dual_cndmask_b32 v43, v43, v13 :: v_dual_cndmask_b32 v42, v42, v12
	s_mov_b32 vcc_lo, s15
	s_wait_loadcnt 0x0
	scratch_store_b128 off, v[8:11], s30
	s_wait_xcnt 0x0
	s_mov_b32 s30, s58
	s_cbranch_vccnz .LBB4_505
; %bb.506:                              ;   in Loop: Header=BB4_504 Depth=4
	s_and_saveexec_b32 s14, vcc_hi
	s_cbranch_execz .LBB4_540
; %bb.507:                              ;   in Loop: Header=BB4_504 Depth=4
	s_clause 0x1
	scratch_load_b128 v[8:11], off, s33 offset:176
	scratch_load_b128 v[12:15], off, s33 offset:192
	s_mov_b32 s15, exec_lo
                                        ; implicit-def: $vgpr88
	s_wait_loadcnt 0x1
	v_lshlrev_b32_e32 v56, 16, v8
	s_wait_loadcnt 0x0
	v_lshlrev_b32_e32 v57, 16, v12
	s_delay_alu instid0(VALU_DEP_1) | instskip(NEXT) | instid1(VALU_DEP_1)
	v_mul_f32_e32 v56, v56, v57
	v_and_b32_e32 v57, 0x7f800000, v56
	s_wait_xcnt 0x0
	s_delay_alu instid0(VALU_DEP_1)
	v_cmpx_ne_u32_e32 0x7f800000, v57
	s_xor_b32 s15, exec_lo, s15
; %bb.508:                              ;   in Loop: Header=BB4_504 Depth=4
	v_bfe_u32 v57, v56, 16, 1
	s_delay_alu instid0(VALU_DEP_1)
	v_add3_u32 v88, v56, v57, 0x7fff
                                        ; implicit-def: $vgpr56
; %bb.509:                              ;   in Loop: Header=BB4_504 Depth=4
	s_and_not1_saveexec_b32 s15, s15
; %bb.510:                              ;   in Loop: Header=BB4_504 Depth=4
	v_and_b32_e32 v57, 0xffff, v56
	v_or_b32_e32 v88, 0x10000, v56
	s_delay_alu instid0(VALU_DEP_2) | instskip(NEXT) | instid1(VALU_DEP_2)
	v_cmp_eq_u32_e32 vcc_lo, 0, v57
	v_cndmask_b32_e32 v88, v88, v56, vcc_lo
; %bb.511:                              ;   in Loop: Header=BB4_504 Depth=4
	s_or_b32 exec_lo, exec_lo, s15
	v_and_b32_e32 v57, 0xffff0000, v12
	v_and_b32_e32 v56, 0xffff0000, v8
	s_mov_b32 s15, exec_lo
                                        ; implicit-def: $vgpr12
	s_delay_alu instid0(VALU_DEP_2) | instskip(NEXT) | instid1(VALU_DEP_1)
	v_mov_b32_e32 v8, v57
	v_pk_mul_f32 v[56:57], v[8:9], v[56:57]
	s_delay_alu instid0(VALU_DEP_1) | instskip(NEXT) | instid1(VALU_DEP_1)
	v_and_b32_e32 v8, 0x7f800000, v56
	v_cmpx_ne_u32_e32 0x7f800000, v8
	s_xor_b32 s15, exec_lo, s15
; %bb.512:                              ;   in Loop: Header=BB4_504 Depth=4
	v_bfe_u32 v8, v56, 16, 1
	s_delay_alu instid0(VALU_DEP_1)
	v_add3_u32 v12, v56, v8, 0x7fff
                                        ; implicit-def: $vgpr56_vgpr57
; %bb.513:                              ;   in Loop: Header=BB4_504 Depth=4
	s_and_not1_saveexec_b32 s15, s15
; %bb.514:                              ;   in Loop: Header=BB4_504 Depth=4
	v_and_b32_e32 v8, 0xffff, v56
	v_or_b32_e32 v12, 0x10000, v56
	s_delay_alu instid0(VALU_DEP_2) | instskip(NEXT) | instid1(VALU_DEP_2)
	v_cmp_eq_u32_e32 vcc_lo, 0, v8
	v_cndmask_b32_e32 v12, v12, v56, vcc_lo
; %bb.515:                              ;   in Loop: Header=BB4_504 Depth=4
	s_or_b32 exec_lo, exec_lo, s15
	v_lshlrev_b32_e32 v8, 16, v9
	v_lshlrev_b32_e32 v56, 16, v13
	s_delay_alu instid0(VALU_DEP_1) | instskip(NEXT) | instid1(VALU_DEP_1)
	v_mul_f32_e32 v8, v56, v8
	v_and_b32_e32 v56, 0x7f800000, v8
	s_delay_alu instid0(VALU_DEP_1) | instskip(SKIP_1) | instid1(SALU_CYCLE_1)
	v_cmp_ne_u32_e32 vcc_lo, 0x7f800000, v56
                                        ; implicit-def: $vgpr56
	s_and_saveexec_b32 s15, vcc_lo
	s_xor_b32 s15, exec_lo, s15
; %bb.516:                              ;   in Loop: Header=BB4_504 Depth=4
	v_bfe_u32 v56, v8, 16, 1
	s_delay_alu instid0(VALU_DEP_1)
	v_add3_u32 v56, v8, v56, 0x7fff
                                        ; implicit-def: $vgpr8
; %bb.517:                              ;   in Loop: Header=BB4_504 Depth=4
	s_and_not1_saveexec_b32 s15, s15
; %bb.518:                              ;   in Loop: Header=BB4_504 Depth=4
	v_and_b32_e32 v56, 0xffff, v8
	v_or_b32_e32 v57, 0x10000, v8
	s_delay_alu instid0(VALU_DEP_2) | instskip(NEXT) | instid1(VALU_DEP_2)
	v_cmp_eq_u32_e32 vcc_lo, 0, v56
	v_cndmask_b32_e32 v56, v57, v8, vcc_lo
; %bb.519:                              ;   in Loop: Header=BB4_504 Depth=4
	s_or_b32 exec_lo, exec_lo, s15
	v_and_b32_e32 v91, 0xffff0000, v13
	v_and_b32_e32 v90, 0xffff0000, v9
	s_mov_b32 s15, exec_lo
                                        ; implicit-def: $vgpr13
	s_delay_alu instid0(VALU_DEP_2) | instskip(NEXT) | instid1(VALU_DEP_1)
	v_mov_b32_e32 v8, v91
	v_pk_mul_f32 v[8:9], v[8:9], v[90:91]
	s_delay_alu instid0(VALU_DEP_1) | instskip(NEXT) | instid1(VALU_DEP_1)
	v_and_b32_e32 v9, 0x7f800000, v8
	v_cmpx_ne_u32_e32 0x7f800000, v9
	s_xor_b32 s15, exec_lo, s15
; %bb.520:                              ;   in Loop: Header=BB4_504 Depth=4
	v_bfe_u32 v9, v8, 16, 1
	s_delay_alu instid0(VALU_DEP_1)
	v_add3_u32 v13, v8, v9, 0x7fff
                                        ; implicit-def: $vgpr8_vgpr9
; %bb.521:                              ;   in Loop: Header=BB4_504 Depth=4
	s_and_not1_saveexec_b32 s15, s15
; %bb.522:                              ;   in Loop: Header=BB4_504 Depth=4
	v_and_b32_e32 v9, 0xffff, v8
	v_or_b32_e32 v13, 0x10000, v8
	s_delay_alu instid0(VALU_DEP_2) | instskip(NEXT) | instid1(VALU_DEP_2)
	v_cmp_eq_u32_e32 vcc_lo, 0, v9
	v_cndmask_b32_e32 v13, v13, v8, vcc_lo
; %bb.523:                              ;   in Loop: Header=BB4_504 Depth=4
	s_or_b32 exec_lo, exec_lo, s15
	v_lshlrev_b32_e32 v8, 16, v10
	v_lshlrev_b32_e32 v9, 16, v14
	s_mov_b32 s15, exec_lo
                                        ; implicit-def: $vgpr57
	s_delay_alu instid0(VALU_DEP_1) | instskip(NEXT) | instid1(VALU_DEP_1)
	v_mul_f32_e32 v8, v9, v8
	v_and_b32_e32 v9, 0x7f800000, v8
	s_delay_alu instid0(VALU_DEP_1)
	v_cmpx_ne_u32_e32 0x7f800000, v9
	s_xor_b32 s15, exec_lo, s15
; %bb.524:                              ;   in Loop: Header=BB4_504 Depth=4
	v_bfe_u32 v9, v8, 16, 1
	s_delay_alu instid0(VALU_DEP_1)
	v_add3_u32 v57, v8, v9, 0x7fff
                                        ; implicit-def: $vgpr8
; %bb.525:                              ;   in Loop: Header=BB4_504 Depth=4
	s_and_not1_saveexec_b32 s15, s15
; %bb.526:                              ;   in Loop: Header=BB4_504 Depth=4
	v_and_b32_e32 v9, 0xffff, v8
	v_or_b32_e32 v57, 0x10000, v8
	s_delay_alu instid0(VALU_DEP_2) | instskip(NEXT) | instid1(VALU_DEP_2)
	v_cmp_eq_u32_e32 vcc_lo, 0, v9
	v_cndmask_b32_e32 v57, v57, v8, vcc_lo
; %bb.527:                              ;   in Loop: Header=BB4_504 Depth=4
	s_or_b32 exec_lo, exec_lo, s15
	v_and_b32_e32 v9, 0xffff0000, v14
	v_and_b32_e32 v8, 0xffff0000, v10
	s_mov_b32 s15, exec_lo
	s_delay_alu instid0(VALU_DEP_2) | instskip(NEXT) | instid1(VALU_DEP_1)
	v_mov_b32_e32 v10, v9
	v_pk_mul_f32 v[8:9], v[10:11], v[8:9]
                                        ; implicit-def: $vgpr10
	s_delay_alu instid0(VALU_DEP_1) | instskip(NEXT) | instid1(VALU_DEP_1)
	v_and_b32_e32 v9, 0x7f800000, v8
	v_cmpx_ne_u32_e32 0x7f800000, v9
	s_xor_b32 s15, exec_lo, s15
; %bb.528:                              ;   in Loop: Header=BB4_504 Depth=4
	v_bfe_u32 v9, v8, 16, 1
	s_delay_alu instid0(VALU_DEP_1)
	v_add3_u32 v10, v8, v9, 0x7fff
                                        ; implicit-def: $vgpr8_vgpr9
; %bb.529:                              ;   in Loop: Header=BB4_504 Depth=4
	s_and_not1_saveexec_b32 s15, s15
; %bb.530:                              ;   in Loop: Header=BB4_504 Depth=4
	v_and_b32_e32 v9, 0xffff, v8
	v_or_b32_e32 v10, 0x10000, v8
	s_delay_alu instid0(VALU_DEP_2) | instskip(NEXT) | instid1(VALU_DEP_2)
	v_cmp_eq_u32_e32 vcc_lo, 0, v9
	v_cndmask_b32_e32 v10, v10, v8, vcc_lo
; %bb.531:                              ;   in Loop: Header=BB4_504 Depth=4
	s_or_b32 exec_lo, exec_lo, s15
	v_lshlrev_b32_e32 v8, 16, v11
	v_lshlrev_b32_e32 v9, 16, v15
	s_mov_b32 s15, exec_lo
                                        ; implicit-def: $vgpr14
	s_delay_alu instid0(VALU_DEP_1) | instskip(NEXT) | instid1(VALU_DEP_1)
	v_mul_f32_e32 v8, v9, v8
	v_and_b32_e32 v9, 0x7f800000, v8
	s_delay_alu instid0(VALU_DEP_1)
	v_cmpx_ne_u32_e32 0x7f800000, v9
	s_xor_b32 s15, exec_lo, s15
; %bb.532:                              ;   in Loop: Header=BB4_504 Depth=4
	v_bfe_u32 v9, v8, 16, 1
	s_delay_alu instid0(VALU_DEP_1)
	v_add3_u32 v14, v8, v9, 0x7fff
                                        ; implicit-def: $vgpr8
; %bb.533:                              ;   in Loop: Header=BB4_504 Depth=4
	s_and_not1_saveexec_b32 s15, s15
; %bb.534:                              ;   in Loop: Header=BB4_504 Depth=4
	v_and_b32_e32 v9, 0xffff, v8
	v_or_b32_e32 v14, 0x10000, v8
	s_delay_alu instid0(VALU_DEP_2) | instskip(NEXT) | instid1(VALU_DEP_2)
	v_cmp_eq_u32_e32 vcc_lo, 0, v9
	v_cndmask_b32_e32 v14, v14, v8, vcc_lo
; %bb.535:                              ;   in Loop: Header=BB4_504 Depth=4
	s_or_b32 exec_lo, exec_lo, s15
	v_and_b32_e32 v9, 0xffff0000, v15
	v_and_b32_e32 v8, 0xffff0000, v11
	s_mov_b32 s15, exec_lo
                                        ; implicit-def: $vgpr11
	s_delay_alu instid0(VALU_DEP_2) | instskip(NEXT) | instid1(VALU_DEP_1)
	v_mov_b32_e32 v90, v9
	v_pk_mul_f32 v[8:9], v[90:91], v[8:9]
	s_delay_alu instid0(VALU_DEP_1) | instskip(NEXT) | instid1(VALU_DEP_1)
	v_and_b32_e32 v9, 0x7f800000, v8
	v_cmpx_ne_u32_e32 0x7f800000, v9
	s_xor_b32 s15, exec_lo, s15
; %bb.536:                              ;   in Loop: Header=BB4_504 Depth=4
	v_bfe_u32 v9, v8, 16, 1
	s_delay_alu instid0(VALU_DEP_1)
	v_add3_u32 v11, v8, v9, 0x7fff
                                        ; implicit-def: $vgpr8_vgpr9
; %bb.537:                              ;   in Loop: Header=BB4_504 Depth=4
	s_and_not1_saveexec_b32 s15, s15
; %bb.538:                              ;   in Loop: Header=BB4_504 Depth=4
	v_and_b32_e32 v9, 0xffff, v8
	v_or_b32_e32 v11, 0x10000, v8
	s_delay_alu instid0(VALU_DEP_2) | instskip(NEXT) | instid1(VALU_DEP_2)
	v_cmp_eq_u32_e32 vcc_lo, 0, v9
	v_cndmask_b32_e32 v11, v11, v8, vcc_lo
; %bb.539:                              ;   in Loop: Header=BB4_504 Depth=4
	s_or_b32 exec_lo, exec_lo, s15
	v_dual_lshrrev_b32 v8, 16, v56 :: v_dual_lshrrev_b32 v56, 16, v57
	v_dual_lshrrev_b32 v15, 16, v88 :: v_dual_lshrrev_b32 v14, 16, v14
	s_delay_alu instid0(VALU_DEP_2) | instskip(NEXT) | instid1(VALU_DEP_3)
	v_and_or_b32 v9, 0xffff0000, v13, v8
	v_and_or_b32 v10, 0xffff0000, v10, v56
	s_delay_alu instid0(VALU_DEP_3) | instskip(NEXT) | instid1(VALU_DEP_4)
	v_and_or_b32 v8, 0xffff0000, v12, v15
	v_and_or_b32 v11, 0xffff0000, v11, v14
	global_store_b128 v[44:45], v[8:11], off th:TH_STORE_NT
	s_wait_xcnt 0x0
	v_add_nc_u64_e32 v[44:45], v[98:99], v[44:45]
	scratch_store_b128 off, v[8:11], s33 offset:176
.LBB4_540:                              ;   in Loop: Header=BB4_504 Depth=4
	s_wait_xcnt 0x0
	s_or_b32 exec_lo, exec_lo, s14
	v_sub_nc_u32_e32 v17, v17, v76
	v_add_nc_u64_e32 v[46:47], v[46:47], v[82:83]
	v_add_nc_u64_e32 v[42:43], v[42:43], v[82:83]
	s_delay_alu instid0(VALU_DEP_3)
	v_cmp_lt_i32_e64 vcc_hi, 15, v17
	s_and_saveexec_b32 s30, vcc_hi
	s_cbranch_execz .LBB4_543
; %bb.541:                              ;   in Loop: Header=BB4_504 Depth=4
	s_add_co_i32 s14, s33, 0xb0
	s_mov_b64 s[40:41], 0
	s_mov_b32 s31, s14
	s_mov_b32 s34, -1
.LBB4_542:                              ;   Parent Loop BB4_47 Depth=1
                                        ;     Parent Loop BB4_304 Depth=2
                                        ;       Parent Loop BB4_307 Depth=3
                                        ;         Parent Loop BB4_504 Depth=4
                                        ; =>        This Inner Loop Header: Depth=5
	s_cmp_eq_u32 s40, 1
	s_cselect_b32 vcc_lo, -1, 0
	s_cmp_eq_u32 s40, 0
	v_dual_cndmask_b32 v13, v47, v43 :: v_dual_cndmask_b32 v12, v46, v42
	s_cselect_b32 s14, -1, 0
	s_and_b32 s15, exec_lo, s34
	s_mov_b64 s[40:41], 1
	s_mov_b32 s34, 0
	global_load_b128 v[8:11], v[12:13], off th:TH_LOAD_NT
	s_wait_xcnt 0x0
	v_add_nc_u64_e32 v[12:13], 0x200, v[12:13]
	s_delay_alu instid0(VALU_DEP_1)
	v_dual_cndmask_b32 v47, v47, v13, s14 :: v_dual_cndmask_b32 v46, v46, v12, s14
	v_dual_cndmask_b32 v43, v43, v13 :: v_dual_cndmask_b32 v42, v42, v12
	s_mov_b32 vcc_lo, s15
	s_wait_loadcnt 0x0
	scratch_store_b128 off, v[8:11], s31
	s_wait_xcnt 0x0
	s_mov_b32 s31, s57
	s_cbranch_vccnz .LBB4_542
.LBB4_543:                              ;   in Loop: Header=BB4_504 Depth=4
	s_or_b32 exec_lo, exec_lo, s30
	s_clause 0x1
	scratch_load_b128 v[8:11], off, s33 offset:144
	scratch_load_b128 v[12:15], off, s33 offset:160
	s_mov_b32 s14, exec_lo
                                        ; implicit-def: $vgpr88
	s_wait_loadcnt 0x1
	v_lshlrev_b32_e32 v56, 16, v8
	s_wait_loadcnt 0x0
	v_lshlrev_b32_e32 v57, 16, v12
	s_delay_alu instid0(VALU_DEP_1) | instskip(NEXT) | instid1(VALU_DEP_1)
	v_mul_f32_e32 v56, v56, v57
	v_and_b32_e32 v57, 0x7f800000, v56
	s_wait_xcnt 0x0
	s_delay_alu instid0(VALU_DEP_1)
	v_cmpx_ne_u32_e32 0x7f800000, v57
	s_xor_b32 s14, exec_lo, s14
; %bb.544:                              ;   in Loop: Header=BB4_504 Depth=4
	v_bfe_u32 v57, v56, 16, 1
	s_delay_alu instid0(VALU_DEP_1)
	v_add3_u32 v88, v56, v57, 0x7fff
                                        ; implicit-def: $vgpr56
; %bb.545:                              ;   in Loop: Header=BB4_504 Depth=4
	s_and_not1_saveexec_b32 s14, s14
; %bb.546:                              ;   in Loop: Header=BB4_504 Depth=4
	v_and_b32_e32 v57, 0xffff, v56
	v_or_b32_e32 v88, 0x10000, v56
	s_delay_alu instid0(VALU_DEP_2) | instskip(NEXT) | instid1(VALU_DEP_2)
	v_cmp_eq_u32_e32 vcc_lo, 0, v57
	v_cndmask_b32_e32 v88, v88, v56, vcc_lo
; %bb.547:                              ;   in Loop: Header=BB4_504 Depth=4
	s_or_b32 exec_lo, exec_lo, s14
	v_and_b32_e32 v57, 0xffff0000, v12
	v_and_b32_e32 v56, 0xffff0000, v8
	s_mov_b32 s14, exec_lo
                                        ; implicit-def: $vgpr12
	s_delay_alu instid0(VALU_DEP_2) | instskip(NEXT) | instid1(VALU_DEP_1)
	v_mov_b32_e32 v8, v57
	v_pk_mul_f32 v[56:57], v[8:9], v[56:57]
	s_delay_alu instid0(VALU_DEP_1) | instskip(NEXT) | instid1(VALU_DEP_1)
	v_and_b32_e32 v8, 0x7f800000, v56
	v_cmpx_ne_u32_e32 0x7f800000, v8
	s_xor_b32 s14, exec_lo, s14
; %bb.548:                              ;   in Loop: Header=BB4_504 Depth=4
	v_bfe_u32 v8, v56, 16, 1
	s_delay_alu instid0(VALU_DEP_1)
	v_add3_u32 v12, v56, v8, 0x7fff
                                        ; implicit-def: $vgpr56_vgpr57
; %bb.549:                              ;   in Loop: Header=BB4_504 Depth=4
	s_and_not1_saveexec_b32 s14, s14
; %bb.550:                              ;   in Loop: Header=BB4_504 Depth=4
	v_and_b32_e32 v8, 0xffff, v56
	v_or_b32_e32 v12, 0x10000, v56
	s_delay_alu instid0(VALU_DEP_2) | instskip(NEXT) | instid1(VALU_DEP_2)
	v_cmp_eq_u32_e32 vcc_lo, 0, v8
	v_cndmask_b32_e32 v12, v12, v56, vcc_lo
; %bb.551:                              ;   in Loop: Header=BB4_504 Depth=4
	s_or_b32 exec_lo, exec_lo, s14
	v_lshlrev_b32_e32 v8, 16, v9
	v_lshlrev_b32_e32 v56, 16, v13
	s_delay_alu instid0(VALU_DEP_1) | instskip(NEXT) | instid1(VALU_DEP_1)
	v_mul_f32_e32 v8, v56, v8
	v_and_b32_e32 v56, 0x7f800000, v8
	s_delay_alu instid0(VALU_DEP_1) | instskip(SKIP_1) | instid1(SALU_CYCLE_1)
	v_cmp_ne_u32_e32 vcc_lo, 0x7f800000, v56
                                        ; implicit-def: $vgpr56
	s_and_saveexec_b32 s14, vcc_lo
	s_xor_b32 s14, exec_lo, s14
; %bb.552:                              ;   in Loop: Header=BB4_504 Depth=4
	v_bfe_u32 v56, v8, 16, 1
	s_delay_alu instid0(VALU_DEP_1)
	v_add3_u32 v56, v8, v56, 0x7fff
                                        ; implicit-def: $vgpr8
; %bb.553:                              ;   in Loop: Header=BB4_504 Depth=4
	s_and_not1_saveexec_b32 s14, s14
; %bb.554:                              ;   in Loop: Header=BB4_504 Depth=4
	v_and_b32_e32 v56, 0xffff, v8
	v_or_b32_e32 v57, 0x10000, v8
	s_delay_alu instid0(VALU_DEP_2) | instskip(NEXT) | instid1(VALU_DEP_2)
	v_cmp_eq_u32_e32 vcc_lo, 0, v56
	v_cndmask_b32_e32 v56, v57, v8, vcc_lo
; %bb.555:                              ;   in Loop: Header=BB4_504 Depth=4
	s_or_b32 exec_lo, exec_lo, s14
	v_and_b32_e32 v91, 0xffff0000, v13
	v_and_b32_e32 v90, 0xffff0000, v9
	s_mov_b32 s14, exec_lo
                                        ; implicit-def: $vgpr13
	s_delay_alu instid0(VALU_DEP_2) | instskip(NEXT) | instid1(VALU_DEP_1)
	v_mov_b32_e32 v8, v91
	v_pk_mul_f32 v[8:9], v[8:9], v[90:91]
	s_delay_alu instid0(VALU_DEP_1) | instskip(NEXT) | instid1(VALU_DEP_1)
	v_and_b32_e32 v9, 0x7f800000, v8
	v_cmpx_ne_u32_e32 0x7f800000, v9
	s_xor_b32 s14, exec_lo, s14
; %bb.556:                              ;   in Loop: Header=BB4_504 Depth=4
	v_bfe_u32 v9, v8, 16, 1
	s_delay_alu instid0(VALU_DEP_1)
	v_add3_u32 v13, v8, v9, 0x7fff
                                        ; implicit-def: $vgpr8_vgpr9
; %bb.557:                              ;   in Loop: Header=BB4_504 Depth=4
	s_and_not1_saveexec_b32 s14, s14
; %bb.558:                              ;   in Loop: Header=BB4_504 Depth=4
	v_and_b32_e32 v9, 0xffff, v8
	v_or_b32_e32 v13, 0x10000, v8
	s_delay_alu instid0(VALU_DEP_2) | instskip(NEXT) | instid1(VALU_DEP_2)
	v_cmp_eq_u32_e32 vcc_lo, 0, v9
	v_cndmask_b32_e32 v13, v13, v8, vcc_lo
; %bb.559:                              ;   in Loop: Header=BB4_504 Depth=4
	s_or_b32 exec_lo, exec_lo, s14
	v_lshlrev_b32_e32 v8, 16, v10
	v_lshlrev_b32_e32 v9, 16, v14
	s_mov_b32 s14, exec_lo
                                        ; implicit-def: $vgpr57
	s_delay_alu instid0(VALU_DEP_1) | instskip(NEXT) | instid1(VALU_DEP_1)
	v_mul_f32_e32 v8, v9, v8
	v_and_b32_e32 v9, 0x7f800000, v8
	s_delay_alu instid0(VALU_DEP_1)
	v_cmpx_ne_u32_e32 0x7f800000, v9
	s_xor_b32 s14, exec_lo, s14
; %bb.560:                              ;   in Loop: Header=BB4_504 Depth=4
	v_bfe_u32 v9, v8, 16, 1
	s_delay_alu instid0(VALU_DEP_1)
	v_add3_u32 v57, v8, v9, 0x7fff
                                        ; implicit-def: $vgpr8
; %bb.561:                              ;   in Loop: Header=BB4_504 Depth=4
	s_and_not1_saveexec_b32 s14, s14
; %bb.562:                              ;   in Loop: Header=BB4_504 Depth=4
	v_and_b32_e32 v9, 0xffff, v8
	v_or_b32_e32 v57, 0x10000, v8
	s_delay_alu instid0(VALU_DEP_2) | instskip(NEXT) | instid1(VALU_DEP_2)
	v_cmp_eq_u32_e32 vcc_lo, 0, v9
	v_cndmask_b32_e32 v57, v57, v8, vcc_lo
; %bb.563:                              ;   in Loop: Header=BB4_504 Depth=4
	s_or_b32 exec_lo, exec_lo, s14
	v_and_b32_e32 v9, 0xffff0000, v14
	v_and_b32_e32 v8, 0xffff0000, v10
	s_mov_b32 s14, exec_lo
	s_delay_alu instid0(VALU_DEP_2) | instskip(NEXT) | instid1(VALU_DEP_1)
	v_mov_b32_e32 v10, v9
	v_pk_mul_f32 v[8:9], v[10:11], v[8:9]
                                        ; implicit-def: $vgpr10
	s_delay_alu instid0(VALU_DEP_1) | instskip(NEXT) | instid1(VALU_DEP_1)
	v_and_b32_e32 v9, 0x7f800000, v8
	v_cmpx_ne_u32_e32 0x7f800000, v9
	s_xor_b32 s14, exec_lo, s14
; %bb.564:                              ;   in Loop: Header=BB4_504 Depth=4
	v_bfe_u32 v9, v8, 16, 1
	s_delay_alu instid0(VALU_DEP_1)
	v_add3_u32 v10, v8, v9, 0x7fff
                                        ; implicit-def: $vgpr8_vgpr9
; %bb.565:                              ;   in Loop: Header=BB4_504 Depth=4
	s_and_not1_saveexec_b32 s14, s14
; %bb.566:                              ;   in Loop: Header=BB4_504 Depth=4
	v_and_b32_e32 v9, 0xffff, v8
	v_or_b32_e32 v10, 0x10000, v8
	s_delay_alu instid0(VALU_DEP_2) | instskip(NEXT) | instid1(VALU_DEP_2)
	v_cmp_eq_u32_e32 vcc_lo, 0, v9
	v_cndmask_b32_e32 v10, v10, v8, vcc_lo
; %bb.567:                              ;   in Loop: Header=BB4_504 Depth=4
	s_or_b32 exec_lo, exec_lo, s14
	v_lshlrev_b32_e32 v8, 16, v11
	v_lshlrev_b32_e32 v9, 16, v15
	s_mov_b32 s14, exec_lo
                                        ; implicit-def: $vgpr14
	s_delay_alu instid0(VALU_DEP_1) | instskip(NEXT) | instid1(VALU_DEP_1)
	v_mul_f32_e32 v8, v9, v8
	v_and_b32_e32 v9, 0x7f800000, v8
	s_delay_alu instid0(VALU_DEP_1)
	v_cmpx_ne_u32_e32 0x7f800000, v9
	s_xor_b32 s14, exec_lo, s14
; %bb.568:                              ;   in Loop: Header=BB4_504 Depth=4
	v_bfe_u32 v9, v8, 16, 1
	s_delay_alu instid0(VALU_DEP_1)
	v_add3_u32 v14, v8, v9, 0x7fff
                                        ; implicit-def: $vgpr8
; %bb.569:                              ;   in Loop: Header=BB4_504 Depth=4
	s_and_not1_saveexec_b32 s14, s14
; %bb.570:                              ;   in Loop: Header=BB4_504 Depth=4
	v_and_b32_e32 v9, 0xffff, v8
	v_or_b32_e32 v14, 0x10000, v8
	s_delay_alu instid0(VALU_DEP_2) | instskip(NEXT) | instid1(VALU_DEP_2)
	v_cmp_eq_u32_e32 vcc_lo, 0, v9
	v_cndmask_b32_e32 v14, v14, v8, vcc_lo
; %bb.571:                              ;   in Loop: Header=BB4_504 Depth=4
	s_or_b32 exec_lo, exec_lo, s14
	v_and_b32_e32 v9, 0xffff0000, v15
	v_and_b32_e32 v8, 0xffff0000, v11
	s_mov_b32 s14, exec_lo
                                        ; implicit-def: $vgpr11
	s_delay_alu instid0(VALU_DEP_2) | instskip(NEXT) | instid1(VALU_DEP_1)
	v_mov_b32_e32 v90, v9
	v_pk_mul_f32 v[8:9], v[90:91], v[8:9]
	s_delay_alu instid0(VALU_DEP_1) | instskip(NEXT) | instid1(VALU_DEP_1)
	v_and_b32_e32 v9, 0x7f800000, v8
	v_cmpx_ne_u32_e32 0x7f800000, v9
	s_xor_b32 s14, exec_lo, s14
; %bb.572:                              ;   in Loop: Header=BB4_504 Depth=4
	v_bfe_u32 v9, v8, 16, 1
	s_delay_alu instid0(VALU_DEP_1)
	v_add3_u32 v11, v8, v9, 0x7fff
                                        ; implicit-def: $vgpr8_vgpr9
; %bb.573:                              ;   in Loop: Header=BB4_504 Depth=4
	s_and_not1_saveexec_b32 s14, s14
; %bb.574:                              ;   in Loop: Header=BB4_504 Depth=4
	v_and_b32_e32 v9, 0xffff, v8
	v_or_b32_e32 v11, 0x10000, v8
	s_delay_alu instid0(VALU_DEP_2) | instskip(NEXT) | instid1(VALU_DEP_2)
	v_cmp_eq_u32_e32 vcc_lo, 0, v9
	v_cndmask_b32_e32 v11, v11, v8, vcc_lo
; %bb.575:                              ;   in Loop: Header=BB4_504 Depth=4
	s_or_b32 exec_lo, exec_lo, s14
	v_dual_lshrrev_b32 v8, 16, v56 :: v_dual_lshrrev_b32 v56, 16, v57
	v_dual_lshrrev_b32 v15, 16, v88 :: v_dual_lshrrev_b32 v14, 16, v14
	v_sub_nc_u32_e32 v63, v63, v52
	s_delay_alu instid0(VALU_DEP_3) | instskip(NEXT) | instid1(VALU_DEP_4)
	v_and_or_b32 v9, 0xffff0000, v13, v8
	v_and_or_b32 v10, 0xffff0000, v10, v56
	s_delay_alu instid0(VALU_DEP_4)
	v_and_or_b32 v8, 0xffff0000, v12, v15
	v_and_or_b32 v11, 0xffff0000, v11, v14
	global_store_b128 v[44:45], v[8:11], off th:TH_STORE_NT
	s_wait_xcnt 0x0
	v_add_nc_u64_e32 v[44:45], 0x200, v[44:45]
	scratch_store_b128 off, v[8:11], s33 offset:144
	s_wait_xcnt 0x0
	s_and_saveexec_b32 s14, vcc_hi
	s_cbranch_execz .LBB4_503
; %bb.576:                              ;   in Loop: Header=BB4_504 Depth=4
	v_add_nc_u64_e32 v[46:47], v[46:47], v[82:83]
	v_add_nc_u64_e32 v[42:43], v[42:43], v[82:83]
	;; [unrolled: 1-line block ×3, first 2 shown]
	v_sub_nc_u32_e32 v17, v17, v76
	v_sub_nc_u32_e32 v63, v63, v52
	s_branch .LBB4_503
.LBB4_577:                              ;   in Loop: Header=BB4_307 Depth=3
	s_or_b32 exec_lo, exec_lo, s94
	s_delay_alu instid0(SALU_CYCLE_1)
	s_and_b32 s15, s95, exec_lo
.LBB4_578:                              ;   in Loop: Header=BB4_307 Depth=3
	s_or_b32 exec_lo, exec_lo, s93
	s_and_saveexec_b32 s14, s15
	s_cbranch_execz .LBB4_612
; %bb.579:                              ;   in Loop: Header=BB4_307 Depth=3
	s_clause 0x1
	scratch_load_b128 v[8:11], off, s33 offset:176
	scratch_load_b128 v[12:15], off, s33 offset:192
	s_wait_loadcnt 0x1
	v_lshlrev_b32_e32 v17, 16, v8
	s_wait_loadcnt_dscnt 0x0
	v_lshlrev_b32_e32 v42, 16, v12
	s_delay_alu instid0(VALU_DEP_1) | instskip(NEXT) | instid1(VALU_DEP_1)
	v_mul_f32_e32 v42, v17, v42
	v_and_b32_e32 v17, 0x7f800000, v42
	s_delay_alu instid0(VALU_DEP_1) | instskip(SKIP_2) | instid1(SALU_CYCLE_1)
	v_cmp_ne_u32_e32 vcc_lo, 0x7f800000, v17
                                        ; implicit-def: $vgpr17
	s_wait_xcnt 0x0
	s_and_saveexec_b32 s15, vcc_lo
	s_xor_b32 s15, exec_lo, s15
; %bb.580:                              ;   in Loop: Header=BB4_307 Depth=3
	v_bfe_u32 v17, v42, 16, 1
	s_delay_alu instid0(VALU_DEP_1)
	v_add3_u32 v17, v42, v17, 0x7fff
                                        ; implicit-def: $vgpr42
; %bb.581:                              ;   in Loop: Header=BB4_307 Depth=3
	s_and_not1_saveexec_b32 s15, s15
; %bb.582:                              ;   in Loop: Header=BB4_307 Depth=3
	v_and_b32_e32 v17, 0xffff, v42
	v_or_b32_e32 v43, 0x10000, v42
	s_delay_alu instid0(VALU_DEP_2) | instskip(NEXT) | instid1(VALU_DEP_2)
	v_cmp_eq_u32_e32 vcc_lo, 0, v17
	v_cndmask_b32_e32 v17, v43, v42, vcc_lo
; %bb.583:                              ;   in Loop: Header=BB4_307 Depth=3
	s_or_b32 exec_lo, exec_lo, s15
	v_and_b32_e32 v43, 0xffff0000, v12
	v_and_b32_e32 v42, 0xffff0000, v8
	s_mov_b32 s15, exec_lo
                                        ; implicit-def: $vgpr12
	s_delay_alu instid0(VALU_DEP_2) | instskip(NEXT) | instid1(VALU_DEP_1)
	v_mov_b32_e32 v8, v43
	v_pk_mul_f32 v[42:43], v[8:9], v[42:43]
	s_delay_alu instid0(VALU_DEP_1) | instskip(NEXT) | instid1(VALU_DEP_1)
	v_and_b32_e32 v8, 0x7f800000, v42
	v_cmpx_ne_u32_e32 0x7f800000, v8
	s_xor_b32 s15, exec_lo, s15
; %bb.584:                              ;   in Loop: Header=BB4_307 Depth=3
	v_bfe_u32 v8, v42, 16, 1
	s_delay_alu instid0(VALU_DEP_1)
	v_add3_u32 v12, v42, v8, 0x7fff
                                        ; implicit-def: $vgpr42_vgpr43
; %bb.585:                              ;   in Loop: Header=BB4_307 Depth=3
	s_and_not1_saveexec_b32 s15, s15
; %bb.586:                              ;   in Loop: Header=BB4_307 Depth=3
	v_and_b32_e32 v8, 0xffff, v42
	v_or_b32_e32 v12, 0x10000, v42
	s_delay_alu instid0(VALU_DEP_2) | instskip(NEXT) | instid1(VALU_DEP_2)
	v_cmp_eq_u32_e32 vcc_lo, 0, v8
	v_cndmask_b32_e32 v12, v12, v42, vcc_lo
; %bb.587:                              ;   in Loop: Header=BB4_307 Depth=3
	s_or_b32 exec_lo, exec_lo, s15
	v_lshlrev_b32_e32 v8, 16, v9
	v_lshlrev_b32_e32 v42, 16, v13
	s_delay_alu instid0(VALU_DEP_1) | instskip(NEXT) | instid1(VALU_DEP_1)
	v_mul_f32_e32 v8, v42, v8
	v_and_b32_e32 v42, 0x7f800000, v8
	s_delay_alu instid0(VALU_DEP_1) | instskip(SKIP_1) | instid1(SALU_CYCLE_1)
	v_cmp_ne_u32_e32 vcc_lo, 0x7f800000, v42
                                        ; implicit-def: $vgpr42
	s_and_saveexec_b32 s15, vcc_lo
	s_xor_b32 s15, exec_lo, s15
; %bb.588:                              ;   in Loop: Header=BB4_307 Depth=3
	v_bfe_u32 v42, v8, 16, 1
	s_delay_alu instid0(VALU_DEP_1)
	v_add3_u32 v42, v8, v42, 0x7fff
                                        ; implicit-def: $vgpr8
; %bb.589:                              ;   in Loop: Header=BB4_307 Depth=3
	s_and_not1_saveexec_b32 s15, s15
; %bb.590:                              ;   in Loop: Header=BB4_307 Depth=3
	v_and_b32_e32 v42, 0xffff, v8
	v_or_b32_e32 v43, 0x10000, v8
	s_delay_alu instid0(VALU_DEP_2) | instskip(NEXT) | instid1(VALU_DEP_2)
	v_cmp_eq_u32_e32 vcc_lo, 0, v42
	v_cndmask_b32_e32 v42, v43, v8, vcc_lo
; %bb.591:                              ;   in Loop: Header=BB4_307 Depth=3
	s_or_b32 exec_lo, exec_lo, s15
	v_and_b32_e32 v47, 0xffff0000, v13
	v_and_b32_e32 v46, 0xffff0000, v9
	s_mov_b32 s15, exec_lo
                                        ; implicit-def: $vgpr13
	s_delay_alu instid0(VALU_DEP_2) | instskip(NEXT) | instid1(VALU_DEP_1)
	v_mov_b32_e32 v8, v47
	v_pk_mul_f32 v[8:9], v[8:9], v[46:47]
	s_delay_alu instid0(VALU_DEP_1) | instskip(NEXT) | instid1(VALU_DEP_1)
	v_and_b32_e32 v9, 0x7f800000, v8
	v_cmpx_ne_u32_e32 0x7f800000, v9
	s_xor_b32 s15, exec_lo, s15
; %bb.592:                              ;   in Loop: Header=BB4_307 Depth=3
	v_bfe_u32 v9, v8, 16, 1
	s_delay_alu instid0(VALU_DEP_1)
	v_add3_u32 v13, v8, v9, 0x7fff
                                        ; implicit-def: $vgpr8_vgpr9
; %bb.593:                              ;   in Loop: Header=BB4_307 Depth=3
	s_and_not1_saveexec_b32 s15, s15
; %bb.594:                              ;   in Loop: Header=BB4_307 Depth=3
	v_and_b32_e32 v9, 0xffff, v8
	v_or_b32_e32 v13, 0x10000, v8
	s_delay_alu instid0(VALU_DEP_2) | instskip(NEXT) | instid1(VALU_DEP_2)
	v_cmp_eq_u32_e32 vcc_lo, 0, v9
	v_cndmask_b32_e32 v13, v13, v8, vcc_lo
; %bb.595:                              ;   in Loop: Header=BB4_307 Depth=3
	s_or_b32 exec_lo, exec_lo, s15
	v_lshlrev_b32_e32 v8, 16, v10
	v_lshlrev_b32_e32 v9, 16, v14
	s_mov_b32 s15, exec_lo
                                        ; implicit-def: $vgpr43
	s_delay_alu instid0(VALU_DEP_1) | instskip(NEXT) | instid1(VALU_DEP_1)
	v_mul_f32_e32 v8, v9, v8
	v_and_b32_e32 v9, 0x7f800000, v8
	s_delay_alu instid0(VALU_DEP_1)
	v_cmpx_ne_u32_e32 0x7f800000, v9
	s_xor_b32 s15, exec_lo, s15
; %bb.596:                              ;   in Loop: Header=BB4_307 Depth=3
	v_bfe_u32 v9, v8, 16, 1
	s_delay_alu instid0(VALU_DEP_1)
	v_add3_u32 v43, v8, v9, 0x7fff
                                        ; implicit-def: $vgpr8
; %bb.597:                              ;   in Loop: Header=BB4_307 Depth=3
	s_and_not1_saveexec_b32 s15, s15
; %bb.598:                              ;   in Loop: Header=BB4_307 Depth=3
	v_and_b32_e32 v9, 0xffff, v8
	v_or_b32_e32 v43, 0x10000, v8
	s_delay_alu instid0(VALU_DEP_2) | instskip(NEXT) | instid1(VALU_DEP_2)
	v_cmp_eq_u32_e32 vcc_lo, 0, v9
	v_cndmask_b32_e32 v43, v43, v8, vcc_lo
; %bb.599:                              ;   in Loop: Header=BB4_307 Depth=3
	s_or_b32 exec_lo, exec_lo, s15
	v_and_b32_e32 v9, 0xffff0000, v14
	v_and_b32_e32 v8, 0xffff0000, v10
	s_mov_b32 s15, exec_lo
	s_delay_alu instid0(VALU_DEP_2) | instskip(NEXT) | instid1(VALU_DEP_1)
	v_mov_b32_e32 v10, v9
	v_pk_mul_f32 v[8:9], v[10:11], v[8:9]
                                        ; implicit-def: $vgpr10
	s_delay_alu instid0(VALU_DEP_1) | instskip(NEXT) | instid1(VALU_DEP_1)
	v_and_b32_e32 v9, 0x7f800000, v8
	v_cmpx_ne_u32_e32 0x7f800000, v9
	s_xor_b32 s15, exec_lo, s15
; %bb.600:                              ;   in Loop: Header=BB4_307 Depth=3
	v_bfe_u32 v9, v8, 16, 1
	s_delay_alu instid0(VALU_DEP_1)
	v_add3_u32 v10, v8, v9, 0x7fff
                                        ; implicit-def: $vgpr8_vgpr9
; %bb.601:                              ;   in Loop: Header=BB4_307 Depth=3
	s_and_not1_saveexec_b32 s15, s15
; %bb.602:                              ;   in Loop: Header=BB4_307 Depth=3
	v_and_b32_e32 v9, 0xffff, v8
	v_or_b32_e32 v10, 0x10000, v8
	s_delay_alu instid0(VALU_DEP_2) | instskip(NEXT) | instid1(VALU_DEP_2)
	v_cmp_eq_u32_e32 vcc_lo, 0, v9
	v_cndmask_b32_e32 v10, v10, v8, vcc_lo
; %bb.603:                              ;   in Loop: Header=BB4_307 Depth=3
	s_or_b32 exec_lo, exec_lo, s15
	v_lshlrev_b32_e32 v8, 16, v11
	v_lshlrev_b32_e32 v9, 16, v15
	s_mov_b32 s15, exec_lo
                                        ; implicit-def: $vgpr14
	s_delay_alu instid0(VALU_DEP_1) | instskip(NEXT) | instid1(VALU_DEP_1)
	v_mul_f32_e32 v8, v9, v8
	v_and_b32_e32 v9, 0x7f800000, v8
	s_delay_alu instid0(VALU_DEP_1)
	v_cmpx_ne_u32_e32 0x7f800000, v9
	s_xor_b32 s15, exec_lo, s15
; %bb.604:                              ;   in Loop: Header=BB4_307 Depth=3
	v_bfe_u32 v9, v8, 16, 1
	s_delay_alu instid0(VALU_DEP_1)
	v_add3_u32 v14, v8, v9, 0x7fff
                                        ; implicit-def: $vgpr8
; %bb.605:                              ;   in Loop: Header=BB4_307 Depth=3
	s_and_not1_saveexec_b32 s15, s15
; %bb.606:                              ;   in Loop: Header=BB4_307 Depth=3
	v_and_b32_e32 v9, 0xffff, v8
	v_or_b32_e32 v14, 0x10000, v8
	s_delay_alu instid0(VALU_DEP_2) | instskip(NEXT) | instid1(VALU_DEP_2)
	v_cmp_eq_u32_e32 vcc_lo, 0, v9
	v_cndmask_b32_e32 v14, v14, v8, vcc_lo
; %bb.607:                              ;   in Loop: Header=BB4_307 Depth=3
	s_or_b32 exec_lo, exec_lo, s15
	v_and_b32_e32 v9, 0xffff0000, v15
	v_and_b32_e32 v8, 0xffff0000, v11
	s_mov_b32 s15, exec_lo
                                        ; implicit-def: $vgpr11
	s_delay_alu instid0(VALU_DEP_2) | instskip(NEXT) | instid1(VALU_DEP_1)
	v_mov_b32_e32 v46, v9
	v_pk_mul_f32 v[8:9], v[46:47], v[8:9]
	s_delay_alu instid0(VALU_DEP_1) | instskip(NEXT) | instid1(VALU_DEP_1)
	v_and_b32_e32 v9, 0x7f800000, v8
	v_cmpx_ne_u32_e32 0x7f800000, v9
	s_xor_b32 s15, exec_lo, s15
; %bb.608:                              ;   in Loop: Header=BB4_307 Depth=3
	v_bfe_u32 v9, v8, 16, 1
	s_delay_alu instid0(VALU_DEP_1)
	v_add3_u32 v11, v8, v9, 0x7fff
                                        ; implicit-def: $vgpr8_vgpr9
; %bb.609:                              ;   in Loop: Header=BB4_307 Depth=3
	s_and_not1_saveexec_b32 s15, s15
; %bb.610:                              ;   in Loop: Header=BB4_307 Depth=3
	v_and_b32_e32 v9, 0xffff, v8
	v_or_b32_e32 v11, 0x10000, v8
	s_delay_alu instid0(VALU_DEP_2) | instskip(NEXT) | instid1(VALU_DEP_2)
	v_cmp_eq_u32_e32 vcc_lo, 0, v9
	v_cndmask_b32_e32 v11, v11, v8, vcc_lo
; %bb.611:                              ;   in Loop: Header=BB4_307 Depth=3
	s_or_b32 exec_lo, exec_lo, s15
	v_dual_lshrrev_b32 v8, 16, v42 :: v_dual_lshrrev_b32 v15, 16, v17
	v_dual_lshrrev_b32 v17, 16, v43 :: v_dual_lshrrev_b32 v14, 16, v14
	s_delay_alu instid0(VALU_DEP_2) | instskip(NEXT) | instid1(VALU_DEP_3)
	v_and_or_b32 v9, 0xffff0000, v13, v8
	v_and_or_b32 v8, 0xffff0000, v12, v15
	s_delay_alu instid0(VALU_DEP_3) | instskip(NEXT) | instid1(VALU_DEP_4)
	v_and_or_b32 v10, 0xffff0000, v10, v17
	v_and_or_b32 v11, 0xffff0000, v11, v14
	global_store_b128 v[44:45], v[8:11], off th:TH_STORE_NT
.LBB4_612:                              ;   in Loop: Header=BB4_307 Depth=3
	s_wait_xcnt 0x0
	s_or_b32 exec_lo, exec_lo, s14
	v_and_b32_e32 v9, 14, v19
	s_mov_b32 s15, s91
	s_mov_b32 s14, exec_lo
                                        ; implicit-def: $vgpr14
                                        ; implicit-def: $vgpr15
                                        ; implicit-def: $vgpr8
	s_delay_alu instid0(VALU_DEP_1) | instskip(NEXT) | instid1(VALU_DEP_1)
	v_cndmask_b32_e64 v17, v62, v9, s13
	v_cmpx_ne_u32_e32 0, v17
	s_cbranch_execz .LBB4_614
; %bb.613:                              ;   in Loop: Header=BB4_307 Depth=3
	v_cmp_lt_i32_e32 vcc_lo, 0, v63
	s_or_b32 s15, s91, exec_lo
	v_dual_cndmask_b32 v8, 0, v52 :: v_dual_sub_nc_u32 v9, v62, v9
	s_delay_alu instid0(VALU_DEP_1) | instskip(NEXT) | instid1(VALU_DEP_1)
	v_dual_cndmask_b32 v9, 0, v9, s13 :: v_dual_sub_nc_u32 v8, v8, v63
	v_add3_u32 v14, v61, v58, v9
	s_delay_alu instid0(VALU_DEP_2) | instskip(NEXT) | instid1(VALU_DEP_1)
	v_lshl_add_u32 v10, v8, 5, v59
	v_ashrrev_i32_e32 v8, 31, v10
	s_delay_alu instid0(VALU_DEP_1) | instskip(NEXT) | instid1(VALU_DEP_1)
	v_lshrrev_b32_e32 v8, 27, v8
	v_add_nc_u32_e32 v8, v10, v8
	s_delay_alu instid0(VALU_DEP_1) | instskip(NEXT) | instid1(VALU_DEP_1)
	v_and_b32_e32 v11, 0xffffffe0, v8
	v_dual_ashrrev_i32 v8, 5, v8 :: v_dual_sub_nc_u32 v15, v10, v11
.LBB4_614:                              ;   in Loop: Header=BB4_307 Depth=3
	s_or_b32 exec_lo, exec_lo, s14
	s_delay_alu instid0(SALU_CYCLE_1) | instskip(SKIP_1) | instid1(SALU_CYCLE_1)
	s_and_not1_b32 s13, s91, exec_lo
	s_and_b32 s14, s15, exec_lo
	s_or_b32 s91, s13, s14
.LBB4_615:                              ;   in Loop: Header=BB4_307 Depth=3
	s_or_b32 exec_lo, exec_lo, s92
	s_and_saveexec_b32 s15, s91
	s_cbranch_execz .LBB4_699
.LBB4_616:                              ;   in Loop: Header=BB4_307 Depth=3
	s_delay_alu instid0(VALU_DEP_1) | instskip(SKIP_3) | instid1(VALU_DEP_2)
	v_dual_ashrrev_i32 v9, 31, v17 :: v_dual_lshlrev_b32 v10, 8, v8
	s_wait_dscnt 0x0
	v_dual_mov_b32 v43, 0 :: v_dual_mov_b32 v44, 0
	s_mov_b32 s14, 0
	v_dual_lshrrev_b32 v9, 24, v9 :: v_dual_lshlrev_b32 v11, 1, v15
	s_mov_b32 s13, exec_lo
	v_dual_mov_b32 v59, 0 :: v_dual_mov_b32 v57, 0
	s_delay_alu instid0(VALU_DEP_2) | instskip(NEXT) | instid1(VALU_DEP_3)
	v_add_nc_u32_e32 v9, v17, v9
	v_add3_u32 v12, v14, v11, v10
	v_dual_mov_b32 v61, 0 :: v_dual_mov_b32 v10, 0
	s_delay_alu instid0(VALU_DEP_3) | instskip(NEXT) | instid1(VALU_DEP_3)
	v_dual_mov_b32 v11, 0 :: v_dual_ashrrev_i32 v19, 8, v9
	v_dual_mov_b32 v58, 0 :: v_dual_ashrrev_i32 v13, 31, v12
	s_delay_alu instid0(VALU_DEP_2) | instskip(NEXT) | instid1(VALU_DEP_2)
	v_sub_nc_u32_e32 v42, v19, v8
	v_add_nc_u64_e32 v[8:9], v[40:41], v[12:13]
	s_delay_alu instid0(VALU_DEP_2)
	v_cmpx_lt_i32_e32 0, v42
	s_cbranch_execz .LBB4_656
; %bb.617:                              ;   in Loop: Header=BB4_307 Depth=3
	s_trap 2
	ds_load_b64 v[44:45], v0
	v_add_nc_u64_e32 v[10:11], v[12:13], v[22:23]
	s_mov_b32 s41, 0
	s_mov_b32 s40, 0
                                        ; implicit-def: $sgpr14
                                        ; implicit-def: $vgpr61
                                        ; implicit-def: $vgpr57
                                        ; implicit-def: $vgpr56
                                        ; implicit-def: $vgpr47
                                        ; implicit-def: $vgpr43
                                        ; implicit-def: $vgpr46
	s_wait_dscnt 0x0
	v_add_nc_u64_e32 v[12:13], v[44:45], v[12:13]
                                        ; implicit-def: $vgpr44
                                        ; implicit-def: $vgpr45
	s_branch .LBB4_619
.LBB4_618:                              ;   in Loop: Header=BB4_619 Depth=4
	s_or_b32 exec_lo, exec_lo, s91
	v_dual_cndmask_b32 v59, 0, v52, s41 :: v_dual_cndmask_b32 v105, 0, v97, s41
	v_add_nc_u64_e32 v[92:93], v[10:11], v[80:81]
	v_add_nc_u64_e32 v[94:95], v[12:13], v[80:81]
	v_cndmask_b32_e64 v104, 0x100, v96, s41
	s_delay_alu instid0(VALU_DEP_4)
	v_sub_nc_u32_e32 v42, v42, v59
	s_clause 0x3
	flat_store_d16_hi_b16 v[8:9], v90 th:TH_STORE_NT
	flat_store_d16_hi_b16 v[8:9], v88 offset:64 th:TH_STORE_NT
	flat_store_d16_hi_b16 v[8:9], v62 offset:128 th:TH_STORE_NT
	;; [unrolled: 1-line block ×3, first 2 shown]
	v_cndmask_b32_e64 v11, v11, v93, s41
	v_cmp_gt_i32_e32 vcc_lo, 1, v42
	s_wait_xcnt 0x0
	v_add_nc_u64_e32 v[8:9], v[8:9], v[104:105]
	v_dual_cndmask_b32 v10, v10, v92, s41 :: v_dual_cndmask_b32 v13, v13, v95, s41
	v_cndmask_b32_e64 v12, v12, v94, s41
	s_or_b32 s40, vcc_lo, s40
	s_and_not1_b32 s14, s14, exec_lo
	s_and_b32 s91, s41, exec_lo
	s_delay_alu instid0(SALU_CYCLE_1)
	s_or_b32 s14, s14, s91
	s_and_not1_b32 exec_lo, exec_lo, s40
	s_cbranch_execz .LBB4_655
.LBB4_619:                              ;   Parent Loop BB4_47 Depth=1
                                        ;     Parent Loop BB4_304 Depth=2
                                        ;       Parent Loop BB4_307 Depth=3
                                        ; =>      This Inner Loop Header: Depth=4
	s_clause 0x3
	flat_load_u16 v90, v[10:11] th:TH_LOAD_NT
	flat_load_u16 v88, v[10:11] offset:64 th:TH_LOAD_NT
	flat_load_u16 v62, v[10:11] offset:128 th:TH_LOAD_NT
	;; [unrolled: 1-line block ×3, first 2 shown]
	s_clause 0x3
	flat_load_u16 v91, v[12:13] th:TH_LOAD_NT
	flat_load_u16 v89, v[12:13] offset:64 th:TH_LOAD_NT
	flat_load_u16 v63, v[12:13] offset:128 th:TH_LOAD_NT
	;; [unrolled: 1-line block ×3, first 2 shown]
	s_wait_xcnt 0x0
	s_and_saveexec_b32 s91, s41
	s_cbranch_execz .LBB4_637
; %bb.620:                              ;   in Loop: Header=BB4_619 Depth=4
	v_dual_lshlrev_b32 v61, 16, v61 :: v_dual_lshlrev_b32 v92, 16, v43
	s_delay_alu instid0(VALU_DEP_1) | instskip(NEXT) | instid1(VALU_DEP_1)
	v_mul_f32_e32 v92, v61, v92
	v_and_b32_e32 v61, 0x7f800000, v92
	s_delay_alu instid0(VALU_DEP_1) | instskip(SKIP_1) | instid1(SALU_CYCLE_1)
	v_cmp_ne_u32_e32 vcc_lo, 0x7f800000, v61
                                        ; implicit-def: $vgpr61
	s_and_saveexec_b32 s41, vcc_lo
	s_xor_b32 s41, exec_lo, s41
; %bb.621:                              ;   in Loop: Header=BB4_619 Depth=4
	v_bfe_u32 v61, v92, 16, 1
	s_delay_alu instid0(VALU_DEP_1)
	v_add3_u32 v61, v92, v61, 0x7fff
                                        ; implicit-def: $vgpr92
; %bb.622:                              ;   in Loop: Header=BB4_619 Depth=4
	s_and_not1_saveexec_b32 s41, s41
; %bb.623:                              ;   in Loop: Header=BB4_619 Depth=4
	v_and_b32_e32 v61, 0xffff, v92
	v_or_b32_e32 v93, 0x10000, v92
	s_delay_alu instid0(VALU_DEP_2) | instskip(NEXT) | instid1(VALU_DEP_2)
	v_cmp_eq_u32_e32 vcc_lo, 0, v61
	v_cndmask_b32_e32 v61, v93, v92, vcc_lo
; %bb.624:                              ;   in Loop: Header=BB4_619 Depth=4
	s_or_b32 exec_lo, exec_lo, s41
	v_dual_lshlrev_b32 v57, 16, v57 :: v_dual_lshlrev_b32 v92, 16, v44
	s_delay_alu instid0(VALU_DEP_1) | instskip(NEXT) | instid1(VALU_DEP_1)
	v_mul_f32_e32 v92, v57, v92
	v_and_b32_e32 v57, 0x7f800000, v92
	s_delay_alu instid0(VALU_DEP_1) | instskip(SKIP_1) | instid1(SALU_CYCLE_1)
	v_cmp_ne_u32_e32 vcc_lo, 0x7f800000, v57
                                        ; implicit-def: $vgpr57
	s_and_saveexec_b32 s41, vcc_lo
	s_xor_b32 s41, exec_lo, s41
; %bb.625:                              ;   in Loop: Header=BB4_619 Depth=4
	v_bfe_u32 v57, v92, 16, 1
	s_delay_alu instid0(VALU_DEP_1)
	v_add3_u32 v57, v92, v57, 0x7fff
                                        ; implicit-def: $vgpr92
; %bb.626:                              ;   in Loop: Header=BB4_619 Depth=4
	s_and_not1_saveexec_b32 s41, s41
; %bb.627:                              ;   in Loop: Header=BB4_619 Depth=4
	v_and_b32_e32 v57, 0xffff, v92
	v_or_b32_e32 v93, 0x10000, v92
	s_delay_alu instid0(VALU_DEP_2) | instskip(NEXT) | instid1(VALU_DEP_2)
	v_cmp_eq_u32_e32 vcc_lo, 0, v57
	v_cndmask_b32_e32 v57, v93, v92, vcc_lo
; %bb.628:                              ;   in Loop: Header=BB4_619 Depth=4
	s_or_b32 exec_lo, exec_lo, s41
	v_dual_lshlrev_b32 v56, 16, v56 :: v_dual_lshlrev_b32 v92, 16, v45
	s_delay_alu instid0(VALU_DEP_1) | instskip(NEXT) | instid1(VALU_DEP_1)
	v_mul_f32_e32 v92, v56, v92
	v_and_b32_e32 v56, 0x7f800000, v92
	s_delay_alu instid0(VALU_DEP_1) | instskip(SKIP_1) | instid1(SALU_CYCLE_1)
	v_cmp_ne_u32_e32 vcc_lo, 0x7f800000, v56
                                        ; implicit-def: $vgpr56
	s_and_saveexec_b32 s41, vcc_lo
	s_xor_b32 s41, exec_lo, s41
; %bb.629:                              ;   in Loop: Header=BB4_619 Depth=4
	v_bfe_u32 v56, v92, 16, 1
	s_delay_alu instid0(VALU_DEP_1)
	v_add3_u32 v56, v92, v56, 0x7fff
                                        ; implicit-def: $vgpr92
; %bb.630:                              ;   in Loop: Header=BB4_619 Depth=4
	s_and_not1_saveexec_b32 s41, s41
; %bb.631:                              ;   in Loop: Header=BB4_619 Depth=4
	v_and_b32_e32 v56, 0xffff, v92
	v_or_b32_e32 v93, 0x10000, v92
	s_delay_alu instid0(VALU_DEP_2) | instskip(NEXT) | instid1(VALU_DEP_2)
	v_cmp_eq_u32_e32 vcc_lo, 0, v56
	v_cndmask_b32_e32 v56, v93, v92, vcc_lo
; %bb.632:                              ;   in Loop: Header=BB4_619 Depth=4
	s_or_b32 exec_lo, exec_lo, s41
	v_dual_lshlrev_b32 v47, 16, v47 :: v_dual_lshlrev_b32 v92, 16, v46
	s_delay_alu instid0(VALU_DEP_1) | instskip(NEXT) | instid1(VALU_DEP_1)
	v_mul_f32_e32 v92, v47, v92
	v_and_b32_e32 v47, 0x7f800000, v92
	s_delay_alu instid0(VALU_DEP_1) | instskip(SKIP_1) | instid1(SALU_CYCLE_1)
	v_cmp_ne_u32_e32 vcc_lo, 0x7f800000, v47
                                        ; implicit-def: $vgpr47
	s_and_saveexec_b32 s41, vcc_lo
	s_xor_b32 s41, exec_lo, s41
; %bb.633:                              ;   in Loop: Header=BB4_619 Depth=4
	v_bfe_u32 v47, v92, 16, 1
	s_delay_alu instid0(VALU_DEP_1)
	v_add3_u32 v47, v92, v47, 0x7fff
                                        ; implicit-def: $vgpr92
; %bb.634:                              ;   in Loop: Header=BB4_619 Depth=4
	s_and_not1_saveexec_b32 s41, s41
; %bb.635:                              ;   in Loop: Header=BB4_619 Depth=4
	v_and_b32_e32 v47, 0xffff, v92
	v_or_b32_e32 v93, 0x10000, v92
	s_delay_alu instid0(VALU_DEP_2) | instskip(NEXT) | instid1(VALU_DEP_2)
	v_cmp_eq_u32_e32 vcc_lo, 0, v47
	v_cndmask_b32_e32 v47, v93, v92, vcc_lo
; %bb.636:                              ;   in Loop: Header=BB4_619 Depth=4
	s_or_b32 exec_lo, exec_lo, s41
	v_dual_lshrrev_b32 v61, 16, v61 :: v_dual_lshrrev_b32 v56, 16, v56
	s_delay_alu instid0(VALU_DEP_2)
	v_dual_lshrrev_b32 v57, 16, v57 :: v_dual_lshrrev_b32 v47, 16, v47
	s_clause 0x3
	flat_store_b16 v[8:9], v61 th:TH_STORE_NT
	flat_store_b16 v[8:9], v57 offset:64 th:TH_STORE_NT
	flat_store_b16 v[8:9], v56 offset:128 th:TH_STORE_NT
	;; [unrolled: 1-line block ×3, first 2 shown]
	s_wait_xcnt 0x0
	v_add_nc_u64_e32 v[8:9], v[8:9], v[96:97]
.LBB4_637:                              ;   in Loop: Header=BB4_619 Depth=4
	s_or_b32 exec_lo, exec_lo, s91
	v_sub_nc_u32_e32 v42, v42, v52
	v_add_nc_u64_e32 v[10:11], v[10:11], v[96:97]
	v_add_nc_u64_e32 v[12:13], v[12:13], v[96:97]
	s_delay_alu instid0(VALU_DEP_3)
	v_cmp_lt_i32_e64 s41, 0, v42
	s_and_saveexec_b32 s91, s41
	s_cbranch_execz .LBB4_639
; %bb.638:                              ;   in Loop: Header=BB4_619 Depth=4
	s_clause 0x3
	flat_load_u16 v61, v[10:11] th:TH_LOAD_NT
	flat_load_u16 v57, v[10:11] offset:64 th:TH_LOAD_NT
	flat_load_u16 v56, v[10:11] offset:128 th:TH_LOAD_NT
	;; [unrolled: 1-line block ×3, first 2 shown]
	s_clause 0x3
	flat_load_u16 v43, v[12:13] th:TH_LOAD_NT
	flat_load_u16 v44, v[12:13] offset:64 th:TH_LOAD_NT
	flat_load_u16 v45, v[12:13] offset:128 th:TH_LOAD_NT
	;; [unrolled: 1-line block ×3, first 2 shown]
	s_wait_xcnt 0x4
	v_add_nc_u64_e32 v[10:11], 0x100, v[10:11]
	s_wait_xcnt 0x0
	v_add_nc_u64_e32 v[12:13], 0x100, v[12:13]
.LBB4_639:                              ;   in Loop: Header=BB4_619 Depth=4
	s_or_b32 exec_lo, exec_lo, s91
	s_wait_loadcnt_dscnt 0x303
	v_dual_lshlrev_b32 v90, 16, v90 :: v_dual_lshlrev_b32 v91, 16, v91
	s_delay_alu instid0(VALU_DEP_1) | instskip(NEXT) | instid1(VALU_DEP_1)
	v_mul_f32_e32 v91, v91, v90
	v_and_b32_e32 v90, 0x7f800000, v91
	s_delay_alu instid0(VALU_DEP_1) | instskip(SKIP_1) | instid1(SALU_CYCLE_1)
	v_cmp_ne_u32_e32 vcc_lo, 0x7f800000, v90
                                        ; implicit-def: $vgpr90
	s_and_saveexec_b32 s91, vcc_lo
	s_xor_b32 s91, exec_lo, s91
; %bb.640:                              ;   in Loop: Header=BB4_619 Depth=4
	v_bfe_u32 v90, v91, 16, 1
	s_delay_alu instid0(VALU_DEP_1)
	v_add3_u32 v90, v91, v90, 0x7fff
                                        ; implicit-def: $vgpr91
; %bb.641:                              ;   in Loop: Header=BB4_619 Depth=4
	s_and_not1_saveexec_b32 s91, s91
; %bb.642:                              ;   in Loop: Header=BB4_619 Depth=4
	v_and_b32_e32 v90, 0xffff, v91
	v_or_b32_e32 v92, 0x10000, v91
	s_delay_alu instid0(VALU_DEP_2) | instskip(NEXT) | instid1(VALU_DEP_2)
	v_cmp_eq_u32_e32 vcc_lo, 0, v90
	v_cndmask_b32_e32 v90, v92, v91, vcc_lo
; %bb.643:                              ;   in Loop: Header=BB4_619 Depth=4
	s_or_b32 exec_lo, exec_lo, s91
	s_wait_loadcnt_dscnt 0x202
	v_dual_lshlrev_b32 v88, 16, v88 :: v_dual_lshlrev_b32 v89, 16, v89
	s_delay_alu instid0(VALU_DEP_1) | instskip(NEXT) | instid1(VALU_DEP_1)
	v_mul_f32_e32 v89, v89, v88
	v_and_b32_e32 v88, 0x7f800000, v89
	s_delay_alu instid0(VALU_DEP_1) | instskip(SKIP_1) | instid1(SALU_CYCLE_1)
	v_cmp_ne_u32_e32 vcc_lo, 0x7f800000, v88
                                        ; implicit-def: $vgpr88
	s_and_saveexec_b32 s91, vcc_lo
	s_xor_b32 s91, exec_lo, s91
; %bb.644:                              ;   in Loop: Header=BB4_619 Depth=4
	v_bfe_u32 v88, v89, 16, 1
	s_delay_alu instid0(VALU_DEP_1)
	v_add3_u32 v88, v89, v88, 0x7fff
                                        ; implicit-def: $vgpr89
; %bb.645:                              ;   in Loop: Header=BB4_619 Depth=4
	s_and_not1_saveexec_b32 s91, s91
; %bb.646:                              ;   in Loop: Header=BB4_619 Depth=4
	v_and_b32_e32 v88, 0xffff, v89
	v_or_b32_e32 v91, 0x10000, v89
	s_delay_alu instid0(VALU_DEP_2) | instskip(NEXT) | instid1(VALU_DEP_2)
	v_cmp_eq_u32_e32 vcc_lo, 0, v88
	v_cndmask_b32_e32 v88, v91, v89, vcc_lo
; %bb.647:                              ;   in Loop: Header=BB4_619 Depth=4
	s_or_b32 exec_lo, exec_lo, s91
	s_wait_loadcnt_dscnt 0x101
	v_dual_lshlrev_b32 v62, 16, v62 :: v_dual_lshlrev_b32 v63, 16, v63
	s_delay_alu instid0(VALU_DEP_1) | instskip(NEXT) | instid1(VALU_DEP_1)
	v_mul_f32_e32 v63, v63, v62
	v_and_b32_e32 v62, 0x7f800000, v63
	s_delay_alu instid0(VALU_DEP_1) | instskip(SKIP_1) | instid1(SALU_CYCLE_1)
	v_cmp_ne_u32_e32 vcc_lo, 0x7f800000, v62
                                        ; implicit-def: $vgpr62
	s_and_saveexec_b32 s91, vcc_lo
	s_xor_b32 s91, exec_lo, s91
; %bb.648:                              ;   in Loop: Header=BB4_619 Depth=4
	v_bfe_u32 v62, v63, 16, 1
	s_delay_alu instid0(VALU_DEP_1)
	v_add3_u32 v62, v63, v62, 0x7fff
                                        ; implicit-def: $vgpr63
; %bb.649:                              ;   in Loop: Header=BB4_619 Depth=4
	s_and_not1_saveexec_b32 s91, s91
; %bb.650:                              ;   in Loop: Header=BB4_619 Depth=4
	v_and_b32_e32 v62, 0xffff, v63
	v_or_b32_e32 v89, 0x10000, v63
	s_delay_alu instid0(VALU_DEP_2) | instskip(NEXT) | instid1(VALU_DEP_2)
	v_cmp_eq_u32_e32 vcc_lo, 0, v62
	v_cndmask_b32_e32 v62, v89, v63, vcc_lo
; %bb.651:                              ;   in Loop: Header=BB4_619 Depth=4
	s_or_b32 exec_lo, exec_lo, s91
	s_wait_loadcnt_dscnt 0x0
	v_dual_lshlrev_b32 v58, 16, v58 :: v_dual_lshlrev_b32 v59, 16, v59
	s_delay_alu instid0(VALU_DEP_1) | instskip(NEXT) | instid1(VALU_DEP_1)
	v_mul_f32_e32 v59, v59, v58
	v_and_b32_e32 v58, 0x7f800000, v59
	s_delay_alu instid0(VALU_DEP_1) | instskip(SKIP_1) | instid1(SALU_CYCLE_1)
	v_cmp_ne_u32_e32 vcc_lo, 0x7f800000, v58
                                        ; implicit-def: $vgpr58
	s_and_saveexec_b32 s91, vcc_lo
	s_xor_b32 s91, exec_lo, s91
; %bb.652:                              ;   in Loop: Header=BB4_619 Depth=4
	v_bfe_u32 v58, v59, 16, 1
	s_delay_alu instid0(VALU_DEP_1)
	v_add3_u32 v58, v59, v58, 0x7fff
                                        ; implicit-def: $vgpr59
; %bb.653:                              ;   in Loop: Header=BB4_619 Depth=4
	s_and_not1_saveexec_b32 s91, s91
	s_cbranch_execz .LBB4_618
; %bb.654:                              ;   in Loop: Header=BB4_619 Depth=4
	v_and_b32_e32 v58, 0xffff, v59
	v_or_b32_e32 v63, 0x10000, v59
	s_delay_alu instid0(VALU_DEP_2) | instskip(NEXT) | instid1(VALU_DEP_2)
	v_cmp_eq_u32_e32 vcc_lo, 0, v58
	v_cndmask_b32_e32 v58, v63, v59, vcc_lo
	s_branch .LBB4_618
.LBB4_655:                              ;   in Loop: Header=BB4_307 Depth=3
	s_or_b32 exec_lo, exec_lo, s40
	v_dual_lshlrev_b32 v59, 16, v61 :: v_dual_lshlrev_b32 v61, 16, v43
	v_dual_lshlrev_b32 v57, 16, v57 :: v_dual_lshlrev_b32 v58, 16, v44
	;; [unrolled: 1-line block ×4, first 2 shown]
	s_and_b32 s14, s14, exec_lo
.LBB4_656:                              ;   in Loop: Header=BB4_307 Depth=3
	s_or_b32 exec_lo, exec_lo, s13
	s_and_saveexec_b32 s13, s14
	s_cbranch_execz .LBB4_674
; %bb.657:                              ;   in Loop: Header=BB4_307 Depth=3
	v_mul_f32_e32 v13, v61, v59
	s_delay_alu instid0(VALU_DEP_1) | instskip(NEXT) | instid1(VALU_DEP_1)
	v_and_b32_e32 v12, 0x7f800000, v13
	v_cmp_ne_u32_e32 vcc_lo, 0x7f800000, v12
                                        ; implicit-def: $vgpr12
	s_and_saveexec_b32 s14, vcc_lo
	s_delay_alu instid0(SALU_CYCLE_1)
	s_xor_b32 s14, exec_lo, s14
; %bb.658:                              ;   in Loop: Header=BB4_307 Depth=3
	v_bfe_u32 v12, v13, 16, 1
	s_delay_alu instid0(VALU_DEP_1)
	v_add3_u32 v12, v13, v12, 0x7fff
                                        ; implicit-def: $vgpr13
; %bb.659:                              ;   in Loop: Header=BB4_307 Depth=3
	s_and_not1_saveexec_b32 s14, s14
; %bb.660:                              ;   in Loop: Header=BB4_307 Depth=3
	v_and_b32_e32 v12, 0xffff, v13
	v_or_b32_e32 v45, 0x10000, v13
	s_delay_alu instid0(VALU_DEP_2) | instskip(NEXT) | instid1(VALU_DEP_2)
	v_cmp_eq_u32_e32 vcc_lo, 0, v12
	v_cndmask_b32_e32 v12, v45, v13, vcc_lo
; %bb.661:                              ;   in Loop: Header=BB4_307 Depth=3
	s_or_b32 exec_lo, exec_lo, s14
	v_mul_f32_e32 v45, v58, v57
	s_delay_alu instid0(VALU_DEP_1) | instskip(NEXT) | instid1(VALU_DEP_1)
	v_and_b32_e32 v13, 0x7f800000, v45
	v_cmp_ne_u32_e32 vcc_lo, 0x7f800000, v13
                                        ; implicit-def: $vgpr13
	s_and_saveexec_b32 s14, vcc_lo
	s_delay_alu instid0(SALU_CYCLE_1)
	s_xor_b32 s14, exec_lo, s14
; %bb.662:                              ;   in Loop: Header=BB4_307 Depth=3
	v_bfe_u32 v13, v45, 16, 1
	s_delay_alu instid0(VALU_DEP_1)
	v_add3_u32 v13, v45, v13, 0x7fff
                                        ; implicit-def: $vgpr45
; %bb.663:                              ;   in Loop: Header=BB4_307 Depth=3
	s_and_not1_saveexec_b32 s14, s14
; %bb.664:                              ;   in Loop: Header=BB4_307 Depth=3
	v_and_b32_e32 v13, 0xffff, v45
	v_or_b32_e32 v46, 0x10000, v45
	s_delay_alu instid0(VALU_DEP_2) | instskip(NEXT) | instid1(VALU_DEP_2)
	v_cmp_eq_u32_e32 vcc_lo, 0, v13
	v_cndmask_b32_e32 v13, v46, v45, vcc_lo
; %bb.665:                              ;   in Loop: Header=BB4_307 Depth=3
	s_or_b32 exec_lo, exec_lo, s14
	v_mul_f32_e32 v44, v44, v43
	s_delay_alu instid0(VALU_DEP_1) | instskip(NEXT) | instid1(VALU_DEP_1)
	v_and_b32_e32 v43, 0x7f800000, v44
	v_cmp_ne_u32_e32 vcc_lo, 0x7f800000, v43
                                        ; implicit-def: $vgpr43
	s_and_saveexec_b32 s14, vcc_lo
	s_delay_alu instid0(SALU_CYCLE_1)
	s_xor_b32 s14, exec_lo, s14
; %bb.666:                              ;   in Loop: Header=BB4_307 Depth=3
	v_bfe_u32 v43, v44, 16, 1
	s_delay_alu instid0(VALU_DEP_1)
	v_add3_u32 v43, v44, v43, 0x7fff
                                        ; implicit-def: $vgpr44
; %bb.667:                              ;   in Loop: Header=BB4_307 Depth=3
	s_and_not1_saveexec_b32 s14, s14
; %bb.668:                              ;   in Loop: Header=BB4_307 Depth=3
	v_and_b32_e32 v43, 0xffff, v44
	v_or_b32_e32 v45, 0x10000, v44
	s_delay_alu instid0(VALU_DEP_2) | instskip(NEXT) | instid1(VALU_DEP_2)
	v_cmp_eq_u32_e32 vcc_lo, 0, v43
	v_cndmask_b32_e32 v43, v45, v44, vcc_lo
; %bb.669:                              ;   in Loop: Header=BB4_307 Depth=3
	s_or_b32 exec_lo, exec_lo, s14
	v_mul_f32_e32 v10, v11, v10
	s_delay_alu instid0(VALU_DEP_1) | instskip(NEXT) | instid1(VALU_DEP_1)
	v_and_b32_e32 v11, 0x7f800000, v10
	v_cmp_ne_u32_e32 vcc_lo, 0x7f800000, v11
                                        ; implicit-def: $vgpr11
	s_and_saveexec_b32 s14, vcc_lo
	s_delay_alu instid0(SALU_CYCLE_1)
	s_xor_b32 s14, exec_lo, s14
; %bb.670:                              ;   in Loop: Header=BB4_307 Depth=3
	v_bfe_u32 v11, v10, 16, 1
	s_delay_alu instid0(VALU_DEP_1)
	v_add3_u32 v11, v10, v11, 0x7fff
                                        ; implicit-def: $vgpr10
; %bb.671:                              ;   in Loop: Header=BB4_307 Depth=3
	s_and_not1_saveexec_b32 s14, s14
; %bb.672:                              ;   in Loop: Header=BB4_307 Depth=3
	v_and_b32_e32 v11, 0xffff, v10
	v_or_b32_e32 v44, 0x10000, v10
	s_delay_alu instid0(VALU_DEP_2) | instskip(NEXT) | instid1(VALU_DEP_2)
	v_cmp_eq_u32_e32 vcc_lo, 0, v11
	v_cndmask_b32_e32 v11, v44, v10, vcc_lo
; %bb.673:                              ;   in Loop: Header=BB4_307 Depth=3
	s_or_b32 exec_lo, exec_lo, s14
	s_clause 0x3
	flat_store_d16_hi_b16 v[8:9], v12 th:TH_STORE_NT
	flat_store_d16_hi_b16 v[8:9], v13 offset:64 th:TH_STORE_NT
	flat_store_d16_hi_b16 v[8:9], v43 offset:128 th:TH_STORE_NT
	;; [unrolled: 1-line block ×3, first 2 shown]
.LBB4_674:                              ;   in Loop: Header=BB4_307 Depth=3
	s_wait_xcnt 0x0
	s_or_b32 exec_lo, exec_lo, s13
	v_lshlrev_b32_e32 v8, 8, v19
	s_delay_alu instid0(VALU_DEP_1)
	v_cmp_ne_u32_e32 vcc_lo, v17, v8
	s_and_b32 exec_lo, exec_lo, vcc_lo
	s_cbranch_execz .LBB4_699
; %bb.675:                              ;   in Loop: Header=BB4_307 Depth=3
	v_lshlrev_b32_e32 v9, 5, v42
	s_delay_alu instid0(VALU_DEP_1) | instskip(NEXT) | instid1(VALU_DEP_1)
	v_sub_nc_u32_e32 v9, v15, v9
	v_ashrrev_i32_e32 v10, 31, v9
	s_delay_alu instid0(VALU_DEP_1) | instskip(NEXT) | instid1(VALU_DEP_1)
	v_lshrrev_b32_e32 v10, 27, v10
	v_add_nc_u32_e32 v10, v9, v10
	s_delay_alu instid0(VALU_DEP_1) | instskip(NEXT) | instid1(VALU_DEP_1)
	v_and_b32_e32 v11, 0x7fffffe0, v10
	v_sub_nc_u32_e32 v9, v9, v11
	s_delay_alu instid0(VALU_DEP_1) | instskip(NEXT) | instid1(VALU_DEP_1)
	v_dual_lshlrev_b32 v9, 1, v9 :: v_dual_lshlrev_b32 v10, 1, v10
	v_and_b32_e32 v10, 0xffffffc0, v10
	s_delay_alu instid0(VALU_DEP_1) | instskip(NEXT) | instid1(VALU_DEP_1)
	v_add3_u32 v8, v10, v9, v8
	v_sub_nc_u32_e32 v15, v17, v8
	s_delay_alu instid0(VALU_DEP_1)
	v_cmp_lt_i32_e32 vcc_lo, 1, v15
	s_and_b32 exec_lo, exec_lo, vcc_lo
	s_cbranch_execz .LBB4_699
; %bb.676:                              ;   in Loop: Header=BB4_307 Depth=3
	s_trap 2
	ds_load_b64 v[10:11], v0
	v_add_nc_u32_e32 v42, v8, v14
	s_mov_b32 s93, 0
	s_mov_b32 s91, 0
                                        ; implicit-def: $sgpr92
	s_delay_alu instid0(VALU_DEP_1) | instskip(NEXT) | instid1(VALU_DEP_1)
	v_ashrrev_i32_e32 v43, 31, v42
	v_add_nc_u64_e32 v[8:9], v[40:41], v[42:43]
	v_add_nc_u64_e32 v[12:13], v[42:43], v[22:23]
	s_wait_dscnt 0x0
	v_add_nc_u64_e32 v[10:11], v[10:11], v[42:43]
	s_branch .LBB4_678
.LBB4_677:                              ;   in Loop: Header=BB4_678 Depth=4
	s_or_b32 exec_lo, exec_lo, s13
	s_delay_alu instid0(VALU_DEP_1) | instskip(SKIP_2) | instid1(VALU_DEP_3)
	v_dual_cndmask_b32 v17, 0, v77, s93 :: v_dual_lshrrev_b32 v19, 16, v15
	v_add_nc_u64_e32 v[22:23], v[10:11], v[84:85]
	v_dual_cndmask_b32 v41, 0, v101, s93 :: v_dual_cndmask_b32 v40, 64, v100, s93
	v_sub_nc_u32_e32 v15, v14, v17
	v_add_nc_u64_e32 v[42:43], v[12:13], v[84:85]
	flat_store_b16 v[8:9], v19 th:TH_STORE_NT
	scratch_store_b16 off, v19, s33 offset:144
	v_cndmask_b32_e64 v11, v11, v23, s93
	v_cmp_gt_i32_e32 vcc_lo, 2, v15
	s_wait_xcnt 0x1
	v_add_nc_u64_e32 v[8:9], v[8:9], v[40:41]
	v_dual_cndmask_b32 v10, v10, v22, s93 :: v_dual_cndmask_b32 v13, v13, v43, s93
	v_cndmask_b32_e64 v12, v12, v42, s93
	s_or_b32 s91, vcc_lo, s91
	s_and_not1_b32 s13, s92, exec_lo
	s_and_b32 s14, s93, exec_lo
	s_delay_alu instid0(SALU_CYCLE_1)
	s_or_b32 s92, s13, s14
	s_wait_xcnt 0x0
	s_and_not1_b32 exec_lo, exec_lo, s91
	s_cbranch_execz .LBB4_693
.LBB4_678:                              ;   Parent Loop BB4_47 Depth=1
                                        ;     Parent Loop BB4_304 Depth=2
                                        ;       Parent Loop BB4_307 Depth=3
                                        ; =>      This Loop Header: Depth=4
                                        ;           Child Loop BB4_679 Depth 5
                                        ;           Child Loop BB4_688 Depth 5
	s_add_co_i32 s13, s33, 0x90
	s_mov_b64 s[40:41], 0
	s_mov_b32 s94, s13
	s_mov_b32 s95, -1
.LBB4_679:                              ;   Parent Loop BB4_47 Depth=1
                                        ;     Parent Loop BB4_304 Depth=2
                                        ;       Parent Loop BB4_307 Depth=3
                                        ;         Parent Loop BB4_678 Depth=4
                                        ; =>        This Inner Loop Header: Depth=5
	s_cmp_eq_u32 s40, 1
	s_cselect_b32 vcc_lo, -1, 0
	s_cmp_eq_u32 s40, 0
	v_dual_cndmask_b32 v23, v13, v11 :: v_dual_cndmask_b32 v22, v12, v10
	s_cselect_b32 s13, -1, 0
	s_and_b32 s14, exec_lo, s95
	s_mov_b64 s[40:41], 1
	s_mov_b32 s95, 0
	flat_load_u16 v14, v[22:23] th:TH_LOAD_NT
	s_wait_xcnt 0x0
	v_add_nc_u64_e32 v[22:23], 64, v[22:23]
	s_delay_alu instid0(VALU_DEP_1)
	v_dual_cndmask_b32 v11, v11, v23 :: v_dual_cndmask_b32 v10, v10, v22
	v_dual_cndmask_b32 v13, v13, v23, s13 :: v_dual_cndmask_b32 v12, v12, v22, s13
	s_add_co_i32 s13, s33, 0xb0
	s_mov_b32 vcc_lo, s14
	s_wait_loadcnt_dscnt 0x0
	scratch_store_b16 off, v14, s94
	s_wait_xcnt 0x0
	s_mov_b32 s94, s13
	s_cbranch_vccnz .LBB4_679
; %bb.680:                              ;   in Loop: Header=BB4_678 Depth=4
	s_and_saveexec_b32 s13, s93
	s_cbranch_execz .LBB4_686
; %bb.681:                              ;   in Loop: Header=BB4_678 Depth=4
	s_clause 0x1
	scratch_load_u16 v14, off, s33 offset:140
	scratch_load_u16 v17, off, s33 offset:142
	s_wait_loadcnt 0x0
	v_dual_lshlrev_b32 v14, 16, v14 :: v_dual_lshlrev_b32 v17, 16, v17
	s_delay_alu instid0(VALU_DEP_1) | instskip(NEXT) | instid1(VALU_DEP_1)
	v_mul_f32_e32 v14, v17, v14
	v_and_b32_e32 v17, 0x7f800000, v14
	s_delay_alu instid0(VALU_DEP_1) | instskip(SKIP_2) | instid1(SALU_CYCLE_1)
	v_cmp_ne_u32_e32 vcc_lo, 0x7f800000, v17
                                        ; implicit-def: $vgpr17
	s_wait_xcnt 0x0
	s_and_saveexec_b32 s14, vcc_lo
	s_xor_b32 s14, exec_lo, s14
; %bb.682:                              ;   in Loop: Header=BB4_678 Depth=4
	v_bfe_u32 v17, v14, 16, 1
	s_delay_alu instid0(VALU_DEP_1)
	v_add3_u32 v17, v14, v17, 0x7fff
                                        ; implicit-def: $vgpr14
; %bb.683:                              ;   in Loop: Header=BB4_678 Depth=4
	s_and_not1_saveexec_b32 s14, s14
; %bb.684:                              ;   in Loop: Header=BB4_678 Depth=4
	v_and_b32_e32 v17, 0xffff, v14
	v_or_b32_e32 v19, 0x10000, v14
	s_delay_alu instid0(VALU_DEP_2) | instskip(NEXT) | instid1(VALU_DEP_2)
	v_cmp_eq_u32_e32 vcc_lo, 0, v17
	v_cndmask_b32_e32 v17, v19, v14, vcc_lo
; %bb.685:                              ;   in Loop: Header=BB4_678 Depth=4
	s_or_b32 exec_lo, exec_lo, s14
	s_delay_alu instid0(VALU_DEP_1)
	v_lshrrev_b32_e32 v14, 16, v17
	flat_store_b16 v[8:9], v14 th:TH_STORE_NT
	s_wait_xcnt 0x0
	v_add_nc_u64_e32 v[8:9], v[8:9], v[100:101]
	scratch_store_b16 off, v14, s33 offset:140
.LBB4_686:                              ;   in Loop: Header=BB4_678 Depth=4
	s_wait_xcnt 0x0
	s_or_b32 exec_lo, exec_lo, s13
	v_sub_nc_u32_e32 v14, v15, v77
	v_add_nc_u64_e32 v[12:13], v[12:13], v[84:85]
	v_add_nc_u64_e32 v[10:11], v[10:11], v[84:85]
	s_delay_alu instid0(VALU_DEP_3)
	v_cmp_lt_i32_e64 s93, 1, v14
	s_and_saveexec_b32 s94, s93
	s_cbranch_execz .LBB4_689
; %bb.687:                              ;   in Loop: Header=BB4_678 Depth=4
	s_add_co_i32 s13, s33, 0x8c
	s_mov_b64 s[40:41], 0
	s_mov_b32 s95, s13
	s_mov_b32 vcc_hi, -1
.LBB4_688:                              ;   Parent Loop BB4_47 Depth=1
                                        ;     Parent Loop BB4_304 Depth=2
                                        ;       Parent Loop BB4_307 Depth=3
                                        ;         Parent Loop BB4_678 Depth=4
                                        ; =>        This Inner Loop Header: Depth=5
	s_cmp_eq_u32 s40, 1
	s_cselect_b32 vcc_lo, -1, 0
	s_cmp_eq_u32 s40, 0
	v_dual_cndmask_b32 v23, v13, v11 :: v_dual_cndmask_b32 v22, v12, v10
	s_cselect_b32 s13, -1, 0
	s_and_b32 s14, exec_lo, vcc_hi
	s_mov_b64 s[40:41], 1
	s_mov_b32 vcc_hi, 0
	flat_load_u16 v15, v[22:23] th:TH_LOAD_NT
	s_wait_xcnt 0x0
	v_add_nc_u64_e32 v[22:23], 64, v[22:23]
	s_delay_alu instid0(VALU_DEP_1)
	v_dual_cndmask_b32 v13, v13, v23, s13 :: v_dual_cndmask_b32 v12, v12, v22, s13
	v_dual_cndmask_b32 v11, v11, v23 :: v_dual_cndmask_b32 v10, v10, v22
	s_add_co_i32 s13, s33, 0x8e
	s_mov_b32 vcc_lo, s14
	s_wait_loadcnt_dscnt 0x0
	scratch_store_b16 off, v15, s95
	s_wait_xcnt 0x0
	s_mov_b32 s95, s13
	s_cbranch_vccnz .LBB4_688
.LBB4_689:                              ;   in Loop: Header=BB4_678 Depth=4
	s_or_b32 exec_lo, exec_lo, s94
	s_clause 0x1
	scratch_load_u16 v15, off, s33 offset:144
	scratch_load_u16 v17, off, s33 offset:176
	s_wait_loadcnt 0x0
	v_dual_lshlrev_b32 v15, 16, v15 :: v_dual_lshlrev_b32 v17, 16, v17
	s_delay_alu instid0(VALU_DEP_1) | instskip(NEXT) | instid1(VALU_DEP_1)
	v_mul_f32_e32 v17, v17, v15
	v_and_b32_e32 v15, 0x7f800000, v17
	s_delay_alu instid0(VALU_DEP_1) | instskip(SKIP_2) | instid1(SALU_CYCLE_1)
	v_cmp_ne_u32_e32 vcc_lo, 0x7f800000, v15
                                        ; implicit-def: $vgpr15
	s_wait_xcnt 0x0
	s_and_saveexec_b32 s13, vcc_lo
	s_xor_b32 s13, exec_lo, s13
; %bb.690:                              ;   in Loop: Header=BB4_678 Depth=4
	v_bfe_u32 v15, v17, 16, 1
	s_delay_alu instid0(VALU_DEP_1)
	v_add3_u32 v15, v17, v15, 0x7fff
                                        ; implicit-def: $vgpr17
; %bb.691:                              ;   in Loop: Header=BB4_678 Depth=4
	s_and_not1_saveexec_b32 s13, s13
	s_cbranch_execz .LBB4_677
; %bb.692:                              ;   in Loop: Header=BB4_678 Depth=4
	v_and_b32_e32 v15, 0xffff, v17
	v_or_b32_e32 v19, 0x10000, v17
	s_delay_alu instid0(VALU_DEP_2) | instskip(NEXT) | instid1(VALU_DEP_2)
	v_cmp_eq_u32_e32 vcc_lo, 0, v15
	v_cndmask_b32_e32 v15, v19, v17, vcc_lo
	s_branch .LBB4_677
.LBB4_693:                              ;   in Loop: Header=BB4_307 Depth=3
	s_or_b32 exec_lo, exec_lo, s91
	s_delay_alu instid0(SALU_CYCLE_1)
	s_and_b32 exec_lo, exec_lo, s92
	s_cbranch_execz .LBB4_699
; %bb.694:                              ;   in Loop: Header=BB4_307 Depth=3
	s_clause 0x1
	scratch_load_u16 v10, off, s33 offset:140
	scratch_load_u16 v11, off, s33 offset:142
	s_wait_loadcnt 0x0
	v_dual_lshlrev_b32 v10, 16, v10 :: v_dual_lshlrev_b32 v11, 16, v11
	s_delay_alu instid0(VALU_DEP_1) | instskip(NEXT) | instid1(VALU_DEP_1)
	v_mul_f32_e32 v10, v11, v10
	v_and_b32_e32 v11, 0x7f800000, v10
	s_delay_alu instid0(VALU_DEP_1) | instskip(SKIP_2) | instid1(SALU_CYCLE_1)
	v_cmp_ne_u32_e32 vcc_lo, 0x7f800000, v11
                                        ; implicit-def: $vgpr11
	s_wait_xcnt 0x0
	s_and_saveexec_b32 s13, vcc_lo
	s_xor_b32 s13, exec_lo, s13
; %bb.695:                              ;   in Loop: Header=BB4_307 Depth=3
	v_bfe_u32 v11, v10, 16, 1
	s_delay_alu instid0(VALU_DEP_1)
	v_add3_u32 v11, v10, v11, 0x7fff
                                        ; implicit-def: $vgpr10
; %bb.696:                              ;   in Loop: Header=BB4_307 Depth=3
	s_and_not1_saveexec_b32 s13, s13
; %bb.697:                              ;   in Loop: Header=BB4_307 Depth=3
	v_and_b32_e32 v11, 0xffff, v10
	v_or_b32_e32 v12, 0x10000, v10
	s_delay_alu instid0(VALU_DEP_2) | instskip(NEXT) | instid1(VALU_DEP_2)
	v_cmp_eq_u32_e32 vcc_lo, 0, v11
	v_cndmask_b32_e32 v11, v12, v10, vcc_lo
; %bb.698:                              ;   in Loop: Header=BB4_307 Depth=3
	s_or_b32 exec_lo, exec_lo, s13
	flat_store_d16_hi_b16 v[8:9], v11 th:TH_STORE_NT
.LBB4_699:                              ;   in Loop: Header=BB4_307 Depth=3
	s_wait_xcnt 0x0
	s_or_b32 exec_lo, exec_lo, s15
	v_cmp_lt_i32_e64 s13, 0, v2
	s_and_saveexec_b32 s14, s2
	s_cbranch_execz .LBB4_382
.LBB4_700:                              ;   in Loop: Header=BB4_307 Depth=3
	s_and_saveexec_b32 s15, s3
	s_delay_alu instid0(SALU_CYCLE_1)
	s_xor_b32 s15, exec_lo, s15
	s_cbranch_execz .LBB4_715
; %bb.701:                              ;   in Loop: Header=BB4_307 Depth=3
	s_and_saveexec_b32 s40, s6
	s_cbranch_execz .LBB4_714
; %bb.702:                              ;   in Loop: Header=BB4_307 Depth=3
	s_mov_b32 s91, exec_lo
	s_mov_b32 s41, exec_lo
	v_mbcnt_lo_u32_b32 v2, s91, 0
	global_wb scope:SCOPE_DEV
	s_wait_storecnt 0x0
	s_wait_loadcnt_dscnt 0x0
	global_inv scope:SCOPE_DEV
	v_cmpx_eq_u32_e32 0, v2
	s_cbranch_execz .LBB4_704
; %bb.703:                              ;   in Loop: Header=BB4_307 Depth=3
	s_bcnt1_i32_b32 s91, s91
	s_delay_alu instid0(SALU_CYCLE_1)
	v_mov_b32_e32 v2, s91
	s_wait_loadcnt 0x0
	ds_add_u64 v0, v[2:3]
	s_trap 2
.LBB4_704:                              ;   in Loop: Header=BB4_307 Depth=3
	s_or_b32 exec_lo, exec_lo, s41
	s_trap 2
	ds_load_b64 v[8:9], v0
	s_wait_dscnt 0x0
	v_add_nc_u64_e32 v[48:49], v[48:49], v[52:53]
	s_mov_b32 s41, exec_lo
	s_delay_alu instid0(VALU_DEP_1)
	v_cmpx_lt_u64_e64 v[8:9], v[48:49]
	s_cbranch_execz .LBB4_713
; %bb.705:                              ;   in Loop: Header=BB4_307 Depth=3
	s_mov_b32 s91, 0
	s_mov_b32 s94, 0
                                        ; implicit-def: $sgpr92
                                        ; implicit-def: $sgpr93
	s_branch .LBB4_707
.LBB4_706:                              ;   in Loop: Header=BB4_707 Depth=4
	s_or_b32 exec_lo, exec_lo, vcc_hi
	s_delay_alu instid0(SALU_CYCLE_1) | instskip(NEXT) | instid1(SALU_CYCLE_1)
	s_and_b32 s95, exec_lo, vcc_lo
	s_or_b32 s91, s95, s91
	s_and_not1_b32 s92, s92, exec_lo
	s_and_b32 s95, s93, exec_lo
	s_delay_alu instid0(SALU_CYCLE_1)
	s_or_b32 s92, s92, s95
	s_and_not1_b32 exec_lo, exec_lo, s91
	s_cbranch_execz .LBB4_711
.LBB4_707:                              ;   Parent Loop BB4_47 Depth=1
                                        ;     Parent Loop BB4_304 Depth=2
                                        ;       Parent Loop BB4_307 Depth=3
                                        ; =>      This Inner Loop Header: Depth=4
	s_add_co_i32 s94, s94, 1
	s_delay_alu instid0(SALU_CYCLE_1) | instskip(SKIP_1) | instid1(SALU_CYCLE_1)
	s_cmp_lg_u32 s94, 0x2710
	s_cselect_b32 s95, -1, 0
	s_and_b32 vcc_lo, exec_lo, s95
	s_cbranch_vccz .LBB4_709
; %bb.708:                              ;   in Loop: Header=BB4_707 Depth=4
	s_mov_b32 vcc_lo, -1
	s_or_b32 s93, s93, exec_lo
	s_and_saveexec_b32 vcc_hi, s95
	s_cbranch_execz .LBB4_706
	s_branch .LBB4_710
.LBB4_709:                              ;   in Loop: Header=BB4_707 Depth=4
	s_trap 2
	ds_load_b64 v[8:9], v0
	s_and_not1_b32 s95, s95, exec_lo
	s_mov_b32 s94, 0
	s_wait_loadcnt_dscnt 0x0
	flat_load_b32 v2, v[8:9] scope:SCOPE_SYS
	s_wait_loadcnt_dscnt 0x0
	global_inv scope:SCOPE_SYS
	v_cmp_eq_u32_e32 vcc_lo, 0, v2
	s_and_b32 vcc_lo, vcc_lo, exec_lo
	s_delay_alu instid0(SALU_CYCLE_1)
	s_or_b32 s95, s95, vcc_lo
	s_mov_b32 vcc_lo, -1
	s_or_b32 s93, s93, exec_lo
	s_and_saveexec_b32 vcc_hi, s95
	s_cbranch_execz .LBB4_706
.LBB4_710:                              ;   in Loop: Header=BB4_707 Depth=4
	s_sleep 1
	s_trap 2
	ds_load_b64 v[8:9], v0
	s_wait_dscnt 0x0
	s_and_not1_b32 s93, s93, exec_lo
	v_cmp_ge_u64_e32 vcc_lo, v[8:9], v[48:49]
	s_or_not1_b32 vcc_lo, vcc_lo, exec_lo
	s_branch .LBB4_706
.LBB4_711:                              ;   in Loop: Header=BB4_307 Depth=3
	s_or_b32 exec_lo, exec_lo, s91
	s_and_saveexec_b32 s91, s92
	s_delay_alu instid0(SALU_CYCLE_1)
	s_xor_b32 s91, exec_lo, s91
	s_cbranch_execz .LBB4_713
; %bb.712:                              ;   in Loop: Header=BB4_307 Depth=3
	ds_store_b32 v0, v73
	s_trap 2
.LBB4_713:                              ;   in Loop: Header=BB4_307 Depth=3
	s_or_b32 exec_lo, exec_lo, s41
	;;#ASMSTART
	s_wakeup
	;;#ASMEND
.LBB4_714:                              ;   in Loop: Header=BB4_307 Depth=3
	s_or_b32 exec_lo, exec_lo, s40
.LBB4_715:                              ;   in Loop: Header=BB4_307 Depth=3
	s_and_not1_saveexec_b32 s15, s15
	s_cbranch_execz .LBB4_717
; %bb.716:                              ;   in Loop: Header=BB4_307 Depth=3
	global_wb scope:SCOPE_DEV
	s_wait_storecnt 0x0
	s_wait_loadcnt_dscnt 0x0
	global_inv scope:SCOPE_DEV
	s_barrier_signal -1
	s_barrier_wait -1
.LBB4_717:                              ;   in Loop: Header=BB4_307 Depth=3
	s_or_b32 exec_lo, exec_lo, s15
	s_delay_alu instid0(SALU_CYCLE_1) | instskip(SKIP_1) | instid1(SALU_CYCLE_1)
	s_or_b32 exec_lo, exec_lo, s14
                                        ; implicit-def: $vgpr2
	s_and_saveexec_b32 s14, s7
	s_xor_b32 s14, exec_lo, s14
	s_cbranch_execnz .LBB4_383
.LBB4_718:                              ;   in Loop: Header=BB4_307 Depth=3
	s_and_not1_saveexec_b32 s13, s14
	s_cbranch_execz .LBB4_737
.LBB4_719:                              ;   in Loop: Header=BB4_307 Depth=3
	s_and_saveexec_b32 s14, s3
	s_delay_alu instid0(SALU_CYCLE_1)
	s_xor_b32 s14, exec_lo, s14
	s_cbranch_execz .LBB4_734
; %bb.720:                              ;   in Loop: Header=BB4_307 Depth=3
	s_and_saveexec_b32 s15, s6
	s_cbranch_execz .LBB4_733
; %bb.721:                              ;   in Loop: Header=BB4_307 Depth=3
	s_mov_b32 s41, exec_lo
	s_mov_b32 s40, exec_lo
	v_mbcnt_lo_u32_b32 v2, s41, 0
	;;#ASMSTART
	s_waitcnt lgkmcnt(0) vmcnt(0)
	;;#ASMEND
	s_delay_alu instid0(VALU_DEP_1)
	v_cmpx_eq_u32_e32 0, v2
	s_cbranch_execz .LBB4_723
; %bb.722:                              ;   in Loop: Header=BB4_307 Depth=3
	s_bcnt1_i32_b32 s41, s41
	s_delay_alu instid0(SALU_CYCLE_1)
	v_mov_b32_e32 v2, s41
	s_wait_storecnt 0x0
	s_wait_loadcnt_dscnt 0x0
	ds_add_u64 v0, v[2:3]
	s_trap 2
.LBB4_723:                              ;   in Loop: Header=BB4_307 Depth=3
	s_or_b32 exec_lo, exec_lo, s40
	s_trap 2
	ds_load_b64 v[8:9], v0
	s_wait_dscnt 0x0
	v_add_nc_u64_e32 v[48:49], v[48:49], v[52:53]
	s_mov_b32 s40, exec_lo
	s_delay_alu instid0(VALU_DEP_1)
	v_cmpx_lt_u64_e64 v[8:9], v[48:49]
	s_cbranch_execz .LBB4_732
; %bb.724:                              ;   in Loop: Header=BB4_307 Depth=3
	s_mov_b32 s41, 0
	s_mov_b32 s93, 0
                                        ; implicit-def: $sgpr91
                                        ; implicit-def: $sgpr92
	s_branch .LBB4_726
.LBB4_725:                              ;   in Loop: Header=BB4_726 Depth=4
	s_or_b32 exec_lo, exec_lo, s95
	s_delay_alu instid0(SALU_CYCLE_1) | instskip(NEXT) | instid1(SALU_CYCLE_1)
	s_and_b32 s94, exec_lo, vcc_lo
	s_or_b32 s41, s94, s41
	s_and_not1_b32 s91, s91, exec_lo
	s_and_b32 s94, s92, exec_lo
	s_delay_alu instid0(SALU_CYCLE_1)
	s_or_b32 s91, s91, s94
	s_and_not1_b32 exec_lo, exec_lo, s41
	s_cbranch_execz .LBB4_730
.LBB4_726:                              ;   Parent Loop BB4_47 Depth=1
                                        ;     Parent Loop BB4_304 Depth=2
                                        ;       Parent Loop BB4_307 Depth=3
                                        ; =>      This Inner Loop Header: Depth=4
	s_add_co_i32 s93, s93, 1
	s_delay_alu instid0(SALU_CYCLE_1) | instskip(SKIP_1) | instid1(SALU_CYCLE_1)
	s_cmp_lg_u32 s93, 0x2710
	s_cselect_b32 s94, -1, 0
	s_and_b32 vcc_lo, exec_lo, s94
	s_cbranch_vccz .LBB4_728
; %bb.727:                              ;   in Loop: Header=BB4_726 Depth=4
	s_mov_b32 vcc_lo, -1
	s_or_b32 s92, s92, exec_lo
	s_and_saveexec_b32 s95, s94
	s_cbranch_execz .LBB4_725
	s_branch .LBB4_729
.LBB4_728:                              ;   in Loop: Header=BB4_726 Depth=4
	s_trap 2
	ds_load_b64 v[8:9], v0
	s_and_not1_b32 s94, s94, exec_lo
	s_mov_b32 s93, 0
	s_wait_storecnt 0x0
	s_wait_loadcnt_dscnt 0x0
	flat_load_b32 v2, v[8:9] scope:SCOPE_SYS
	s_wait_loadcnt_dscnt 0x0
	global_inv scope:SCOPE_SYS
	v_cmp_eq_u32_e32 vcc_lo, 0, v2
	s_and_b32 s95, vcc_lo, exec_lo
	s_delay_alu instid0(SALU_CYCLE_1)
	s_or_b32 s94, s94, s95
	s_mov_b32 vcc_lo, -1
	s_or_b32 s92, s92, exec_lo
	s_and_saveexec_b32 s95, s94
	s_cbranch_execz .LBB4_725
.LBB4_729:                              ;   in Loop: Header=BB4_726 Depth=4
	s_sleep 1
	s_trap 2
	ds_load_b64 v[8:9], v0
	s_wait_dscnt 0x0
	s_and_not1_b32 s92, s92, exec_lo
	v_cmp_ge_u64_e32 vcc_lo, v[8:9], v[48:49]
	s_or_not1_b32 vcc_lo, vcc_lo, exec_lo
	s_branch .LBB4_725
.LBB4_730:                              ;   in Loop: Header=BB4_307 Depth=3
	s_or_b32 exec_lo, exec_lo, s41
	s_and_saveexec_b32 s41, s91
	s_delay_alu instid0(SALU_CYCLE_1)
	s_xor_b32 s41, exec_lo, s41
	s_cbranch_execz .LBB4_732
; %bb.731:                              ;   in Loop: Header=BB4_307 Depth=3
	ds_store_b32 v0, v73
	s_trap 2
.LBB4_732:                              ;   in Loop: Header=BB4_307 Depth=3
	s_or_b32 exec_lo, exec_lo, s40
	;;#ASMSTART
	s_wakeup
	;;#ASMEND
.LBB4_733:                              ;   in Loop: Header=BB4_307 Depth=3
	s_or_b32 exec_lo, exec_lo, s15
.LBB4_734:                              ;   in Loop: Header=BB4_307 Depth=3
	s_and_not1_saveexec_b32 s14, s14
	s_cbranch_execz .LBB4_736
; %bb.735:                              ;   in Loop: Header=BB4_307 Depth=3
	;;#ASMSTART
	s_waitcnt lgkmcnt(0) vmcnt(0)
	;;#ASMEND
	s_barrier_signal -1
	s_barrier_wait -1
.LBB4_736:                              ;   in Loop: Header=BB4_307 Depth=3
	s_or_b32 exec_lo, exec_lo, s14
	v_and_b32_e32 v2, 16, v30
.LBB4_737:                              ;   in Loop: Header=BB4_307 Depth=3
	s_or_b32 exec_lo, exec_lo, s13
	s_delay_alu instid0(VALU_DEP_1) | instskip(SKIP_1) | instid1(SALU_CYCLE_1)
	v_cmp_ne_u32_e32 vcc_lo, 0, v2
	s_xor_b32 s13, s4, -1
	s_and_b32 s14, vcc_lo, s13
	s_delay_alu instid0(SALU_CYCLE_1)
	s_and_saveexec_b32 s13, s14
	s_cbranch_execz .LBB4_739
; %bb.738:                              ;   in Loop: Header=BB4_307 Depth=3
	global_wb scope:SCOPE_SYS
	s_wait_storecnt 0x0
	s_wait_loadcnt_dscnt 0x0
	flat_store_b32 v[38:39], v73 scope:SCOPE_SYS
.LBB4_739:                              ;   in Loop: Header=BB4_307 Depth=3
	s_wait_xcnt 0x0
	s_or_b32 exec_lo, exec_lo, s13
	v_and_b32_e32 v2, 48, v30
	s_mov_b32 s13, exec_lo
	s_delay_alu instid0(VALU_DEP_1)
	v_cmpx_ne_u32_e32 0, v2
	s_cbranch_execz .LBB4_306
; %bb.740:                              ;   in Loop: Header=BB4_307 Depth=3
	v_add_nc_u64_e32 v[114:115], 2, v[114:115]
	global_wb scope:SCOPE_SYS
	s_wait_storecnt 0x0
	s_wait_loadcnt_dscnt 0x0
	flat_store_b64 v[32:33], v[114:115] scope:SCOPE_SYS
	s_branch .LBB4_306
.LBB4_741:                              ;   in Loop: Header=BB4_304 Depth=2
	s_or_b32 exec_lo, exec_lo, s88
.LBB4_742:                              ;   in Loop: Header=BB4_304 Depth=2
	s_delay_alu instid0(SALU_CYCLE_1) | instskip(NEXT) | instid1(SALU_CYCLE_1)
	s_or_b32 exec_lo, exec_lo, s27
	s_mov_b32 s14, exec_lo
	v_cmpx_gt_i32_e32 2, v2
	s_cbranch_execz .LBB4_303
; %bb.743:                              ;   in Loop: Header=BB4_304 Depth=2
	v_cmp_eq_u32_e64 s27, 0, v2
	s_mov_b32 s15, 0
	s_branch .LBB4_745
.LBB4_744:                              ;   in Loop: Header=BB4_745 Depth=3
	s_wait_xcnt 0x0
	s_or_b32 exec_lo, exec_lo, s13
	v_add_nc_u32_e32 v18, v16, v18
	s_mov_b32 s27, 0
	s_and_not1_b32 exec_lo, exec_lo, s15
	s_cbranch_execz .LBB4_302
.LBB4_745:                              ;   Parent Loop BB4_47 Depth=1
                                        ;     Parent Loop BB4_304 Depth=2
                                        ; =>    This Loop Header: Depth=3
                                        ;         Child Loop BB4_751 Depth 4
                                        ;         Child Loop BB4_779 Depth 4
	;; [unrolled: 1-line block ×3, first 2 shown]
	s_delay_alu instid0(VALU_DEP_1) | instskip(SKIP_2) | instid1(VALU_DEP_2)
	v_sub_nc_u32_e32 v2, v60, v18
	v_and_b32_e32 v8, 12, v30
	s_mov_b32 s40, exec_lo
	v_min_i32_e32 v16, v16, v2
	s_delay_alu instid0(VALU_DEP_2)
	v_cmpx_ne_u32_e32 0, v8
	s_cbranch_execz .LBB4_771
; %bb.746:                              ;   in Loop: Header=BB4_745 Depth=3
	v_and_b32_e32 v2, 8, v30
	v_add_nc_u64_e32 v[8:9], 2, v[114:115]
	s_mov_b32 s41, exec_lo
	s_wait_loadcnt_dscnt 0x1
	s_delay_alu instid0(VALU_DEP_2) | instskip(NEXT) | instid1(VALU_DEP_1)
	v_add_nc_u64_e32 v[10:11], v[50:51], v[2:3]
	v_cmpx_lt_u64_e64 v[10:11], v[8:9]
	s_cbranch_execz .LBB4_758
; %bb.747:                              ;   in Loop: Header=BB4_745 Depth=3
	v_and_b32_e32 v10, 64, v30
	s_mov_b32 s88, 0
	s_mov_b32 s92, 0
                                        ; implicit-def: $sgpr89
                                        ; implicit-def: $sgpr90
                                        ; implicit-def: $sgpr91
	s_delay_alu instid0(VALU_DEP_1)
	v_cmp_eq_u32_e32 vcc_lo, 0, v10
	s_branch .LBB4_751
.LBB4_748:                              ;   in Loop: Header=BB4_751 Depth=4
	s_wait_loadcnt_dscnt 0x0
	v_add_nc_u64_e32 v[12:13], v[50:51], v[2:3]
	s_or_b32 s95, s95, exec_lo
	s_delay_alu instid0(VALU_DEP_1)
	v_cmp_ge_u64_e64 s13, v[12:13], v[8:9]
	s_or_not1_b32 s94, s13, exec_lo
.LBB4_749:                              ;   in Loop: Header=BB4_751 Depth=4
	s_or_b32 exec_lo, exec_lo, s30
	s_delay_alu instid0(SALU_CYCLE_1)
	s_and_not1_b32 s13, s91, exec_lo
	s_and_b32 s91, s95, exec_lo
	s_and_not1_b32 s90, s90, exec_lo
	s_and_b32 s94, s94, exec_lo
	s_or_b32 s91, s13, s91
	s_or_b32 s90, s90, s94
.LBB4_750:                              ;   in Loop: Header=BB4_751 Depth=4
	s_or_b32 exec_lo, exec_lo, s93
	s_delay_alu instid0(SALU_CYCLE_1) | instskip(NEXT) | instid1(SALU_CYCLE_1)
	s_and_b32 s13, exec_lo, s90
	s_or_b32 s88, s13, s88
	s_and_not1_b32 s13, s89, exec_lo
	s_and_b32 s89, s91, exec_lo
	s_delay_alu instid0(SALU_CYCLE_1)
	s_or_b32 s89, s13, s89
	s_and_not1_b32 exec_lo, exec_lo, s88
	s_cbranch_execz .LBB4_755
.LBB4_751:                              ;   Parent Loop BB4_47 Depth=1
                                        ;     Parent Loop BB4_304 Depth=2
                                        ;       Parent Loop BB4_745 Depth=3
                                        ; =>      This Inner Loop Header: Depth=4
	s_sleep 1
	s_wait_loadcnt_dscnt 0x0
	flat_load_b64 v[50:51], v[32:33] scope:SCOPE_SYS
	s_or_b32 s91, s91, exec_lo
	s_or_b32 s90, s90, exec_lo
                                        ; implicit-def: $vgpr10
	s_wait_xcnt 0x0
	s_and_saveexec_b32 s93, vcc_lo
	s_cbranch_execz .LBB4_750
; %bb.752:                              ;   in Loop: Header=BB4_751 Depth=4
	s_cmp_lt_i32 s92, 0x270f
	s_mov_b32 s94, -1
	s_cselect_b32 vcc_hi, -1, 0
	s_cmp_gt_i32 s92, 0x270e
	s_cbranch_scc0 .LBB4_754
; %bb.753:                              ;   in Loop: Header=BB4_751 Depth=4
	s_trap 2
	ds_load_b64 v[10:11], v0
	s_and_not1_b32 s92, vcc_hi, exec_lo
	s_mov_b32 s95, 0
	s_wait_storecnt 0x0
	s_wait_loadcnt_dscnt 0x0
	flat_load_b32 v10, v[10:11] scope:SCOPE_SYS
	s_wait_loadcnt_dscnt 0x0
	global_inv scope:SCOPE_SYS
	v_cmp_eq_u32_e64 s13, 0, v10
	s_and_b32 s13, s13, exec_lo
	s_delay_alu instid0(SALU_CYCLE_1)
	s_or_b32 vcc_hi, s92, s13
	s_mov_b32 s92, 0
	s_and_saveexec_b32 s30, vcc_hi
	s_cbranch_execz .LBB4_749
	s_branch .LBB4_748
.LBB4_754:                              ;   in Loop: Header=BB4_751 Depth=4
	s_add_co_i32 s92, s92, 1
	s_mov_b32 s95, -1
                                        ; implicit-def: $vgpr10
	s_and_saveexec_b32 s30, vcc_hi
	s_cbranch_execz .LBB4_749
	s_branch .LBB4_748
.LBB4_755:                              ;   in Loop: Header=BB4_745 Depth=3
	s_or_b32 exec_lo, exec_lo, s88
	s_xor_b32 s13, s89, -1
	s_delay_alu instid0(SALU_CYCLE_1) | instskip(NEXT) | instid1(SALU_CYCLE_1)
	s_and_saveexec_b32 s88, s13
	s_xor_b32 s13, exec_lo, s88
	s_cbranch_execz .LBB4_757
; %bb.756:                              ;   in Loop: Header=BB4_745 Depth=3
	v_or_b32_e32 v30, 64, v30
	s_wait_storecnt 0x0
	s_wait_loadcnt_dscnt 0x0
	ds_store_b32 v0, v10
	s_trap 2
.LBB4_757:                              ;   in Loop: Header=BB4_745 Depth=3
	s_or_b32 exec_lo, exec_lo, s13
.LBB4_758:                              ;   in Loop: Header=BB4_745 Depth=3
	s_delay_alu instid0(SALU_CYCLE_1) | instskip(SKIP_2) | instid1(VALU_DEP_1)
	s_or_b32 exec_lo, exec_lo, s41
	v_and_b32_e32 v10, 0x108, v30
	;;#ASMSTART
	s_wakeup
	;;#ASMEND
	v_cmp_ne_u32_e32 vcc_lo, 0x108, v10
                                        ; implicit-def: $vgpr10_vgpr11
	s_and_saveexec_b32 s13, vcc_lo
	s_delay_alu instid0(SALU_CYCLE_1)
	s_xor_b32 s13, exec_lo, s13
; %bb.759:                              ;   in Loop: Header=BB4_745 Depth=3
	v_dual_mov_b32 v11, v3 :: v_dual_bitop2_b32 v10, 7, v114 bitop3:0x40
                                        ; implicit-def: $vgpr114_vgpr115
; %bb.760:                              ;   in Loop: Header=BB4_745 Depth=3
	s_and_not1_saveexec_b32 s13, s13
	s_cbranch_execz .LBB4_762
; %bb.761:                              ;   in Loop: Header=BB4_745 Depth=3
	v_dual_ashrrev_i32 v17, 31, v16 :: v_dual_bitop2_b32 v10, 7, v114 bitop3:0x40
	v_mov_b32_e32 v11, v3
	s_delay_alu instid0(VALU_DEP_2) | instskip(NEXT) | instid1(VALU_DEP_3)
	v_mad_nc_u64_u32 v[12:13], v10, 24, v[6:7]
	v_lshlrev_b64_e32 v[14:15], 1, v[16:17]
	flat_store_b64 v[12:13], v[14:15] offset:8
.LBB4_762:                              ;   in Loop: Header=BB4_745 Depth=3
	s_wait_xcnt 0x0
	s_or_b32 exec_lo, exec_lo, s13
	v_and_b32_e32 v12, 0x100, v30
	s_mov_b32 s13, -1
	s_delay_alu instid0(VALU_DEP_1)
	v_cmp_ne_u32_e32 vcc_lo, 0, v12
                                        ; implicit-def: $vgpr12_vgpr13
	s_and_saveexec_b32 s41, vcc_lo
	s_cbranch_execz .LBB4_766
; %bb.763:                              ;   in Loop: Header=BB4_745 Depth=3
	v_mad_nc_u64_u32 v[14:15], v10, 24, v[6:7]
	s_delay_alu instid0(VALU_DEP_1)
	v_mad_u32 v15, v11, 24, v15
	flat_load_b32 v12, v[14:15]
	s_wait_loadcnt_dscnt 0x0
	v_cmp_eq_u32_e64 s13, 1, v12
	v_cmp_ne_u32_e32 vcc_lo, 1, v12
                                        ; implicit-def: $vgpr12_vgpr13
	s_wait_xcnt 0x0
	s_and_saveexec_b32 s88, s13
	s_cbranch_execz .LBB4_765
; %bb.764:                              ;   in Loop: Header=BB4_745 Depth=3
	flat_load_b32 v12, v[14:15] offset:4 scope:SCOPE_SYS
	s_wait_loadcnt_dscnt 0x0
	v_ashrrev_i32_e32 v13, 31, v12
	s_delay_alu instid0(VALU_DEP_1)
	v_lshrrev_b64 v[12:13], 1, v[12:13]
.LBB4_765:                              ;   in Loop: Header=BB4_745 Depth=3
	s_wait_xcnt 0x0
	s_or_b32 exec_lo, exec_lo, s88
	s_delay_alu instid0(SALU_CYCLE_1)
	s_or_not1_b32 s13, vcc_lo, exec_lo
.LBB4_766:                              ;   in Loop: Header=BB4_745 Depth=3
	s_or_b32 exec_lo, exec_lo, s41
	s_and_saveexec_b32 s41, s13
; %bb.767:                              ;   in Loop: Header=BB4_745 Depth=3
	v_mul_u64_e32 v[12:13], v[10:11], v[34:35]
; %bb.768:                              ;   in Loop: Header=BB4_745 Depth=3
	s_or_b32 exec_lo, exec_lo, s41
	v_cmp_eq_u32_e32 vcc_lo, 0, v2
	v_and_b32_e32 v14, 0x2000, v30
	s_delay_alu instid0(VALU_DEP_3) | instskip(SKIP_2) | instid1(VALU_DEP_1)
	v_lshl_add_u64 v[10:11], v[12:13], 1, v[36:37]
	s_mov_b32 s13, exec_lo
	v_cndmask_b32_e32 v2, 0xc8, v74, vcc_lo
	v_add_nc_u32_e32 v2, v0, v2
	ds_store_b64 v2, v[10:11] offset:584
	v_cmpx_ne_u32_e32 0, v14
	s_cbranch_execz .LBB4_770
; %bb.769:                              ;   in Loop: Header=BB4_745 Depth=3
	ds_load_b64 v[10:11], v0 offset:872
	s_wait_dscnt 0x0
	v_add_nc_u64_e32 v[10:11], 1, v[10:11]
	ds_store_b64 v0, v[10:11] offset:872
.LBB4_770:                              ;   in Loop: Header=BB4_745 Depth=3
	s_or_b32 exec_lo, exec_lo, s13
	v_mov_b64_e32 v[114:115], v[8:9]
.LBB4_771:                              ;   in Loop: Header=BB4_745 Depth=3
	s_or_b32 exec_lo, exec_lo, s40
	s_xor_b32 s13, s27, -1
	s_delay_alu instid0(SALU_CYCLE_1) | instskip(NEXT) | instid1(SALU_CYCLE_1)
	s_and_b32 s13, exec_lo, s13
	s_or_b32 s15, s13, s15
	s_and_saveexec_b32 s13, s2
	s_cbranch_execz .LBB4_790
; %bb.772:                              ;   in Loop: Header=BB4_745 Depth=3
	s_and_saveexec_b32 s27, s3
	s_delay_alu instid0(SALU_CYCLE_1)
	s_xor_b32 s27, exec_lo, s27
	s_cbranch_execz .LBB4_787
; %bb.773:                              ;   in Loop: Header=BB4_745 Depth=3
	s_and_saveexec_b32 s40, s6
	s_cbranch_execz .LBB4_786
; %bb.774:                              ;   in Loop: Header=BB4_745 Depth=3
	s_mov_b32 s88, exec_lo
	s_mov_b32 s41, exec_lo
	v_mbcnt_lo_u32_b32 v2, s88, 0
	global_wb scope:SCOPE_DEV
	s_wait_storecnt 0x0
	s_wait_loadcnt_dscnt 0x0
	global_inv scope:SCOPE_DEV
	v_cmpx_eq_u32_e32 0, v2
	s_cbranch_execz .LBB4_776
; %bb.775:                              ;   in Loop: Header=BB4_745 Depth=3
	s_bcnt1_i32_b32 s88, s88
	s_delay_alu instid0(SALU_CYCLE_1)
	v_mov_b32_e32 v2, s88
	s_wait_loadcnt 0x0
	ds_add_u64 v0, v[2:3]
	s_trap 2
.LBB4_776:                              ;   in Loop: Header=BB4_745 Depth=3
	s_or_b32 exec_lo, exec_lo, s41
	s_trap 2
	ds_load_b64 v[8:9], v0
	s_wait_dscnt 0x0
	v_add_nc_u64_e32 v[48:49], v[48:49], v[52:53]
	s_mov_b32 s41, exec_lo
	s_delay_alu instid0(VALU_DEP_1)
	v_cmpx_lt_u64_e64 v[8:9], v[48:49]
	s_cbranch_execz .LBB4_785
; %bb.777:                              ;   in Loop: Header=BB4_745 Depth=3
	s_mov_b32 s88, 0
	s_mov_b32 s91, 0
                                        ; implicit-def: $sgpr89
                                        ; implicit-def: $sgpr90
	s_branch .LBB4_779
.LBB4_778:                              ;   in Loop: Header=BB4_779 Depth=4
	s_or_b32 exec_lo, exec_lo, s93
	s_delay_alu instid0(SALU_CYCLE_1) | instskip(NEXT) | instid1(SALU_CYCLE_1)
	s_and_b32 s92, exec_lo, s94
	s_or_b32 s88, s92, s88
	s_and_not1_b32 s89, s89, exec_lo
	s_and_b32 s92, s90, exec_lo
	s_delay_alu instid0(SALU_CYCLE_1)
	s_or_b32 s89, s89, s92
	s_and_not1_b32 exec_lo, exec_lo, s88
	s_cbranch_execz .LBB4_783
.LBB4_779:                              ;   Parent Loop BB4_47 Depth=1
                                        ;     Parent Loop BB4_304 Depth=2
                                        ;       Parent Loop BB4_745 Depth=3
                                        ; =>      This Inner Loop Header: Depth=4
	s_add_co_i32 s91, s91, 1
	s_delay_alu instid0(SALU_CYCLE_1) | instskip(SKIP_1) | instid1(SALU_CYCLE_1)
	s_cmp_lg_u32 s91, 0x2710
	s_cselect_b32 s92, -1, 0
	s_and_b32 vcc_lo, exec_lo, s92
	s_cbranch_vccz .LBB4_781
; %bb.780:                              ;   in Loop: Header=BB4_779 Depth=4
	s_mov_b32 s94, -1
	s_or_b32 s90, s90, exec_lo
	s_and_saveexec_b32 s93, s92
	s_cbranch_execz .LBB4_778
	s_branch .LBB4_782
.LBB4_781:                              ;   in Loop: Header=BB4_779 Depth=4
	s_trap 2
	ds_load_b64 v[8:9], v0
	s_and_not1_b32 s92, s92, exec_lo
	s_mov_b32 s91, 0
	s_wait_loadcnt_dscnt 0x0
	flat_load_b32 v2, v[8:9] scope:SCOPE_SYS
	s_wait_loadcnt_dscnt 0x0
	global_inv scope:SCOPE_SYS
	v_cmp_eq_u32_e32 vcc_lo, 0, v2
	s_and_b32 s93, vcc_lo, exec_lo
	s_delay_alu instid0(SALU_CYCLE_1)
	s_or_b32 s92, s92, s93
	s_mov_b32 s94, -1
	s_or_b32 s90, s90, exec_lo
	s_and_saveexec_b32 s93, s92
	s_cbranch_execz .LBB4_778
.LBB4_782:                              ;   in Loop: Header=BB4_779 Depth=4
	s_sleep 1
	s_trap 2
	ds_load_b64 v[8:9], v0
	s_wait_dscnt 0x0
	s_and_not1_b32 s90, s90, exec_lo
	v_cmp_ge_u64_e32 vcc_lo, v[8:9], v[48:49]
	s_or_not1_b32 s94, vcc_lo, exec_lo
	s_branch .LBB4_778
.LBB4_783:                              ;   in Loop: Header=BB4_745 Depth=3
	s_or_b32 exec_lo, exec_lo, s88
	s_and_saveexec_b32 s88, s89
	s_delay_alu instid0(SALU_CYCLE_1)
	s_xor_b32 s88, exec_lo, s88
	s_cbranch_execz .LBB4_785
; %bb.784:                              ;   in Loop: Header=BB4_745 Depth=3
	ds_store_b32 v0, v73
	s_trap 2
.LBB4_785:                              ;   in Loop: Header=BB4_745 Depth=3
	s_or_b32 exec_lo, exec_lo, s41
	;;#ASMSTART
	s_wakeup
	;;#ASMEND
.LBB4_786:                              ;   in Loop: Header=BB4_745 Depth=3
	s_or_b32 exec_lo, exec_lo, s40
.LBB4_787:                              ;   in Loop: Header=BB4_745 Depth=3
	s_and_not1_saveexec_b32 s27, s27
	s_cbranch_execz .LBB4_789
; %bb.788:                              ;   in Loop: Header=BB4_745 Depth=3
	global_wb scope:SCOPE_DEV
	s_wait_storecnt 0x0
	s_wait_loadcnt_dscnt 0x0
	global_inv scope:SCOPE_DEV
	s_barrier_signal -1
	s_barrier_wait -1
.LBB4_789:                              ;   in Loop: Header=BB4_745 Depth=3
	s_or_b32 exec_lo, exec_lo, s27
.LBB4_790:                              ;   in Loop: Header=BB4_745 Depth=3
	s_delay_alu instid0(SALU_CYCLE_1) | instskip(SKIP_1) | instid1(SALU_CYCLE_1)
	s_or_b32 exec_lo, exec_lo, s13
                                        ; implicit-def: $vgpr2
	s_and_saveexec_b32 s13, s75
	s_xor_b32 s13, exec_lo, s13
	s_cbranch_execz .LBB4_802
; %bb.791:                              ;   in Loop: Header=BB4_745 Depth=3
	s_and_saveexec_b32 s27, s3
	s_delay_alu instid0(SALU_CYCLE_1)
	s_xor_b32 s27, exec_lo, s27
	s_cbranch_execz .LBB4_807
; %bb.792:                              ;   in Loop: Header=BB4_745 Depth=3
	s_and_saveexec_b32 s40, s6
	s_cbranch_execz .LBB4_806
; %bb.793:                              ;   in Loop: Header=BB4_745 Depth=3
	s_mov_b32 s88, exec_lo
	s_mov_b32 s41, exec_lo
	v_mbcnt_lo_u32_b32 v2, s88, 0
	;;#ASMSTART
	s_waitcnt lgkmcnt(0) vmcnt(0)
	;;#ASMEND
	s_delay_alu instid0(VALU_DEP_1)
	v_cmpx_eq_u32_e32 0, v2
	s_cbranch_execz .LBB4_795
; %bb.794:                              ;   in Loop: Header=BB4_745 Depth=3
	s_bcnt1_i32_b32 s88, s88
	s_delay_alu instid0(SALU_CYCLE_1)
	v_mov_b32_e32 v2, s88
	s_wait_storecnt 0x0
	s_wait_loadcnt_dscnt 0x0
	ds_add_u64 v0, v[2:3]
	s_trap 2
.LBB4_795:                              ;   in Loop: Header=BB4_745 Depth=3
	s_or_b32 exec_lo, exec_lo, s41
	s_trap 2
	ds_load_b64 v[8:9], v0
	s_wait_dscnt 0x0
	v_add_nc_u64_e32 v[48:49], v[48:49], v[52:53]
	s_mov_b32 s41, exec_lo
	s_delay_alu instid0(VALU_DEP_1)
	v_cmpx_lt_u64_e64 v[8:9], v[48:49]
	s_cbranch_execz .LBB4_805
; %bb.796:                              ;   in Loop: Header=BB4_745 Depth=3
	s_mov_b32 s88, 0
	s_mov_b32 s91, 0
                                        ; implicit-def: $sgpr89
                                        ; implicit-def: $sgpr90
	s_branch .LBB4_798
.LBB4_797:                              ;   in Loop: Header=BB4_798 Depth=4
	s_or_b32 exec_lo, exec_lo, s93
	s_delay_alu instid0(SALU_CYCLE_1) | instskip(NEXT) | instid1(SALU_CYCLE_1)
	s_and_b32 s92, exec_lo, s94
	s_or_b32 s88, s92, s88
	s_and_not1_b32 s89, s89, exec_lo
	s_and_b32 s92, s90, exec_lo
	s_delay_alu instid0(SALU_CYCLE_1)
	s_or_b32 s89, s89, s92
	s_and_not1_b32 exec_lo, exec_lo, s88
	s_cbranch_execz .LBB4_803
.LBB4_798:                              ;   Parent Loop BB4_47 Depth=1
                                        ;     Parent Loop BB4_304 Depth=2
                                        ;       Parent Loop BB4_745 Depth=3
                                        ; =>      This Inner Loop Header: Depth=4
	s_add_co_i32 s91, s91, 1
	s_delay_alu instid0(SALU_CYCLE_1) | instskip(SKIP_1) | instid1(SALU_CYCLE_1)
	s_cmp_lg_u32 s91, 0x2710
	s_cselect_b32 s92, -1, 0
	s_and_b32 vcc_lo, exec_lo, s92
	s_cbranch_vccz .LBB4_800
; %bb.799:                              ;   in Loop: Header=BB4_798 Depth=4
	s_mov_b32 s94, -1
	s_or_b32 s90, s90, exec_lo
	s_and_saveexec_b32 s93, s92
	s_cbranch_execz .LBB4_797
	s_branch .LBB4_801
.LBB4_800:                              ;   in Loop: Header=BB4_798 Depth=4
	s_trap 2
	ds_load_b64 v[8:9], v0
	s_and_not1_b32 s92, s92, exec_lo
	s_mov_b32 s91, 0
	s_wait_storecnt 0x0
	s_wait_loadcnt_dscnt 0x0
	flat_load_b32 v2, v[8:9] scope:SCOPE_SYS
	s_wait_loadcnt_dscnt 0x0
	global_inv scope:SCOPE_SYS
	v_cmp_eq_u32_e32 vcc_lo, 0, v2
	s_and_b32 s93, vcc_lo, exec_lo
	s_delay_alu instid0(SALU_CYCLE_1)
	s_or_b32 s92, s92, s93
	s_mov_b32 s94, -1
	s_or_b32 s90, s90, exec_lo
	s_and_saveexec_b32 s93, s92
	s_cbranch_execz .LBB4_797
.LBB4_801:                              ;   in Loop: Header=BB4_798 Depth=4
	s_sleep 1
	s_trap 2
	ds_load_b64 v[8:9], v0
	s_wait_dscnt 0x0
	s_and_not1_b32 s90, s90, exec_lo
	v_cmp_ge_u64_e32 vcc_lo, v[8:9], v[48:49]
	s_or_not1_b32 s94, vcc_lo, exec_lo
	s_branch .LBB4_797
.LBB4_802:                              ;   in Loop: Header=BB4_745 Depth=3
	s_and_not1_saveexec_b32 s27, s13
	s_cbranch_execnz .LBB4_810
	s_branch .LBB4_813
.LBB4_803:                              ;   in Loop: Header=BB4_745 Depth=3
	s_or_b32 exec_lo, exec_lo, s88
	s_and_saveexec_b32 s88, s89
	s_delay_alu instid0(SALU_CYCLE_1)
	s_xor_b32 s88, exec_lo, s88
	s_cbranch_execz .LBB4_805
; %bb.804:                              ;   in Loop: Header=BB4_745 Depth=3
	ds_store_b32 v0, v73
	s_trap 2
.LBB4_805:                              ;   in Loop: Header=BB4_745 Depth=3
	s_or_b32 exec_lo, exec_lo, s41
	;;#ASMSTART
	s_wakeup
	;;#ASMEND
.LBB4_806:                              ;   in Loop: Header=BB4_745 Depth=3
	s_or_b32 exec_lo, exec_lo, s40
.LBB4_807:                              ;   in Loop: Header=BB4_745 Depth=3
	s_and_not1_saveexec_b32 s27, s27
	s_cbranch_execz .LBB4_809
; %bb.808:                              ;   in Loop: Header=BB4_745 Depth=3
	;;#ASMSTART
	s_waitcnt lgkmcnt(0) vmcnt(0)
	;;#ASMEND
	s_barrier_signal -1
	s_barrier_wait -1
.LBB4_809:                              ;   in Loop: Header=BB4_745 Depth=3
	s_or_b32 exec_lo, exec_lo, s27
	v_and_b32_e32 v2, 16, v30
	s_and_not1_saveexec_b32 s27, s13
	s_cbranch_execz .LBB4_813
.LBB4_810:                              ;   in Loop: Header=BB4_745 Depth=3
	s_trap 2
	ds_load_b32 v2, v0
	v_cmp_lt_i32_e32 vcc_lo, 0, v16
	s_wait_dscnt 0x0
	v_readfirstlane_b32 s13, v2
	v_and_b32_e32 v2, 16, v30
	s_cmp_eq_u32 s13, 0
	s_delay_alu instid0(VALU_DEP_1) | instskip(SKIP_3) | instid1(SALU_CYCLE_1)
	v_cmp_ne_u32_e64 s13, 0, v2
	s_cselect_b32 s40, -1, 0
	v_and_b32_e32 v2, 16, v30
	s_and_b32 s40, vcc_lo, s40
	s_and_b32 s40, s13, s40
	s_delay_alu instid0(SALU_CYCLE_1)
	s_and_saveexec_b32 s13, s40
	s_cbranch_execz .LBB4_812
; %bb.811:                              ;   in Loop: Header=BB4_745 Depth=3
	v_mov_b32_e32 v2, 1
	global_wb scope:SCOPE_SYS
	s_wait_loadcnt 0x0
	s_wait_storecnt 0x0
	global_inv scope:SCOPE_SYS
.LBB4_812:                              ;   in Loop: Header=BB4_745 Depth=3
	s_or_b32 exec_lo, exec_lo, s13
.LBB4_813:                              ;   in Loop: Header=BB4_745 Depth=3
	s_delay_alu instid0(SALU_CYCLE_1) | instskip(NEXT) | instid1(VALU_DEP_1)
	s_or_b32 exec_lo, exec_lo, s27
	v_cmp_ne_u32_e32 vcc_lo, 0, v2
	s_xor_b32 s13, s4, -1
	s_delay_alu instid0(SALU_CYCLE_1) | instskip(NEXT) | instid1(SALU_CYCLE_1)
	s_and_b32 s27, vcc_lo, s13
	s_and_saveexec_b32 s13, s27
	s_cbranch_execz .LBB4_815
; %bb.814:                              ;   in Loop: Header=BB4_745 Depth=3
	global_wb scope:SCOPE_SYS
	s_wait_storecnt 0x0
	s_wait_loadcnt_dscnt 0x0
	flat_store_b32 v[38:39], v73 scope:SCOPE_SYS
.LBB4_815:                              ;   in Loop: Header=BB4_745 Depth=3
	s_wait_xcnt 0x0
	s_or_b32 exec_lo, exec_lo, s13
	v_and_b32_e32 v2, 48, v30
	s_mov_b32 s13, exec_lo
	s_delay_alu instid0(VALU_DEP_1)
	v_cmpx_ne_u32_e32 0, v2
	s_cbranch_execz .LBB4_744
; %bb.816:                              ;   in Loop: Header=BB4_745 Depth=3
	v_add_nc_u64_e32 v[114:115], 2, v[114:115]
	global_wb scope:SCOPE_SYS
	s_wait_storecnt 0x0
	s_wait_loadcnt_dscnt 0x0
	flat_store_b64 v[32:33], v[114:115] scope:SCOPE_SYS
	s_branch .LBB4_744
.LBB4_817:                              ;   in Loop: Header=BB4_47 Depth=1
	v_mul_u64_e32 v[8:9], s[16:17], v[112:113]
	v_mov_b32_e32 v18, 0
	s_delay_alu instid0(VALU_DEP_2) | instskip(NEXT) | instid1(VALU_DEP_1)
	v_sub_nc_u64_e32 v[10:11], v[116:117], v[8:9]
	v_min_i64 v[10:11], v[112:113], v[10:11]
	s_delay_alu instid0(VALU_DEP_1) | instskip(SKIP_1) | instid1(VALU_DEP_2)
	v_max_i32_e32 v88, 0, v10
	v_cmp_lt_i32_e32 vcc_lo, 0, v10
	v_add_nc_u32_e32 v2, 31, v88
	s_and_b32 s13, s77, vcc_lo
	s_delay_alu instid0(VALU_DEP_1) | instskip(NEXT) | instid1(VALU_DEP_1)
	v_lshrrev_b32_e32 v2, 1, v2
	v_and_b32_e32 v11, 0x3ffffff0, v2
	s_delay_alu instid0(VALU_DEP_1)
	v_dual_mov_b32 v2, 0 :: v_dual_max_i32 v16, s45, v11
	s_and_saveexec_b32 s18, s13
	s_cbranch_execz .LBB4_1595
; %bb.818:                              ;   in Loop: Header=BB4_47 Depth=1
	v_add_nc_u64_e32 v[8:9], v[8:9], v[118:119]
	v_mov_b32_e32 v18, 0
	s_mov_b32 s89, 1
	s_mov_b32 s88, -1
	s_mov_b32 s27, 0
	s_delay_alu instid0(VALU_DEP_2)
	v_lshlrev_b64_e32 v[20:21], 1, v[8:9]
	s_branch .LBB4_820
.LBB4_819:                              ;   in Loop: Header=BB4_820 Depth=2
	s_wait_xcnt 0x0
	s_or_b32 exec_lo, exec_lo, s13
	v_dual_add_nc_u32 v18, v16, v18 :: v_dual_mov_b32 v2, s89
	s_xor_b32 s13, s88, -1
	s_mov_b32 s88, 0
	s_mov_b32 s89, 2
	s_delay_alu instid0(VALU_DEP_1) | instskip(SKIP_1) | instid1(SALU_CYCLE_1)
	v_cmp_ge_i32_e32 vcc_lo, v18, v88
	s_or_b32 s13, s13, vcc_lo
	s_and_b32 s13, exec_lo, s13
	s_delay_alu instid0(SALU_CYCLE_1) | instskip(NEXT) | instid1(SALU_CYCLE_1)
	s_or_b32 s27, s13, s27
	s_and_not1_b32 exec_lo, exec_lo, s27
	s_cbranch_execz .LBB4_1594
.LBB4_820:                              ;   Parent Loop BB4_47 Depth=1
                                        ; =>  This Loop Header: Depth=2
                                        ;       Child Loop BB4_828 Depth 3
                                        ;       Child Loop BB4_856 Depth 3
	;; [unrolled: 1-line block ×4, first 2 shown]
                                        ;         Child Loop BB4_899 Depth 4
                                        ;         Child Loop BB4_934 Depth 4
	;; [unrolled: 1-line block ×4, first 2 shown]
                                        ;       Child Loop BB4_1013 Depth 3
                                        ;       Child Loop BB4_1018 Depth 3
                                        ;         Child Loop BB4_1019 Depth 4
                                        ;         Child Loop BB4_1054 Depth 4
	;; [unrolled: 1-line block ×4, first 2 shown]
                                        ;       Child Loop BB4_1130 Depth 3
                                        ;       Child Loop BB4_1138 Depth 3
	;; [unrolled: 1-line block ×3, first 2 shown]
                                        ;         Child Loop BB4_1200 Depth 4
                                        ;         Child Loop BB4_1207 Depth 4
	;; [unrolled: 1-line block ×4, first 2 shown]
                                        ;       Child Loop BB4_1226 Depth 3
                                        ;       Child Loop BB4_1238 Depth 3
                                        ;         Child Loop BB4_1239 Depth 4
                                        ;         Child Loop BB4_1276 Depth 4
                                        ;       Child Loop BB4_1353 Depth 3
                                        ;         Child Loop BB4_1354 Depth 4
                                        ;         Child Loop BB4_1391 Depth 4
                                        ;       Child Loop BB4_1468 Depth 3
                                        ;       Child Loop BB4_1527 Depth 3
                                        ;         Child Loop BB4_1528 Depth 4
                                        ;         Child Loop BB4_1537 Depth 4
                                        ;       Child Loop BB4_1556 Depth 3
                                        ;       Child Loop BB4_1579 Depth 3
	s_and_saveexec_b32 s13, s0
	s_cbranch_execz .LBB4_822
; %bb.821:                              ;   in Loop: Header=BB4_820 Depth=2
	s_trap 2
	ds_load_b64 v[12:13], v0
	ds_load_2addr_b64 v[8:11], v0 offset1:1
	s_wait_dscnt 0x1
	v_cmp_ne_u64_e32 vcc_lo, 0, v[12:13]
	v_ashrrev_i32_e32 v19, 31, v18
	v_add_nc_u64_e32 v[22:23], v[12:13], v[20:21]
	s_wait_dscnt 0x0
	v_add_nc_u64_e32 v[8:9], v[8:9], v[20:21]
	v_add_nc_u64_e32 v[10:11], v[10:11], v[20:21]
	v_lshlrev_b64_e32 v[14:15], 1, v[18:19]
	s_delay_alu instid0(VALU_DEP_1) | instskip(NEXT) | instid1(VALU_DEP_4)
	v_add_nc_u64_e32 v[22:23], v[22:23], v[14:15]
	v_add_nc_u64_e32 v[8:9], v[8:9], v[14:15]
	s_delay_alu instid0(VALU_DEP_4) | instskip(NEXT) | instid1(VALU_DEP_3)
	v_add_nc_u64_e32 v[10:11], v[10:11], v[14:15]
	v_dual_cndmask_b32 v13, 0, v23 :: v_dual_cndmask_b32 v12, 0, v22
	ds_store_b64 v0, v[8:9]
	ds_store_b64 v0, v[10:11]
	;; [unrolled: 1-line block ×3, first 2 shown]
.LBB4_822:                              ;   in Loop: Header=BB4_820 Depth=2
	s_or_b32 exec_lo, exec_lo, s13
	v_sub_nc_u32_e32 v2, v88, v18
	v_and_b32_e32 v8, 12, v30
	s_mov_b32 s14, exec_lo
	s_delay_alu instid0(VALU_DEP_2) | instskip(NEXT) | instid1(VALU_DEP_2)
	v_min_i32_e32 v16, v16, v2
	v_cmpx_ne_u32_e32 0, v8
	s_cbranch_execz .LBB4_848
; %bb.823:                              ;   in Loop: Header=BB4_820 Depth=2
	v_and_b32_e32 v2, 8, v30
	v_add_nc_u64_e32 v[8:9], 2, v[114:115]
	s_mov_b32 s15, exec_lo
	s_wait_loadcnt_dscnt 0x1
	s_delay_alu instid0(VALU_DEP_2) | instskip(NEXT) | instid1(VALU_DEP_1)
	v_add_nc_u64_e32 v[10:11], v[50:51], v[2:3]
	v_cmpx_lt_u64_e64 v[10:11], v[8:9]
	s_cbranch_execz .LBB4_835
; %bb.824:                              ;   in Loop: Header=BB4_820 Depth=2
	v_and_b32_e32 v10, 64, v30
	s_mov_b32 s40, 0
	s_mov_b32 s92, 0
                                        ; implicit-def: $sgpr41
                                        ; implicit-def: $sgpr90
                                        ; implicit-def: $sgpr91
	s_delay_alu instid0(VALU_DEP_1)
	v_cmp_eq_u32_e32 vcc_lo, 0, v10
	s_branch .LBB4_828
.LBB4_825:                              ;   in Loop: Header=BB4_828 Depth=3
	s_wait_loadcnt_dscnt 0x0
	v_add_nc_u64_e32 v[12:13], v[50:51], v[2:3]
	s_or_b32 s95, s95, exec_lo
	s_delay_alu instid0(VALU_DEP_1)
	v_cmp_ge_u64_e64 s13, v[12:13], v[8:9]
	s_or_not1_b32 s94, s13, exec_lo
.LBB4_826:                              ;   in Loop: Header=BB4_828 Depth=3
	s_or_b32 exec_lo, exec_lo, s30
	s_delay_alu instid0(SALU_CYCLE_1)
	s_and_not1_b32 s13, s91, exec_lo
	s_and_b32 s91, s95, exec_lo
	s_and_not1_b32 s90, s90, exec_lo
	s_and_b32 s94, s94, exec_lo
	s_or_b32 s91, s13, s91
	s_or_b32 s90, s90, s94
.LBB4_827:                              ;   in Loop: Header=BB4_828 Depth=3
	s_or_b32 exec_lo, exec_lo, s93
	s_delay_alu instid0(SALU_CYCLE_1) | instskip(NEXT) | instid1(SALU_CYCLE_1)
	s_and_b32 s13, exec_lo, s90
	s_or_b32 s40, s13, s40
	s_and_not1_b32 s13, s41, exec_lo
	s_and_b32 s41, s91, exec_lo
	s_delay_alu instid0(SALU_CYCLE_1)
	s_or_b32 s41, s13, s41
	s_and_not1_b32 exec_lo, exec_lo, s40
	s_cbranch_execz .LBB4_832
.LBB4_828:                              ;   Parent Loop BB4_47 Depth=1
                                        ;     Parent Loop BB4_820 Depth=2
                                        ; =>    This Inner Loop Header: Depth=3
	s_sleep 1
	s_wait_loadcnt_dscnt 0x0
	flat_load_b64 v[50:51], v[32:33] scope:SCOPE_SYS
	s_or_b32 s91, s91, exec_lo
	s_or_b32 s90, s90, exec_lo
                                        ; implicit-def: $vgpr10
	s_wait_xcnt 0x0
	s_and_saveexec_b32 s93, vcc_lo
	s_cbranch_execz .LBB4_827
; %bb.829:                              ;   in Loop: Header=BB4_828 Depth=3
	s_cmp_lt_i32 s92, 0x270f
	s_mov_b32 s94, -1
	s_cselect_b32 vcc_hi, -1, 0
	s_cmp_gt_i32 s92, 0x270e
	s_cbranch_scc0 .LBB4_831
; %bb.830:                              ;   in Loop: Header=BB4_828 Depth=3
	s_trap 2
	ds_load_b64 v[10:11], v0
	s_and_not1_b32 s92, vcc_hi, exec_lo
	s_mov_b32 s95, 0
	s_wait_storecnt 0x0
	s_wait_loadcnt_dscnt 0x0
	flat_load_b32 v10, v[10:11] scope:SCOPE_SYS
	s_wait_loadcnt_dscnt 0x0
	global_inv scope:SCOPE_SYS
	v_cmp_eq_u32_e64 s13, 0, v10
	s_and_b32 s13, s13, exec_lo
	s_delay_alu instid0(SALU_CYCLE_1)
	s_or_b32 vcc_hi, s92, s13
	s_mov_b32 s92, 0
	s_and_saveexec_b32 s30, vcc_hi
	s_cbranch_execz .LBB4_826
	s_branch .LBB4_825
.LBB4_831:                              ;   in Loop: Header=BB4_828 Depth=3
	s_add_co_i32 s92, s92, 1
	s_mov_b32 s95, -1
                                        ; implicit-def: $vgpr10
	s_and_saveexec_b32 s30, vcc_hi
	s_cbranch_execz .LBB4_826
	s_branch .LBB4_825
.LBB4_832:                              ;   in Loop: Header=BB4_820 Depth=2
	s_or_b32 exec_lo, exec_lo, s40
	s_xor_b32 s13, s41, -1
	s_delay_alu instid0(SALU_CYCLE_1) | instskip(NEXT) | instid1(SALU_CYCLE_1)
	s_and_saveexec_b32 s40, s13
	s_xor_b32 s13, exec_lo, s40
	s_cbranch_execz .LBB4_834
; %bb.833:                              ;   in Loop: Header=BB4_820 Depth=2
	v_or_b32_e32 v30, 64, v30
	s_wait_storecnt 0x0
	s_wait_loadcnt_dscnt 0x0
	ds_store_b32 v0, v10
	s_trap 2
.LBB4_834:                              ;   in Loop: Header=BB4_820 Depth=2
	s_or_b32 exec_lo, exec_lo, s13
.LBB4_835:                              ;   in Loop: Header=BB4_820 Depth=2
	s_delay_alu instid0(SALU_CYCLE_1) | instskip(SKIP_2) | instid1(VALU_DEP_1)
	s_or_b32 exec_lo, exec_lo, s15
	v_and_b32_e32 v10, 0x108, v30
	;;#ASMSTART
	s_wakeup
	;;#ASMEND
	v_cmp_ne_u32_e32 vcc_lo, 0x108, v10
                                        ; implicit-def: $vgpr10_vgpr11
	s_and_saveexec_b32 s13, vcc_lo
	s_delay_alu instid0(SALU_CYCLE_1)
	s_xor_b32 s13, exec_lo, s13
; %bb.836:                              ;   in Loop: Header=BB4_820 Depth=2
	v_dual_mov_b32 v11, v3 :: v_dual_bitop2_b32 v10, 7, v114 bitop3:0x40
                                        ; implicit-def: $vgpr114_vgpr115
; %bb.837:                              ;   in Loop: Header=BB4_820 Depth=2
	s_and_not1_saveexec_b32 s13, s13
	s_cbranch_execz .LBB4_839
; %bb.838:                              ;   in Loop: Header=BB4_820 Depth=2
	v_dual_ashrrev_i32 v17, 31, v16 :: v_dual_bitop2_b32 v10, 7, v114 bitop3:0x40
	v_mov_b32_e32 v11, v3
	s_delay_alu instid0(VALU_DEP_2) | instskip(NEXT) | instid1(VALU_DEP_3)
	v_mad_nc_u64_u32 v[12:13], v10, 24, v[6:7]
	v_lshlrev_b64_e32 v[14:15], 1, v[16:17]
	flat_store_b64 v[12:13], v[14:15] offset:8
.LBB4_839:                              ;   in Loop: Header=BB4_820 Depth=2
	s_wait_xcnt 0x0
	s_or_b32 exec_lo, exec_lo, s13
	v_and_b32_e32 v12, 0x100, v30
	s_mov_b32 s13, -1
	s_delay_alu instid0(VALU_DEP_1)
	v_cmp_ne_u32_e32 vcc_lo, 0, v12
                                        ; implicit-def: $vgpr12_vgpr13
	s_and_saveexec_b32 s15, vcc_lo
	s_cbranch_execz .LBB4_843
; %bb.840:                              ;   in Loop: Header=BB4_820 Depth=2
	v_mad_nc_u64_u32 v[14:15], v10, 24, v[6:7]
	s_delay_alu instid0(VALU_DEP_1)
	v_mad_u32 v15, v11, 24, v15
	flat_load_b32 v12, v[14:15]
	s_wait_loadcnt_dscnt 0x0
	v_cmp_eq_u32_e64 s13, 1, v12
	v_cmp_ne_u32_e32 vcc_lo, 1, v12
                                        ; implicit-def: $vgpr12_vgpr13
	s_wait_xcnt 0x0
	s_and_saveexec_b32 s40, s13
	s_cbranch_execz .LBB4_842
; %bb.841:                              ;   in Loop: Header=BB4_820 Depth=2
	flat_load_b32 v12, v[14:15] offset:4 scope:SCOPE_SYS
	s_wait_loadcnt_dscnt 0x0
	v_ashrrev_i32_e32 v13, 31, v12
	s_delay_alu instid0(VALU_DEP_1)
	v_lshrrev_b64 v[12:13], 1, v[12:13]
.LBB4_842:                              ;   in Loop: Header=BB4_820 Depth=2
	s_wait_xcnt 0x0
	s_or_b32 exec_lo, exec_lo, s40
	s_delay_alu instid0(SALU_CYCLE_1)
	s_or_not1_b32 s13, vcc_lo, exec_lo
.LBB4_843:                              ;   in Loop: Header=BB4_820 Depth=2
	s_or_b32 exec_lo, exec_lo, s15
	s_and_saveexec_b32 s15, s13
; %bb.844:                              ;   in Loop: Header=BB4_820 Depth=2
	v_mul_u64_e32 v[12:13], v[10:11], v[34:35]
; %bb.845:                              ;   in Loop: Header=BB4_820 Depth=2
	s_or_b32 exec_lo, exec_lo, s15
	v_cmp_eq_u32_e32 vcc_lo, 0, v2
	v_and_b32_e32 v14, 0x2000, v30
	s_delay_alu instid0(VALU_DEP_3) | instskip(SKIP_2) | instid1(VALU_DEP_1)
	v_lshl_add_u64 v[10:11], v[12:13], 1, v[36:37]
	s_mov_b32 s13, exec_lo
	v_cndmask_b32_e32 v2, 0xd0, v74, vcc_lo
	v_add_nc_u32_e32 v2, v0, v2
	ds_store_b64 v2, v[10:11] offset:584
	v_cmpx_ne_u32_e32 0, v14
	s_cbranch_execz .LBB4_847
; %bb.846:                              ;   in Loop: Header=BB4_820 Depth=2
	ds_load_b64 v[10:11], v0 offset:872
	s_wait_dscnt 0x0
	v_add_nc_u64_e32 v[10:11], 1, v[10:11]
	ds_store_b64 v0, v[10:11] offset:872
.LBB4_847:                              ;   in Loop: Header=BB4_820 Depth=2
	s_or_b32 exec_lo, exec_lo, s13
	v_mov_b64_e32 v[114:115], v[8:9]
.LBB4_848:                              ;   in Loop: Header=BB4_820 Depth=2
	s_or_b32 exec_lo, exec_lo, s14
	s_and_saveexec_b32 s13, s2
	s_cbranch_execz .LBB4_867
; %bb.849:                              ;   in Loop: Header=BB4_820 Depth=2
	s_and_saveexec_b32 s14, s3
	s_delay_alu instid0(SALU_CYCLE_1)
	s_xor_b32 s14, exec_lo, s14
	s_cbranch_execz .LBB4_864
; %bb.850:                              ;   in Loop: Header=BB4_820 Depth=2
	s_and_saveexec_b32 s15, s6
	s_cbranch_execz .LBB4_863
; %bb.851:                              ;   in Loop: Header=BB4_820 Depth=2
	s_mov_b32 s41, exec_lo
	s_mov_b32 s40, exec_lo
	v_mbcnt_lo_u32_b32 v2, s41, 0
	global_wb scope:SCOPE_DEV
	s_wait_storecnt 0x0
	s_wait_loadcnt_dscnt 0x0
	global_inv scope:SCOPE_DEV
	v_cmpx_eq_u32_e32 0, v2
	s_cbranch_execz .LBB4_853
; %bb.852:                              ;   in Loop: Header=BB4_820 Depth=2
	s_bcnt1_i32_b32 s41, s41
	s_delay_alu instid0(SALU_CYCLE_1)
	v_mov_b32_e32 v2, s41
	s_wait_loadcnt 0x0
	ds_add_u64 v0, v[2:3]
	s_trap 2
.LBB4_853:                              ;   in Loop: Header=BB4_820 Depth=2
	s_or_b32 exec_lo, exec_lo, s40
	s_trap 2
	ds_load_b64 v[8:9], v0
	s_wait_dscnt 0x0
	v_add_nc_u64_e32 v[48:49], v[48:49], v[52:53]
	s_mov_b32 s40, exec_lo
	s_delay_alu instid0(VALU_DEP_1)
	v_cmpx_lt_u64_e64 v[8:9], v[48:49]
	s_cbranch_execz .LBB4_862
; %bb.854:                              ;   in Loop: Header=BB4_820 Depth=2
	s_mov_b32 s41, 0
	s_mov_b32 s92, 0
                                        ; implicit-def: $sgpr90
                                        ; implicit-def: $sgpr91
	s_branch .LBB4_856
.LBB4_855:                              ;   in Loop: Header=BB4_856 Depth=3
	s_or_b32 exec_lo, exec_lo, s94
	s_delay_alu instid0(SALU_CYCLE_1) | instskip(NEXT) | instid1(SALU_CYCLE_1)
	s_and_b32 s93, exec_lo, s95
	s_or_b32 s41, s93, s41
	s_and_not1_b32 s90, s90, exec_lo
	s_and_b32 s93, s91, exec_lo
	s_delay_alu instid0(SALU_CYCLE_1)
	s_or_b32 s90, s90, s93
	s_and_not1_b32 exec_lo, exec_lo, s41
	s_cbranch_execz .LBB4_860
.LBB4_856:                              ;   Parent Loop BB4_47 Depth=1
                                        ;     Parent Loop BB4_820 Depth=2
                                        ; =>    This Inner Loop Header: Depth=3
	s_add_co_i32 s92, s92, 1
	s_delay_alu instid0(SALU_CYCLE_1) | instskip(SKIP_1) | instid1(SALU_CYCLE_1)
	s_cmp_lg_u32 s92, 0x2710
	s_cselect_b32 s93, -1, 0
	s_and_b32 vcc_lo, exec_lo, s93
	s_cbranch_vccz .LBB4_858
; %bb.857:                              ;   in Loop: Header=BB4_856 Depth=3
	s_mov_b32 s95, -1
	s_or_b32 s91, s91, exec_lo
	s_and_saveexec_b32 s94, s93
	s_cbranch_execz .LBB4_855
	s_branch .LBB4_859
.LBB4_858:                              ;   in Loop: Header=BB4_856 Depth=3
	s_trap 2
	ds_load_b64 v[8:9], v0
	s_and_not1_b32 s93, s93, exec_lo
	s_mov_b32 s92, 0
	s_wait_loadcnt_dscnt 0x0
	flat_load_b32 v2, v[8:9] scope:SCOPE_SYS
	s_wait_loadcnt_dscnt 0x0
	global_inv scope:SCOPE_SYS
	v_cmp_eq_u32_e32 vcc_lo, 0, v2
	s_and_b32 s94, vcc_lo, exec_lo
	s_delay_alu instid0(SALU_CYCLE_1)
	s_or_b32 s93, s93, s94
	s_mov_b32 s95, -1
	s_or_b32 s91, s91, exec_lo
	s_and_saveexec_b32 s94, s93
	s_cbranch_execz .LBB4_855
.LBB4_859:                              ;   in Loop: Header=BB4_856 Depth=3
	s_sleep 1
	s_trap 2
	ds_load_b64 v[8:9], v0
	s_wait_dscnt 0x0
	s_and_not1_b32 s91, s91, exec_lo
	v_cmp_ge_u64_e32 vcc_lo, v[8:9], v[48:49]
	s_or_not1_b32 s95, vcc_lo, exec_lo
	s_branch .LBB4_855
.LBB4_860:                              ;   in Loop: Header=BB4_820 Depth=2
	s_or_b32 exec_lo, exec_lo, s41
	s_and_saveexec_b32 s41, s90
	s_delay_alu instid0(SALU_CYCLE_1)
	s_xor_b32 s41, exec_lo, s41
	s_cbranch_execz .LBB4_862
; %bb.861:                              ;   in Loop: Header=BB4_820 Depth=2
	ds_store_b32 v0, v73
	s_trap 2
.LBB4_862:                              ;   in Loop: Header=BB4_820 Depth=2
	s_or_b32 exec_lo, exec_lo, s40
	;;#ASMSTART
	s_wakeup
	;;#ASMEND
.LBB4_863:                              ;   in Loop: Header=BB4_820 Depth=2
	s_or_b32 exec_lo, exec_lo, s15
.LBB4_864:                              ;   in Loop: Header=BB4_820 Depth=2
	s_and_not1_saveexec_b32 s14, s14
	s_cbranch_execz .LBB4_866
; %bb.865:                              ;   in Loop: Header=BB4_820 Depth=2
	global_wb scope:SCOPE_DEV
	s_wait_storecnt 0x0
	s_wait_loadcnt_dscnt 0x0
	global_inv scope:SCOPE_DEV
	s_barrier_signal -1
	s_barrier_wait -1
.LBB4_866:                              ;   in Loop: Header=BB4_820 Depth=2
	s_or_b32 exec_lo, exec_lo, s14
.LBB4_867:                              ;   in Loop: Header=BB4_820 Depth=2
	s_delay_alu instid0(SALU_CYCLE_1) | instskip(SKIP_4) | instid1(VALU_DEP_1)
	s_or_b32 exec_lo, exec_lo, s13
	s_trap 2
	ds_load_b32 v8, v0
	v_and_b32_e32 v2, 0x4000, v30
	s_xor_b32 s13, s1, -1
	v_cmp_ne_u32_e32 vcc_lo, 0, v2
	s_and_b32 s14, s13, vcc_lo
	s_delay_alu instid0(SALU_CYCLE_1)
	s_and_saveexec_b32 s13, s14
	s_cbranch_execz .LBB4_886
; %bb.868:                              ;   in Loop: Header=BB4_820 Depth=2
	s_and_saveexec_b32 s14, s3
	s_delay_alu instid0(SALU_CYCLE_1)
	s_xor_b32 s14, exec_lo, s14
	s_cbranch_execz .LBB4_883
; %bb.869:                              ;   in Loop: Header=BB4_820 Depth=2
	s_and_saveexec_b32 s15, s6
	s_cbranch_execz .LBB4_882
; %bb.870:                              ;   in Loop: Header=BB4_820 Depth=2
	s_mov_b32 s41, exec_lo
	s_mov_b32 s40, exec_lo
	v_mbcnt_lo_u32_b32 v2, s41, 0
	global_wb scope:SCOPE_DEV
	s_wait_storecnt 0x0
	s_wait_loadcnt_dscnt 0x0
	global_inv scope:SCOPE_DEV
	v_cmpx_eq_u32_e32 0, v2
	s_cbranch_execz .LBB4_872
; %bb.871:                              ;   in Loop: Header=BB4_820 Depth=2
	s_bcnt1_i32_b32 s41, s41
	s_delay_alu instid0(SALU_CYCLE_1)
	v_mov_b32_e32 v2, s41
	s_wait_loadcnt 0x0
	ds_add_u64 v0, v[2:3]
	s_trap 2
.LBB4_872:                              ;   in Loop: Header=BB4_820 Depth=2
	s_or_b32 exec_lo, exec_lo, s40
	s_trap 2
	ds_load_b64 v[10:11], v0
	s_wait_dscnt 0x0
	v_add_nc_u64_e32 v[48:49], v[48:49], v[52:53]
	s_mov_b32 s40, exec_lo
	s_delay_alu instid0(VALU_DEP_1)
	v_cmpx_lt_u64_e64 v[10:11], v[48:49]
	s_cbranch_execz .LBB4_881
; %bb.873:                              ;   in Loop: Header=BB4_820 Depth=2
	s_mov_b32 s41, 0
	s_mov_b32 s92, 0
                                        ; implicit-def: $sgpr90
                                        ; implicit-def: $sgpr91
	s_branch .LBB4_875
.LBB4_874:                              ;   in Loop: Header=BB4_875 Depth=3
	s_or_b32 exec_lo, exec_lo, s94
	s_delay_alu instid0(SALU_CYCLE_1) | instskip(NEXT) | instid1(SALU_CYCLE_1)
	s_and_b32 s93, exec_lo, s95
	s_or_b32 s41, s93, s41
	s_and_not1_b32 s90, s90, exec_lo
	s_and_b32 s93, s91, exec_lo
	s_delay_alu instid0(SALU_CYCLE_1)
	s_or_b32 s90, s90, s93
	s_and_not1_b32 exec_lo, exec_lo, s41
	s_cbranch_execz .LBB4_879
.LBB4_875:                              ;   Parent Loop BB4_47 Depth=1
                                        ;     Parent Loop BB4_820 Depth=2
                                        ; =>    This Inner Loop Header: Depth=3
	s_add_co_i32 s92, s92, 1
	s_delay_alu instid0(SALU_CYCLE_1) | instskip(SKIP_1) | instid1(SALU_CYCLE_1)
	s_cmp_lg_u32 s92, 0x2710
	s_cselect_b32 s93, -1, 0
	s_and_b32 vcc_lo, exec_lo, s93
	s_cbranch_vccz .LBB4_877
; %bb.876:                              ;   in Loop: Header=BB4_875 Depth=3
	s_mov_b32 s95, -1
	s_or_b32 s91, s91, exec_lo
	s_and_saveexec_b32 s94, s93
	s_cbranch_execz .LBB4_874
	s_branch .LBB4_878
.LBB4_877:                              ;   in Loop: Header=BB4_875 Depth=3
	s_trap 2
	ds_load_b64 v[10:11], v0
	s_and_not1_b32 s93, s93, exec_lo
	s_mov_b32 s92, 0
	s_wait_loadcnt_dscnt 0x0
	flat_load_b32 v2, v[10:11] scope:SCOPE_SYS
	s_wait_loadcnt_dscnt 0x0
	global_inv scope:SCOPE_SYS
	v_cmp_eq_u32_e32 vcc_lo, 0, v2
	s_and_b32 s94, vcc_lo, exec_lo
	s_delay_alu instid0(SALU_CYCLE_1)
	s_or_b32 s93, s93, s94
	s_mov_b32 s95, -1
	s_or_b32 s91, s91, exec_lo
	s_and_saveexec_b32 s94, s93
	s_cbranch_execz .LBB4_874
.LBB4_878:                              ;   in Loop: Header=BB4_875 Depth=3
	s_sleep 1
	s_trap 2
	ds_load_b64 v[10:11], v0
	s_wait_dscnt 0x0
	s_and_not1_b32 s91, s91, exec_lo
	v_cmp_ge_u64_e32 vcc_lo, v[10:11], v[48:49]
	s_or_not1_b32 s95, vcc_lo, exec_lo
	s_branch .LBB4_874
.LBB4_879:                              ;   in Loop: Header=BB4_820 Depth=2
	s_or_b32 exec_lo, exec_lo, s41
	s_and_saveexec_b32 s41, s90
	s_delay_alu instid0(SALU_CYCLE_1)
	s_xor_b32 s41, exec_lo, s41
	s_cbranch_execz .LBB4_881
; %bb.880:                              ;   in Loop: Header=BB4_820 Depth=2
	ds_store_b32 v0, v73
	s_trap 2
.LBB4_881:                              ;   in Loop: Header=BB4_820 Depth=2
	s_or_b32 exec_lo, exec_lo, s40
	;;#ASMSTART
	s_wakeup
	;;#ASMEND
.LBB4_882:                              ;   in Loop: Header=BB4_820 Depth=2
	s_or_b32 exec_lo, exec_lo, s15
.LBB4_883:                              ;   in Loop: Header=BB4_820 Depth=2
	s_and_not1_saveexec_b32 s14, s14
	s_cbranch_execz .LBB4_885
; %bb.884:                              ;   in Loop: Header=BB4_820 Depth=2
	global_wb scope:SCOPE_DEV
	s_wait_storecnt 0x0
	s_wait_loadcnt_dscnt 0x0
	global_inv scope:SCOPE_DEV
	s_barrier_signal -1
	s_barrier_wait -1
.LBB4_885:                              ;   in Loop: Header=BB4_820 Depth=2
	s_or_b32 exec_lo, exec_lo, s14
.LBB4_886:                              ;   in Loop: Header=BB4_820 Depth=2
	s_delay_alu instid0(SALU_CYCLE_1)
	s_or_b32 exec_lo, exec_lo, s13
	s_trap 2
	ds_load_b64 v[22:23], v0
	s_wait_dscnt 0x0
	v_cmp_eq_u64_e32 vcc_lo, 0, v[22:23]
	s_cbranch_vccnz .LBB4_975
; %bb.887:                              ;   in Loop: Header=BB4_820 Depth=2
	s_trap 2
	ds_load_b64 v[40:41], v0
	s_wait_dscnt 0x0
	v_cmp_eq_u64_e32 vcc_lo, 0, v[40:41]
	s_cbranch_vccnz .LBB4_975
; %bb.888:                              ;   in Loop: Header=BB4_820 Depth=2
	s_trap 2
	ds_load_b64 v[42:43], v0
	v_cmp_eq_u32_e32 vcc_lo, 0, v8
	s_mov_b32 s13, -1
	v_cndmask_b32_e32 v2, 0, v16, vcc_lo
	s_delay_alu instid0(VALU_DEP_1)
	v_lshlrev_b32_e32 v17, 1, v2
	s_wait_dscnt 0x0
	v_cmp_ne_u64_e32 vcc_lo, 0, v[42:43]
	s_cbranch_vccz .LBB4_1228
; %bb.889:                              ;   in Loop: Header=BB4_820 Depth=2
	s_and_saveexec_b32 s14, s12
	s_cbranch_execz .LBB4_891
; %bb.890:                              ;   in Loop: Header=BB4_820 Depth=2
	ds_load_b32 v8, v0 offset:720
	s_wait_dscnt 0x0
	v_and_b32_e32 v8, 15, v8
	s_delay_alu instid0(VALU_DEP_1)
	v_cmp_eq_u32_e32 vcc_lo, 0, v8
	s_or_not1_b32 s13, vcc_lo, exec_lo
.LBB4_891:                              ;   in Loop: Header=BB4_820 Depth=2
	s_or_b32 exec_lo, exec_lo, s14
	s_and_saveexec_b32 s14, s12
	s_cbranch_execz .LBB4_893
; %bb.892:                              ;   in Loop: Header=BB4_820 Depth=2
	ds_load_b32 v8, v0 offset:784
	s_wait_dscnt 0x0
	v_and_b32_e32 v8, 15, v8
	s_delay_alu instid0(VALU_DEP_1) | instskip(SKIP_3) | instid1(SALU_CYCLE_1)
	v_cmp_eq_u32_e32 vcc_lo, 0, v8
	s_and_b32 s15, s13, vcc_lo
	s_and_not1_b32 s13, s13, exec_lo
	s_and_b32 s15, s15, exec_lo
	s_or_b32 s13, s13, s15
.LBB4_893:                              ;   in Loop: Header=BB4_820 Depth=2
	s_or_b32 exec_lo, exec_lo, s14
	s_xor_b32 s13, s13, -1
	s_delay_alu instid0(SALU_CYCLE_1) | instskip(SKIP_1) | instid1(VALU_DEP_1)
	v_cndmask_b32_e64 v8, 0, 1, s13
	s_mov_b32 s13, -1
	v_cmp_ne_u32_e32 vcc_lo, 0, v8
	s_cbranch_vccz .LBB4_976
; %bb.894:                              ;   in Loop: Header=BB4_820 Depth=2
	s_mov_b32 s90, -1
	v_mov_b32_e32 v47, 0
	s_cbranch_execnz .LBB4_977
.LBB4_895:                              ;   in Loop: Header=BB4_820 Depth=2
	v_dual_ashrrev_i32 v8, 31, v17 :: v_dual_sub_nc_u32 v19, v17, v64
	s_trap 2
	ds_load_b64 v[44:45], v0
	v_add_nc_u64_e32 v[46:47], v[40:41], v[64:65]
	v_lshrrev_b32_e32 v8, 23, v8
	v_add_nc_u64_e32 v[56:57], v[42:43], v[64:65]
	s_mov_b32 s14, 0
	s_mov_b32 s91, exec_lo
	s_delay_alu instid0(VALU_DEP_2) | instskip(NEXT) | instid1(VALU_DEP_1)
	v_add_nc_u32_e32 v8, v17, v8
	v_and_b32_e32 v89, 0xfffffe00, v8
	s_delay_alu instid0(VALU_DEP_1) | instskip(NEXT) | instid1(VALU_DEP_1)
	v_dual_ashrrev_i32 v8, 9, v8 :: v_dual_sub_nc_u32 v90, v17, v89
	v_cmp_lt_i32_e64 s13, 15, v90
	s_delay_alu instid0(VALU_DEP_1)
	v_add_co_ci_u32_e64 v91, null, v8, v79, s13
	v_cmpx_lt_i32_e32 15, v19
	s_cbranch_execz .LBB4_979
; %bb.896:                              ;   in Loop: Header=BB4_820 Depth=2
	v_add_nc_u64_e32 v[58:59], v[22:23], v[64:65]
	s_wait_dscnt 0x0
	v_add_nc_u64_e32 v[60:61], v[44:45], v[64:65]
	s_mov_b32 s94, 0
	s_mov_b32 s92, 0
                                        ; implicit-def: $sgpr93
	s_branch .LBB4_898
.LBB4_897:                              ;   in Loop: Header=BB4_898 Depth=3
	s_or_b32 exec_lo, exec_lo, s14
	s_delay_alu instid0(VALU_DEP_2) | instskip(SKIP_3) | instid1(SALU_CYCLE_1)
	v_cmp_gt_i32_e32 vcc_lo, 16, v19
	s_or_b32 s92, vcc_lo, s92
	s_and_not1_b32 s14, s93, exec_lo
	s_and_b32 s15, s94, exec_lo
	s_or_b32 s93, s14, s15
	s_and_not1_b32 exec_lo, exec_lo, s92
	s_cbranch_execz .LBB4_978
.LBB4_898:                              ;   Parent Loop BB4_47 Depth=1
                                        ;     Parent Loop BB4_820 Depth=2
                                        ; =>    This Loop Header: Depth=3
                                        ;         Child Loop BB4_899 Depth 4
                                        ;         Child Loop BB4_934 Depth 4
	;; [unrolled: 1-line block ×4, first 2 shown]
	s_add_co_i32 s14, s33, 0x90
	s_mov_b64 s[40:41], 0
	s_mov_b32 s95, s14
	s_mov_b32 vcc_hi, -1
.LBB4_899:                              ;   Parent Loop BB4_47 Depth=1
                                        ;     Parent Loop BB4_820 Depth=2
                                        ;       Parent Loop BB4_898 Depth=3
                                        ; =>      This Inner Loop Header: Depth=4
	s_cmp_eq_u32 s40, 1
	s_cselect_b32 vcc_lo, -1, 0
	s_cmp_eq_u32 s40, 0
	v_dual_cndmask_b32 v13, v59, v61 :: v_dual_cndmask_b32 v12, v58, v60
	s_cselect_b32 s14, -1, 0
	s_and_b32 s15, exec_lo, vcc_hi
	s_mov_b64 s[40:41], 1
	s_mov_b32 vcc_hi, 0
	global_load_b128 v[8:11], v[12:13], off th:TH_LOAD_NT
	s_wait_xcnt 0x0
	v_add_nc_u64_e32 v[12:13], 0x200, v[12:13]
	s_delay_alu instid0(VALU_DEP_1)
	v_dual_cndmask_b32 v59, v59, v13, s14 :: v_dual_cndmask_b32 v58, v58, v12, s14
	v_dual_cndmask_b32 v61, v61, v13 :: v_dual_cndmask_b32 v60, v60, v12
	s_mov_b32 vcc_lo, s15
	s_wait_loadcnt 0x0
	scratch_store_b128 off, v[8:11], s95
	s_wait_xcnt 0x0
	s_mov_b32 s95, s60
	s_cbranch_vccnz .LBB4_899
; %bb.900:                              ;   in Loop: Header=BB4_898 Depth=3
	s_and_saveexec_b32 s95, s94
	s_cbranch_execz .LBB4_936
; %bb.901:                              ;   in Loop: Header=BB4_898 Depth=3
	s_clause 0x1
	scratch_load_b128 v[8:11], off, s33 offset:176
	scratch_load_b128 v[12:15], off, s33 offset:192
	s_mov_b32 s14, exec_lo
                                        ; implicit-def: $vgpr92
	s_wait_loadcnt 0x1
	v_lshlrev_b32_e32 v62, 16, v8
	s_wait_loadcnt 0x0
	v_lshlrev_b32_e32 v63, 16, v12
	s_delay_alu instid0(VALU_DEP_1) | instskip(NEXT) | instid1(VALU_DEP_1)
	v_mul_f32_e32 v62, v62, v63
	v_and_b32_e32 v63, 0x7f800000, v62
	s_wait_xcnt 0x0
	s_delay_alu instid0(VALU_DEP_1)
	v_cmpx_ne_u32_e32 0x7f800000, v63
	s_xor_b32 s14, exec_lo, s14
; %bb.902:                              ;   in Loop: Header=BB4_898 Depth=3
	v_bfe_u32 v63, v62, 16, 1
	s_delay_alu instid0(VALU_DEP_1)
	v_add3_u32 v92, v62, v63, 0x7fff
                                        ; implicit-def: $vgpr62
; %bb.903:                              ;   in Loop: Header=BB4_898 Depth=3
	s_and_not1_saveexec_b32 s14, s14
; %bb.904:                              ;   in Loop: Header=BB4_898 Depth=3
	v_and_b32_e32 v63, 0xffff, v62
	v_or_b32_e32 v92, 0x10000, v62
	s_delay_alu instid0(VALU_DEP_2) | instskip(NEXT) | instid1(VALU_DEP_2)
	v_cmp_eq_u32_e32 vcc_lo, 0, v63
	v_cndmask_b32_e32 v92, v92, v62, vcc_lo
; %bb.905:                              ;   in Loop: Header=BB4_898 Depth=3
	s_or_b32 exec_lo, exec_lo, s14
	v_and_b32_e32 v63, 0xffff0000, v12
	v_and_b32_e32 v62, 0xffff0000, v8
	s_mov_b32 s14, exec_lo
                                        ; implicit-def: $vgpr12
	s_delay_alu instid0(VALU_DEP_2) | instskip(NEXT) | instid1(VALU_DEP_1)
	v_mov_b32_e32 v8, v63
	v_pk_mul_f32 v[62:63], v[8:9], v[62:63]
	s_delay_alu instid0(VALU_DEP_1) | instskip(NEXT) | instid1(VALU_DEP_1)
	v_and_b32_e32 v8, 0x7f800000, v62
	v_cmpx_ne_u32_e32 0x7f800000, v8
	s_xor_b32 s14, exec_lo, s14
; %bb.906:                              ;   in Loop: Header=BB4_898 Depth=3
	v_bfe_u32 v8, v62, 16, 1
	s_delay_alu instid0(VALU_DEP_1)
	v_add3_u32 v12, v62, v8, 0x7fff
                                        ; implicit-def: $vgpr62_vgpr63
; %bb.907:                              ;   in Loop: Header=BB4_898 Depth=3
	s_and_not1_saveexec_b32 s14, s14
; %bb.908:                              ;   in Loop: Header=BB4_898 Depth=3
	v_and_b32_e32 v8, 0xffff, v62
	v_or_b32_e32 v12, 0x10000, v62
	s_delay_alu instid0(VALU_DEP_2) | instskip(NEXT) | instid1(VALU_DEP_2)
	v_cmp_eq_u32_e32 vcc_lo, 0, v8
	v_cndmask_b32_e32 v12, v12, v62, vcc_lo
; %bb.909:                              ;   in Loop: Header=BB4_898 Depth=3
	s_or_b32 exec_lo, exec_lo, s14
	v_lshlrev_b32_e32 v8, 16, v9
	v_lshlrev_b32_e32 v62, 16, v13
	s_delay_alu instid0(VALU_DEP_1) | instskip(NEXT) | instid1(VALU_DEP_1)
	v_mul_f32_e32 v8, v62, v8
	v_and_b32_e32 v62, 0x7f800000, v8
	s_delay_alu instid0(VALU_DEP_1) | instskip(SKIP_1) | instid1(SALU_CYCLE_1)
	v_cmp_ne_u32_e32 vcc_lo, 0x7f800000, v62
                                        ; implicit-def: $vgpr62
	s_and_saveexec_b32 s14, vcc_lo
	s_xor_b32 s14, exec_lo, s14
; %bb.910:                              ;   in Loop: Header=BB4_898 Depth=3
	v_bfe_u32 v62, v8, 16, 1
	s_delay_alu instid0(VALU_DEP_1)
	v_add3_u32 v62, v8, v62, 0x7fff
                                        ; implicit-def: $vgpr8
; %bb.911:                              ;   in Loop: Header=BB4_898 Depth=3
	s_and_not1_saveexec_b32 s14, s14
; %bb.912:                              ;   in Loop: Header=BB4_898 Depth=3
	v_and_b32_e32 v62, 0xffff, v8
	v_or_b32_e32 v63, 0x10000, v8
	s_delay_alu instid0(VALU_DEP_2) | instskip(NEXT) | instid1(VALU_DEP_2)
	v_cmp_eq_u32_e32 vcc_lo, 0, v62
	v_cndmask_b32_e32 v62, v63, v8, vcc_lo
; %bb.913:                              ;   in Loop: Header=BB4_898 Depth=3
	s_or_b32 exec_lo, exec_lo, s14
	v_and_b32_e32 v95, 0xffff0000, v13
	v_and_b32_e32 v94, 0xffff0000, v9
	s_mov_b32 s14, exec_lo
                                        ; implicit-def: $vgpr13
	s_delay_alu instid0(VALU_DEP_2) | instskip(NEXT) | instid1(VALU_DEP_1)
	v_mov_b32_e32 v8, v95
	v_pk_mul_f32 v[8:9], v[8:9], v[94:95]
	s_delay_alu instid0(VALU_DEP_1) | instskip(NEXT) | instid1(VALU_DEP_1)
	v_and_b32_e32 v9, 0x7f800000, v8
	v_cmpx_ne_u32_e32 0x7f800000, v9
	s_xor_b32 s14, exec_lo, s14
; %bb.914:                              ;   in Loop: Header=BB4_898 Depth=3
	v_bfe_u32 v9, v8, 16, 1
	s_delay_alu instid0(VALU_DEP_1)
	v_add3_u32 v13, v8, v9, 0x7fff
                                        ; implicit-def: $vgpr8_vgpr9
; %bb.915:                              ;   in Loop: Header=BB4_898 Depth=3
	s_and_not1_saveexec_b32 s14, s14
; %bb.916:                              ;   in Loop: Header=BB4_898 Depth=3
	v_and_b32_e32 v9, 0xffff, v8
	v_or_b32_e32 v13, 0x10000, v8
	s_delay_alu instid0(VALU_DEP_2) | instskip(NEXT) | instid1(VALU_DEP_2)
	v_cmp_eq_u32_e32 vcc_lo, 0, v9
	v_cndmask_b32_e32 v13, v13, v8, vcc_lo
; %bb.917:                              ;   in Loop: Header=BB4_898 Depth=3
	s_or_b32 exec_lo, exec_lo, s14
	v_lshlrev_b32_e32 v8, 16, v10
	v_lshlrev_b32_e32 v9, 16, v14
	s_mov_b32 s14, exec_lo
                                        ; implicit-def: $vgpr63
	s_delay_alu instid0(VALU_DEP_1) | instskip(NEXT) | instid1(VALU_DEP_1)
	v_mul_f32_e32 v8, v9, v8
	v_and_b32_e32 v9, 0x7f800000, v8
	s_delay_alu instid0(VALU_DEP_1)
	v_cmpx_ne_u32_e32 0x7f800000, v9
	s_xor_b32 s14, exec_lo, s14
; %bb.918:                              ;   in Loop: Header=BB4_898 Depth=3
	v_bfe_u32 v9, v8, 16, 1
	s_delay_alu instid0(VALU_DEP_1)
	v_add3_u32 v63, v8, v9, 0x7fff
                                        ; implicit-def: $vgpr8
; %bb.919:                              ;   in Loop: Header=BB4_898 Depth=3
	s_and_not1_saveexec_b32 s14, s14
; %bb.920:                              ;   in Loop: Header=BB4_898 Depth=3
	v_and_b32_e32 v9, 0xffff, v8
	v_or_b32_e32 v63, 0x10000, v8
	s_delay_alu instid0(VALU_DEP_2) | instskip(NEXT) | instid1(VALU_DEP_2)
	v_cmp_eq_u32_e32 vcc_lo, 0, v9
	v_cndmask_b32_e32 v63, v63, v8, vcc_lo
; %bb.921:                              ;   in Loop: Header=BB4_898 Depth=3
	s_or_b32 exec_lo, exec_lo, s14
	v_and_b32_e32 v9, 0xffff0000, v14
	v_and_b32_e32 v8, 0xffff0000, v10
	s_mov_b32 s14, exec_lo
	s_delay_alu instid0(VALU_DEP_2) | instskip(NEXT) | instid1(VALU_DEP_1)
	v_mov_b32_e32 v10, v9
	v_pk_mul_f32 v[8:9], v[10:11], v[8:9]
                                        ; implicit-def: $vgpr10
	s_delay_alu instid0(VALU_DEP_1) | instskip(NEXT) | instid1(VALU_DEP_1)
	v_and_b32_e32 v9, 0x7f800000, v8
	v_cmpx_ne_u32_e32 0x7f800000, v9
	s_xor_b32 s14, exec_lo, s14
; %bb.922:                              ;   in Loop: Header=BB4_898 Depth=3
	v_bfe_u32 v9, v8, 16, 1
	s_delay_alu instid0(VALU_DEP_1)
	v_add3_u32 v10, v8, v9, 0x7fff
                                        ; implicit-def: $vgpr8_vgpr9
; %bb.923:                              ;   in Loop: Header=BB4_898 Depth=3
	s_and_not1_saveexec_b32 s14, s14
; %bb.924:                              ;   in Loop: Header=BB4_898 Depth=3
	v_and_b32_e32 v9, 0xffff, v8
	v_or_b32_e32 v10, 0x10000, v8
	s_delay_alu instid0(VALU_DEP_2) | instskip(NEXT) | instid1(VALU_DEP_2)
	v_cmp_eq_u32_e32 vcc_lo, 0, v9
	v_cndmask_b32_e32 v10, v10, v8, vcc_lo
; %bb.925:                              ;   in Loop: Header=BB4_898 Depth=3
	s_or_b32 exec_lo, exec_lo, s14
	v_lshlrev_b32_e32 v8, 16, v11
	v_lshlrev_b32_e32 v9, 16, v15
	s_mov_b32 s14, exec_lo
                                        ; implicit-def: $vgpr14
	s_delay_alu instid0(VALU_DEP_1) | instskip(NEXT) | instid1(VALU_DEP_1)
	v_mul_f32_e32 v8, v9, v8
	v_and_b32_e32 v9, 0x7f800000, v8
	s_delay_alu instid0(VALU_DEP_1)
	v_cmpx_ne_u32_e32 0x7f800000, v9
	s_xor_b32 s14, exec_lo, s14
; %bb.926:                              ;   in Loop: Header=BB4_898 Depth=3
	v_bfe_u32 v9, v8, 16, 1
	s_delay_alu instid0(VALU_DEP_1)
	v_add3_u32 v14, v8, v9, 0x7fff
                                        ; implicit-def: $vgpr8
; %bb.927:                              ;   in Loop: Header=BB4_898 Depth=3
	s_and_not1_saveexec_b32 s14, s14
; %bb.928:                              ;   in Loop: Header=BB4_898 Depth=3
	v_and_b32_e32 v9, 0xffff, v8
	v_or_b32_e32 v14, 0x10000, v8
	s_delay_alu instid0(VALU_DEP_2) | instskip(NEXT) | instid1(VALU_DEP_2)
	v_cmp_eq_u32_e32 vcc_lo, 0, v9
	v_cndmask_b32_e32 v14, v14, v8, vcc_lo
; %bb.929:                              ;   in Loop: Header=BB4_898 Depth=3
	s_or_b32 exec_lo, exec_lo, s14
	v_and_b32_e32 v9, 0xffff0000, v15
	v_and_b32_e32 v8, 0xffff0000, v11
	s_mov_b32 s14, exec_lo
                                        ; implicit-def: $vgpr11
	s_delay_alu instid0(VALU_DEP_2) | instskip(NEXT) | instid1(VALU_DEP_1)
	v_mov_b32_e32 v94, v9
	v_pk_mul_f32 v[8:9], v[94:95], v[8:9]
	s_delay_alu instid0(VALU_DEP_1) | instskip(NEXT) | instid1(VALU_DEP_1)
	v_and_b32_e32 v9, 0x7f800000, v8
	v_cmpx_ne_u32_e32 0x7f800000, v9
	s_xor_b32 s14, exec_lo, s14
; %bb.930:                              ;   in Loop: Header=BB4_898 Depth=3
	v_bfe_u32 v9, v8, 16, 1
	s_delay_alu instid0(VALU_DEP_1)
	v_add3_u32 v11, v8, v9, 0x7fff
                                        ; implicit-def: $vgpr8_vgpr9
; %bb.931:                              ;   in Loop: Header=BB4_898 Depth=3
	s_and_not1_saveexec_b32 s14, s14
; %bb.932:                              ;   in Loop: Header=BB4_898 Depth=3
	v_and_b32_e32 v9, 0xffff, v8
	v_or_b32_e32 v11, 0x10000, v8
	s_delay_alu instid0(VALU_DEP_2) | instskip(NEXT) | instid1(VALU_DEP_2)
	v_cmp_eq_u32_e32 vcc_lo, 0, v9
	v_cndmask_b32_e32 v11, v11, v8, vcc_lo
; %bb.933:                              ;   in Loop: Header=BB4_898 Depth=3
	s_or_b32 exec_lo, exec_lo, s14
	v_dual_lshrrev_b32 v8, 16, v62 :: v_dual_lshrrev_b32 v15, 16, v92
	v_dual_lshrrev_b32 v62, 16, v63 :: v_dual_lshrrev_b32 v14, 16, v14
	s_mov_b64 s[40:41], 0
	s_delay_alu instid0(VALU_DEP_2) | instskip(NEXT) | instid1(VALU_DEP_3)
	v_and_or_b32 v9, 0xffff0000, v13, v8
	v_and_or_b32 v8, 0xffff0000, v12, v15
	s_delay_alu instid0(VALU_DEP_3)
	v_and_or_b32 v10, 0xffff0000, v10, v62
	v_and_or_b32 v11, 0xffff0000, v11, v14
	s_mov_b32 s94, -1
	scratch_store_b128 off, v[8:11], s33 offset:176
.LBB4_934:                              ;   Parent Loop BB4_47 Depth=1
                                        ;     Parent Loop BB4_820 Depth=2
                                        ;       Parent Loop BB4_898 Depth=3
                                        ; =>      This Inner Loop Header: Depth=4
	s_cmp_eq_u32 s40, 1
	s_cselect_b32 vcc_lo, -1, 0
	s_cmp_eq_u32 s40, 0
	s_wait_xcnt 0x0
	v_dual_cndmask_b32 v13, v47, v57 :: v_dual_cndmask_b32 v12, v46, v56
	s_cselect_b32 s14, -1, 0
	s_and_b32 s15, exec_lo, s94
	s_mov_b64 s[40:41], 1
	s_mov_b32 s94, 0
	v_add_nc_u64_e32 v[14:15], 0x200, v[12:13]
	global_store_b128 v[12:13], v[8:11], off th:TH_STORE_NT
	v_dual_cndmask_b32 v57, v57, v15 :: v_dual_cndmask_b32 v56, v56, v14
	v_dual_cndmask_b32 v47, v47, v15, s14 :: v_dual_cndmask_b32 v46, v46, v14, s14
	s_mov_b32 vcc_lo, s15
	s_cbranch_vccnz .LBB4_934
; %bb.935:                              ;   in Loop: Header=BB4_898 Depth=3
	s_delay_alu instid0(VALU_DEP_1)
	v_add_nc_u64_e32 v[46:47], v[46:47], v[82:83]
	v_add_nc_u64_e32 v[56:57], v[56:57], v[82:83]
.LBB4_936:                              ;   in Loop: Header=BB4_898 Depth=3
	s_wait_xcnt 0x0
	s_or_b32 exec_lo, exec_lo, s95
	v_sub_nc_u32_e32 v19, v19, v76
	v_add_nc_u64_e32 v[58:59], v[58:59], v[82:83]
	v_add_nc_u64_e32 v[60:61], v[60:61], v[82:83]
	s_delay_alu instid0(VALU_DEP_3)
	v_cmp_lt_i32_e64 s94, 15, v19
	s_and_saveexec_b32 s95, s94
	s_cbranch_execz .LBB4_939
; %bb.937:                              ;   in Loop: Header=BB4_898 Depth=3
	s_add_co_i32 s14, s33, 0xb0
	s_mov_b64 s[40:41], 0
	s_mov_b32 vcc_hi, s14
	s_mov_b32 s30, -1
.LBB4_938:                              ;   Parent Loop BB4_47 Depth=1
                                        ;     Parent Loop BB4_820 Depth=2
                                        ;       Parent Loop BB4_898 Depth=3
                                        ; =>      This Inner Loop Header: Depth=4
	s_cmp_eq_u32 s40, 1
	s_cselect_b32 vcc_lo, -1, 0
	s_cmp_eq_u32 s40, 0
	v_dual_cndmask_b32 v13, v59, v61 :: v_dual_cndmask_b32 v12, v58, v60
	s_cselect_b32 s14, -1, 0
	s_and_b32 s15, exec_lo, s30
	s_mov_b64 s[40:41], 1
	s_mov_b32 s30, 0
	global_load_b128 v[8:11], v[12:13], off th:TH_LOAD_NT
	s_wait_xcnt 0x0
	v_add_nc_u64_e32 v[12:13], 0x200, v[12:13]
	s_delay_alu instid0(VALU_DEP_1)
	v_dual_cndmask_b32 v59, v59, v13, s14 :: v_dual_cndmask_b32 v58, v58, v12, s14
	v_dual_cndmask_b32 v61, v61, v13 :: v_dual_cndmask_b32 v60, v60, v12
	s_mov_b32 vcc_lo, s15
	s_wait_loadcnt 0x0
	scratch_store_b128 off, v[8:11], vcc_hi
	s_wait_xcnt 0x0
	s_mov_b32 vcc_hi, s59
	s_cbranch_vccnz .LBB4_938
.LBB4_939:                              ;   in Loop: Header=BB4_898 Depth=3
	s_or_b32 exec_lo, exec_lo, s95
	s_clause 0x1
	scratch_load_b128 v[8:11], off, s33 offset:144
	scratch_load_b128 v[12:15], off, s33 offset:160
	s_mov_b32 s14, exec_lo
                                        ; implicit-def: $vgpr92
	s_wait_loadcnt 0x1
	v_lshlrev_b32_e32 v62, 16, v8
	s_wait_loadcnt 0x0
	v_lshlrev_b32_e32 v63, 16, v12
	s_delay_alu instid0(VALU_DEP_1) | instskip(NEXT) | instid1(VALU_DEP_1)
	v_mul_f32_e32 v62, v62, v63
	v_and_b32_e32 v63, 0x7f800000, v62
	s_wait_xcnt 0x0
	s_delay_alu instid0(VALU_DEP_1)
	v_cmpx_ne_u32_e32 0x7f800000, v63
	s_xor_b32 s14, exec_lo, s14
; %bb.940:                              ;   in Loop: Header=BB4_898 Depth=3
	v_bfe_u32 v63, v62, 16, 1
	s_delay_alu instid0(VALU_DEP_1)
	v_add3_u32 v92, v62, v63, 0x7fff
                                        ; implicit-def: $vgpr62
; %bb.941:                              ;   in Loop: Header=BB4_898 Depth=3
	s_and_not1_saveexec_b32 s14, s14
; %bb.942:                              ;   in Loop: Header=BB4_898 Depth=3
	v_and_b32_e32 v63, 0xffff, v62
	v_or_b32_e32 v92, 0x10000, v62
	s_delay_alu instid0(VALU_DEP_2) | instskip(NEXT) | instid1(VALU_DEP_2)
	v_cmp_eq_u32_e32 vcc_lo, 0, v63
	v_cndmask_b32_e32 v92, v92, v62, vcc_lo
; %bb.943:                              ;   in Loop: Header=BB4_898 Depth=3
	s_or_b32 exec_lo, exec_lo, s14
	v_and_b32_e32 v63, 0xffff0000, v12
	v_and_b32_e32 v62, 0xffff0000, v8
	s_mov_b32 s14, exec_lo
                                        ; implicit-def: $vgpr12
	s_delay_alu instid0(VALU_DEP_2) | instskip(NEXT) | instid1(VALU_DEP_1)
	v_mov_b32_e32 v8, v63
	v_pk_mul_f32 v[62:63], v[8:9], v[62:63]
	s_delay_alu instid0(VALU_DEP_1) | instskip(NEXT) | instid1(VALU_DEP_1)
	v_and_b32_e32 v8, 0x7f800000, v62
	v_cmpx_ne_u32_e32 0x7f800000, v8
	s_xor_b32 s14, exec_lo, s14
; %bb.944:                              ;   in Loop: Header=BB4_898 Depth=3
	v_bfe_u32 v8, v62, 16, 1
	s_delay_alu instid0(VALU_DEP_1)
	v_add3_u32 v12, v62, v8, 0x7fff
                                        ; implicit-def: $vgpr62_vgpr63
; %bb.945:                              ;   in Loop: Header=BB4_898 Depth=3
	s_and_not1_saveexec_b32 s14, s14
; %bb.946:                              ;   in Loop: Header=BB4_898 Depth=3
	v_and_b32_e32 v8, 0xffff, v62
	v_or_b32_e32 v12, 0x10000, v62
	s_delay_alu instid0(VALU_DEP_2) | instskip(NEXT) | instid1(VALU_DEP_2)
	v_cmp_eq_u32_e32 vcc_lo, 0, v8
	v_cndmask_b32_e32 v12, v12, v62, vcc_lo
; %bb.947:                              ;   in Loop: Header=BB4_898 Depth=3
	s_or_b32 exec_lo, exec_lo, s14
	v_lshlrev_b32_e32 v8, 16, v9
	v_lshlrev_b32_e32 v62, 16, v13
	s_delay_alu instid0(VALU_DEP_1) | instskip(NEXT) | instid1(VALU_DEP_1)
	v_mul_f32_e32 v8, v62, v8
	v_and_b32_e32 v62, 0x7f800000, v8
	s_delay_alu instid0(VALU_DEP_1) | instskip(SKIP_1) | instid1(SALU_CYCLE_1)
	v_cmp_ne_u32_e32 vcc_lo, 0x7f800000, v62
                                        ; implicit-def: $vgpr62
	s_and_saveexec_b32 s14, vcc_lo
	s_xor_b32 s14, exec_lo, s14
; %bb.948:                              ;   in Loop: Header=BB4_898 Depth=3
	v_bfe_u32 v62, v8, 16, 1
	s_delay_alu instid0(VALU_DEP_1)
	v_add3_u32 v62, v8, v62, 0x7fff
                                        ; implicit-def: $vgpr8
; %bb.949:                              ;   in Loop: Header=BB4_898 Depth=3
	s_and_not1_saveexec_b32 s14, s14
; %bb.950:                              ;   in Loop: Header=BB4_898 Depth=3
	v_and_b32_e32 v62, 0xffff, v8
	v_or_b32_e32 v63, 0x10000, v8
	s_delay_alu instid0(VALU_DEP_2) | instskip(NEXT) | instid1(VALU_DEP_2)
	v_cmp_eq_u32_e32 vcc_lo, 0, v62
	v_cndmask_b32_e32 v62, v63, v8, vcc_lo
; %bb.951:                              ;   in Loop: Header=BB4_898 Depth=3
	s_or_b32 exec_lo, exec_lo, s14
	v_and_b32_e32 v95, 0xffff0000, v13
	v_and_b32_e32 v94, 0xffff0000, v9
	s_mov_b32 s14, exec_lo
                                        ; implicit-def: $vgpr13
	s_delay_alu instid0(VALU_DEP_2) | instskip(NEXT) | instid1(VALU_DEP_1)
	v_mov_b32_e32 v8, v95
	v_pk_mul_f32 v[8:9], v[8:9], v[94:95]
	s_delay_alu instid0(VALU_DEP_1) | instskip(NEXT) | instid1(VALU_DEP_1)
	v_and_b32_e32 v9, 0x7f800000, v8
	v_cmpx_ne_u32_e32 0x7f800000, v9
	s_xor_b32 s14, exec_lo, s14
; %bb.952:                              ;   in Loop: Header=BB4_898 Depth=3
	v_bfe_u32 v9, v8, 16, 1
	s_delay_alu instid0(VALU_DEP_1)
	v_add3_u32 v13, v8, v9, 0x7fff
                                        ; implicit-def: $vgpr8_vgpr9
; %bb.953:                              ;   in Loop: Header=BB4_898 Depth=3
	s_and_not1_saveexec_b32 s14, s14
; %bb.954:                              ;   in Loop: Header=BB4_898 Depth=3
	v_and_b32_e32 v9, 0xffff, v8
	v_or_b32_e32 v13, 0x10000, v8
	s_delay_alu instid0(VALU_DEP_2) | instskip(NEXT) | instid1(VALU_DEP_2)
	v_cmp_eq_u32_e32 vcc_lo, 0, v9
	v_cndmask_b32_e32 v13, v13, v8, vcc_lo
; %bb.955:                              ;   in Loop: Header=BB4_898 Depth=3
	s_or_b32 exec_lo, exec_lo, s14
	v_lshlrev_b32_e32 v8, 16, v10
	v_lshlrev_b32_e32 v9, 16, v14
	s_mov_b32 s14, exec_lo
                                        ; implicit-def: $vgpr63
	s_delay_alu instid0(VALU_DEP_1) | instskip(NEXT) | instid1(VALU_DEP_1)
	v_mul_f32_e32 v8, v9, v8
	v_and_b32_e32 v9, 0x7f800000, v8
	s_delay_alu instid0(VALU_DEP_1)
	v_cmpx_ne_u32_e32 0x7f800000, v9
	s_xor_b32 s14, exec_lo, s14
; %bb.956:                              ;   in Loop: Header=BB4_898 Depth=3
	v_bfe_u32 v9, v8, 16, 1
	s_delay_alu instid0(VALU_DEP_1)
	v_add3_u32 v63, v8, v9, 0x7fff
                                        ; implicit-def: $vgpr8
; %bb.957:                              ;   in Loop: Header=BB4_898 Depth=3
	s_and_not1_saveexec_b32 s14, s14
; %bb.958:                              ;   in Loop: Header=BB4_898 Depth=3
	v_and_b32_e32 v9, 0xffff, v8
	v_or_b32_e32 v63, 0x10000, v8
	s_delay_alu instid0(VALU_DEP_2) | instskip(NEXT) | instid1(VALU_DEP_2)
	v_cmp_eq_u32_e32 vcc_lo, 0, v9
	v_cndmask_b32_e32 v63, v63, v8, vcc_lo
; %bb.959:                              ;   in Loop: Header=BB4_898 Depth=3
	s_or_b32 exec_lo, exec_lo, s14
	v_and_b32_e32 v9, 0xffff0000, v14
	v_and_b32_e32 v8, 0xffff0000, v10
	s_mov_b32 s14, exec_lo
	s_delay_alu instid0(VALU_DEP_2) | instskip(NEXT) | instid1(VALU_DEP_1)
	v_mov_b32_e32 v10, v9
	v_pk_mul_f32 v[8:9], v[10:11], v[8:9]
                                        ; implicit-def: $vgpr10
	s_delay_alu instid0(VALU_DEP_1) | instskip(NEXT) | instid1(VALU_DEP_1)
	v_and_b32_e32 v9, 0x7f800000, v8
	v_cmpx_ne_u32_e32 0x7f800000, v9
	s_xor_b32 s14, exec_lo, s14
; %bb.960:                              ;   in Loop: Header=BB4_898 Depth=3
	v_bfe_u32 v9, v8, 16, 1
	s_delay_alu instid0(VALU_DEP_1)
	v_add3_u32 v10, v8, v9, 0x7fff
                                        ; implicit-def: $vgpr8_vgpr9
; %bb.961:                              ;   in Loop: Header=BB4_898 Depth=3
	s_and_not1_saveexec_b32 s14, s14
; %bb.962:                              ;   in Loop: Header=BB4_898 Depth=3
	v_and_b32_e32 v9, 0xffff, v8
	v_or_b32_e32 v10, 0x10000, v8
	s_delay_alu instid0(VALU_DEP_2) | instskip(NEXT) | instid1(VALU_DEP_2)
	v_cmp_eq_u32_e32 vcc_lo, 0, v9
	v_cndmask_b32_e32 v10, v10, v8, vcc_lo
; %bb.963:                              ;   in Loop: Header=BB4_898 Depth=3
	s_or_b32 exec_lo, exec_lo, s14
	v_lshlrev_b32_e32 v8, 16, v11
	v_lshlrev_b32_e32 v9, 16, v15
	s_mov_b32 s14, exec_lo
                                        ; implicit-def: $vgpr14
	s_delay_alu instid0(VALU_DEP_1) | instskip(NEXT) | instid1(VALU_DEP_1)
	v_mul_f32_e32 v8, v9, v8
	v_and_b32_e32 v9, 0x7f800000, v8
	s_delay_alu instid0(VALU_DEP_1)
	v_cmpx_ne_u32_e32 0x7f800000, v9
	s_xor_b32 s14, exec_lo, s14
; %bb.964:                              ;   in Loop: Header=BB4_898 Depth=3
	v_bfe_u32 v9, v8, 16, 1
	s_delay_alu instid0(VALU_DEP_1)
	v_add3_u32 v14, v8, v9, 0x7fff
                                        ; implicit-def: $vgpr8
; %bb.965:                              ;   in Loop: Header=BB4_898 Depth=3
	s_and_not1_saveexec_b32 s14, s14
; %bb.966:                              ;   in Loop: Header=BB4_898 Depth=3
	v_and_b32_e32 v9, 0xffff, v8
	v_or_b32_e32 v14, 0x10000, v8
	s_delay_alu instid0(VALU_DEP_2) | instskip(NEXT) | instid1(VALU_DEP_2)
	v_cmp_eq_u32_e32 vcc_lo, 0, v9
	v_cndmask_b32_e32 v14, v14, v8, vcc_lo
; %bb.967:                              ;   in Loop: Header=BB4_898 Depth=3
	s_or_b32 exec_lo, exec_lo, s14
	v_and_b32_e32 v9, 0xffff0000, v15
	v_and_b32_e32 v8, 0xffff0000, v11
	s_mov_b32 s14, exec_lo
                                        ; implicit-def: $vgpr11
	s_delay_alu instid0(VALU_DEP_2) | instskip(NEXT) | instid1(VALU_DEP_1)
	v_mov_b32_e32 v94, v9
	v_pk_mul_f32 v[8:9], v[94:95], v[8:9]
	s_delay_alu instid0(VALU_DEP_1) | instskip(NEXT) | instid1(VALU_DEP_1)
	v_and_b32_e32 v9, 0x7f800000, v8
	v_cmpx_ne_u32_e32 0x7f800000, v9
	s_xor_b32 s14, exec_lo, s14
; %bb.968:                              ;   in Loop: Header=BB4_898 Depth=3
	v_bfe_u32 v9, v8, 16, 1
	s_delay_alu instid0(VALU_DEP_1)
	v_add3_u32 v11, v8, v9, 0x7fff
                                        ; implicit-def: $vgpr8_vgpr9
; %bb.969:                              ;   in Loop: Header=BB4_898 Depth=3
	s_and_not1_saveexec_b32 s14, s14
; %bb.970:                              ;   in Loop: Header=BB4_898 Depth=3
	v_and_b32_e32 v9, 0xffff, v8
	v_or_b32_e32 v11, 0x10000, v8
	s_delay_alu instid0(VALU_DEP_2) | instskip(NEXT) | instid1(VALU_DEP_2)
	v_cmp_eq_u32_e32 vcc_lo, 0, v9
	v_cndmask_b32_e32 v11, v11, v8, vcc_lo
; %bb.971:                              ;   in Loop: Header=BB4_898 Depth=3
	s_or_b32 exec_lo, exec_lo, s14
	v_dual_lshrrev_b32 v8, 16, v62 :: v_dual_lshrrev_b32 v15, 16, v92
	v_dual_lshrrev_b32 v62, 16, v63 :: v_dual_lshrrev_b32 v14, 16, v14
	s_mov_b64 s[40:41], 0
	s_delay_alu instid0(VALU_DEP_2) | instskip(NEXT) | instid1(VALU_DEP_3)
	v_and_or_b32 v9, 0xffff0000, v13, v8
	v_and_or_b32 v8, 0xffff0000, v12, v15
	s_delay_alu instid0(VALU_DEP_3)
	v_and_or_b32 v10, 0xffff0000, v10, v62
	v_and_or_b32 v11, 0xffff0000, v11, v14
	s_mov_b32 s95, -1
	scratch_store_b128 off, v[8:11], s33 offset:144
.LBB4_972:                              ;   Parent Loop BB4_47 Depth=1
                                        ;     Parent Loop BB4_820 Depth=2
                                        ;       Parent Loop BB4_898 Depth=3
                                        ; =>      This Inner Loop Header: Depth=4
	s_cmp_eq_u32 s40, 1
	s_cselect_b32 vcc_lo, -1, 0
	s_cmp_eq_u32 s40, 0
	s_wait_xcnt 0x0
	v_dual_cndmask_b32 v13, v47, v57 :: v_dual_cndmask_b32 v12, v46, v56
	s_cselect_b32 s14, -1, 0
	s_and_b32 s15, exec_lo, s95
	s_mov_b64 s[40:41], 1
	s_mov_b32 s95, 0
	v_add_nc_u64_e32 v[14:15], 0x200, v[12:13]
	global_store_b128 v[12:13], v[8:11], off th:TH_STORE_NT
	v_dual_cndmask_b32 v57, v57, v15 :: v_dual_cndmask_b32 v56, v56, v14
	v_dual_cndmask_b32 v47, v47, v15, s14 :: v_dual_cndmask_b32 v46, v46, v14, s14
	s_mov_b32 vcc_lo, s15
	s_cbranch_vccnz .LBB4_972
; %bb.973:                              ;   in Loop: Header=BB4_898 Depth=3
	v_sub_nc_u32_e32 v91, v91, v52
	s_wait_xcnt 0x0
	s_and_saveexec_b32 s14, s94
	s_cbranch_execz .LBB4_897
; %bb.974:                              ;   in Loop: Header=BB4_898 Depth=3
	v_add_nc_u64_e32 v[46:47], v[46:47], v[82:83]
	v_add_nc_u64_e32 v[56:57], v[56:57], v[82:83]
	;; [unrolled: 1-line block ×4, first 2 shown]
	v_sub_nc_u32_e32 v19, v19, v76
	v_sub_nc_u32_e32 v91, v91, v52
	s_branch .LBB4_897
.LBB4_975:                              ;   in Loop: Header=BB4_820 Depth=2
	s_mov_b32 s13, 0
	s_and_saveexec_b32 s14, s2
	s_cbranch_execnz .LBB4_1549
	s_branch .LBB4_1567
.LBB4_976:                              ;   in Loop: Header=BB4_820 Depth=2
	s_mov_b32 s90, 0
	v_mov_b32_e32 v47, 0
	s_and_not1_b32 vcc_lo, exec_lo, s13
	s_cbranch_vccz .LBB4_895
.LBB4_977:                              ;   in Loop: Header=BB4_820 Depth=2
	v_dual_mov_b32 v46, v17 :: v_dual_mov_b32 v56, v0
	v_mov_b32_e32 v8, v78
	s_and_saveexec_b32 s15, s90
	s_cbranch_execnz .LBB4_1135
	s_branch .LBB4_1227
.LBB4_978:                              ;   in Loop: Header=BB4_820 Depth=2
	s_or_b32 exec_lo, exec_lo, s92
	s_delay_alu instid0(SALU_CYCLE_1)
	s_and_b32 s14, s93, exec_lo
.LBB4_979:                              ;   in Loop: Header=BB4_820 Depth=2
	s_or_b32 exec_lo, exec_lo, s91
	s_and_saveexec_b32 s91, s14
	s_cbranch_execz .LBB4_1014
; %bb.980:                              ;   in Loop: Header=BB4_820 Depth=2
	s_clause 0x1
	scratch_load_b128 v[8:11], off, s33 offset:176
	scratch_load_b128 v[12:15], off, s33 offset:192
	s_wait_loadcnt 0x1
	v_lshlrev_b32_e32 v19, 16, v8
	s_wait_loadcnt 0x0
	v_lshlrev_b32_e32 v58, 16, v12
	s_delay_alu instid0(VALU_DEP_1) | instskip(NEXT) | instid1(VALU_DEP_1)
	v_mul_f32_e32 v58, v19, v58
	v_and_b32_e32 v19, 0x7f800000, v58
	s_delay_alu instid0(VALU_DEP_1) | instskip(SKIP_2) | instid1(SALU_CYCLE_1)
	v_cmp_ne_u32_e32 vcc_lo, 0x7f800000, v19
                                        ; implicit-def: $vgpr19
	s_wait_xcnt 0x0
	s_and_saveexec_b32 s14, vcc_lo
	s_xor_b32 s14, exec_lo, s14
; %bb.981:                              ;   in Loop: Header=BB4_820 Depth=2
	v_bfe_u32 v19, v58, 16, 1
	s_delay_alu instid0(VALU_DEP_1)
	v_add3_u32 v19, v58, v19, 0x7fff
                                        ; implicit-def: $vgpr58
; %bb.982:                              ;   in Loop: Header=BB4_820 Depth=2
	s_and_not1_saveexec_b32 s14, s14
; %bb.983:                              ;   in Loop: Header=BB4_820 Depth=2
	v_and_b32_e32 v19, 0xffff, v58
	v_or_b32_e32 v59, 0x10000, v58
	s_delay_alu instid0(VALU_DEP_2) | instskip(NEXT) | instid1(VALU_DEP_2)
	v_cmp_eq_u32_e32 vcc_lo, 0, v19
	v_cndmask_b32_e32 v19, v59, v58, vcc_lo
; %bb.984:                              ;   in Loop: Header=BB4_820 Depth=2
	s_or_b32 exec_lo, exec_lo, s14
	v_and_b32_e32 v59, 0xffff0000, v12
	v_and_b32_e32 v58, 0xffff0000, v8
	s_mov_b32 s14, exec_lo
                                        ; implicit-def: $vgpr12
	s_delay_alu instid0(VALU_DEP_2) | instskip(NEXT) | instid1(VALU_DEP_1)
	v_mov_b32_e32 v8, v59
	v_pk_mul_f32 v[58:59], v[8:9], v[58:59]
	s_delay_alu instid0(VALU_DEP_1) | instskip(NEXT) | instid1(VALU_DEP_1)
	v_and_b32_e32 v8, 0x7f800000, v58
	v_cmpx_ne_u32_e32 0x7f800000, v8
	s_xor_b32 s14, exec_lo, s14
; %bb.985:                              ;   in Loop: Header=BB4_820 Depth=2
	v_bfe_u32 v8, v58, 16, 1
	s_delay_alu instid0(VALU_DEP_1)
	v_add3_u32 v12, v58, v8, 0x7fff
                                        ; implicit-def: $vgpr58_vgpr59
; %bb.986:                              ;   in Loop: Header=BB4_820 Depth=2
	s_and_not1_saveexec_b32 s14, s14
; %bb.987:                              ;   in Loop: Header=BB4_820 Depth=2
	v_and_b32_e32 v8, 0xffff, v58
	v_or_b32_e32 v12, 0x10000, v58
	s_delay_alu instid0(VALU_DEP_2) | instskip(NEXT) | instid1(VALU_DEP_2)
	v_cmp_eq_u32_e32 vcc_lo, 0, v8
	v_cndmask_b32_e32 v12, v12, v58, vcc_lo
; %bb.988:                              ;   in Loop: Header=BB4_820 Depth=2
	s_or_b32 exec_lo, exec_lo, s14
	v_lshlrev_b32_e32 v8, 16, v9
	v_lshlrev_b32_e32 v58, 16, v13
	s_delay_alu instid0(VALU_DEP_1) | instskip(NEXT) | instid1(VALU_DEP_1)
	v_mul_f32_e32 v8, v58, v8
	v_and_b32_e32 v58, 0x7f800000, v8
	s_delay_alu instid0(VALU_DEP_1) | instskip(SKIP_1) | instid1(SALU_CYCLE_1)
	v_cmp_ne_u32_e32 vcc_lo, 0x7f800000, v58
                                        ; implicit-def: $vgpr58
	s_and_saveexec_b32 s14, vcc_lo
	s_xor_b32 s14, exec_lo, s14
; %bb.989:                              ;   in Loop: Header=BB4_820 Depth=2
	v_bfe_u32 v58, v8, 16, 1
	s_delay_alu instid0(VALU_DEP_1)
	v_add3_u32 v58, v8, v58, 0x7fff
                                        ; implicit-def: $vgpr8
; %bb.990:                              ;   in Loop: Header=BB4_820 Depth=2
	s_and_not1_saveexec_b32 s14, s14
; %bb.991:                              ;   in Loop: Header=BB4_820 Depth=2
	v_and_b32_e32 v58, 0xffff, v8
	v_or_b32_e32 v59, 0x10000, v8
	s_delay_alu instid0(VALU_DEP_2) | instskip(NEXT) | instid1(VALU_DEP_2)
	v_cmp_eq_u32_e32 vcc_lo, 0, v58
	v_cndmask_b32_e32 v58, v59, v8, vcc_lo
; %bb.992:                              ;   in Loop: Header=BB4_820 Depth=2
	s_or_b32 exec_lo, exec_lo, s14
	v_and_b32_e32 v61, 0xffff0000, v13
	v_and_b32_e32 v60, 0xffff0000, v9
	s_mov_b32 s14, exec_lo
                                        ; implicit-def: $vgpr13
	s_delay_alu instid0(VALU_DEP_2) | instskip(NEXT) | instid1(VALU_DEP_1)
	v_mov_b32_e32 v8, v61
	v_pk_mul_f32 v[8:9], v[8:9], v[60:61]
	s_delay_alu instid0(VALU_DEP_1) | instskip(NEXT) | instid1(VALU_DEP_1)
	v_and_b32_e32 v9, 0x7f800000, v8
	v_cmpx_ne_u32_e32 0x7f800000, v9
	s_xor_b32 s14, exec_lo, s14
; %bb.993:                              ;   in Loop: Header=BB4_820 Depth=2
	v_bfe_u32 v9, v8, 16, 1
	s_delay_alu instid0(VALU_DEP_1)
	v_add3_u32 v13, v8, v9, 0x7fff
                                        ; implicit-def: $vgpr8_vgpr9
; %bb.994:                              ;   in Loop: Header=BB4_820 Depth=2
	s_and_not1_saveexec_b32 s14, s14
; %bb.995:                              ;   in Loop: Header=BB4_820 Depth=2
	v_and_b32_e32 v9, 0xffff, v8
	v_or_b32_e32 v13, 0x10000, v8
	s_delay_alu instid0(VALU_DEP_2) | instskip(NEXT) | instid1(VALU_DEP_2)
	v_cmp_eq_u32_e32 vcc_lo, 0, v9
	v_cndmask_b32_e32 v13, v13, v8, vcc_lo
; %bb.996:                              ;   in Loop: Header=BB4_820 Depth=2
	s_or_b32 exec_lo, exec_lo, s14
	v_lshlrev_b32_e32 v8, 16, v10
	v_lshlrev_b32_e32 v9, 16, v14
	s_mov_b32 s14, exec_lo
                                        ; implicit-def: $vgpr59
	s_delay_alu instid0(VALU_DEP_1) | instskip(NEXT) | instid1(VALU_DEP_1)
	v_mul_f32_e32 v8, v9, v8
	v_and_b32_e32 v9, 0x7f800000, v8
	s_delay_alu instid0(VALU_DEP_1)
	v_cmpx_ne_u32_e32 0x7f800000, v9
	s_xor_b32 s14, exec_lo, s14
; %bb.997:                              ;   in Loop: Header=BB4_820 Depth=2
	v_bfe_u32 v9, v8, 16, 1
	s_delay_alu instid0(VALU_DEP_1)
	v_add3_u32 v59, v8, v9, 0x7fff
                                        ; implicit-def: $vgpr8
; %bb.998:                              ;   in Loop: Header=BB4_820 Depth=2
	s_and_not1_saveexec_b32 s14, s14
; %bb.999:                              ;   in Loop: Header=BB4_820 Depth=2
	v_and_b32_e32 v9, 0xffff, v8
	v_or_b32_e32 v59, 0x10000, v8
	s_delay_alu instid0(VALU_DEP_2) | instskip(NEXT) | instid1(VALU_DEP_2)
	v_cmp_eq_u32_e32 vcc_lo, 0, v9
	v_cndmask_b32_e32 v59, v59, v8, vcc_lo
; %bb.1000:                             ;   in Loop: Header=BB4_820 Depth=2
	s_or_b32 exec_lo, exec_lo, s14
	v_and_b32_e32 v9, 0xffff0000, v14
	v_and_b32_e32 v8, 0xffff0000, v10
	s_mov_b32 s14, exec_lo
	s_delay_alu instid0(VALU_DEP_2) | instskip(NEXT) | instid1(VALU_DEP_1)
	v_mov_b32_e32 v10, v9
	v_pk_mul_f32 v[8:9], v[10:11], v[8:9]
                                        ; implicit-def: $vgpr10
	s_delay_alu instid0(VALU_DEP_1) | instskip(NEXT) | instid1(VALU_DEP_1)
	v_and_b32_e32 v9, 0x7f800000, v8
	v_cmpx_ne_u32_e32 0x7f800000, v9
	s_xor_b32 s14, exec_lo, s14
; %bb.1001:                             ;   in Loop: Header=BB4_820 Depth=2
	v_bfe_u32 v9, v8, 16, 1
	s_delay_alu instid0(VALU_DEP_1)
	v_add3_u32 v10, v8, v9, 0x7fff
                                        ; implicit-def: $vgpr8_vgpr9
; %bb.1002:                             ;   in Loop: Header=BB4_820 Depth=2
	s_and_not1_saveexec_b32 s14, s14
; %bb.1003:                             ;   in Loop: Header=BB4_820 Depth=2
	v_and_b32_e32 v9, 0xffff, v8
	v_or_b32_e32 v10, 0x10000, v8
	s_delay_alu instid0(VALU_DEP_2) | instskip(NEXT) | instid1(VALU_DEP_2)
	v_cmp_eq_u32_e32 vcc_lo, 0, v9
	v_cndmask_b32_e32 v10, v10, v8, vcc_lo
; %bb.1004:                             ;   in Loop: Header=BB4_820 Depth=2
	s_or_b32 exec_lo, exec_lo, s14
	v_lshlrev_b32_e32 v8, 16, v11
	v_lshlrev_b32_e32 v9, 16, v15
	s_mov_b32 s14, exec_lo
                                        ; implicit-def: $vgpr14
	s_delay_alu instid0(VALU_DEP_1) | instskip(NEXT) | instid1(VALU_DEP_1)
	v_mul_f32_e32 v8, v9, v8
	v_and_b32_e32 v9, 0x7f800000, v8
	s_delay_alu instid0(VALU_DEP_1)
	v_cmpx_ne_u32_e32 0x7f800000, v9
	s_xor_b32 s14, exec_lo, s14
; %bb.1005:                             ;   in Loop: Header=BB4_820 Depth=2
	v_bfe_u32 v9, v8, 16, 1
	s_delay_alu instid0(VALU_DEP_1)
	v_add3_u32 v14, v8, v9, 0x7fff
                                        ; implicit-def: $vgpr8
; %bb.1006:                             ;   in Loop: Header=BB4_820 Depth=2
	s_and_not1_saveexec_b32 s14, s14
; %bb.1007:                             ;   in Loop: Header=BB4_820 Depth=2
	v_and_b32_e32 v9, 0xffff, v8
	v_or_b32_e32 v14, 0x10000, v8
	s_delay_alu instid0(VALU_DEP_2) | instskip(NEXT) | instid1(VALU_DEP_2)
	v_cmp_eq_u32_e32 vcc_lo, 0, v9
	v_cndmask_b32_e32 v14, v14, v8, vcc_lo
; %bb.1008:                             ;   in Loop: Header=BB4_820 Depth=2
	s_or_b32 exec_lo, exec_lo, s14
	v_and_b32_e32 v9, 0xffff0000, v15
	v_and_b32_e32 v8, 0xffff0000, v11
	s_mov_b32 s14, exec_lo
                                        ; implicit-def: $vgpr11
	s_delay_alu instid0(VALU_DEP_2) | instskip(NEXT) | instid1(VALU_DEP_1)
	v_mov_b32_e32 v60, v9
	v_pk_mul_f32 v[8:9], v[60:61], v[8:9]
	s_delay_alu instid0(VALU_DEP_1) | instskip(NEXT) | instid1(VALU_DEP_1)
	v_and_b32_e32 v9, 0x7f800000, v8
	v_cmpx_ne_u32_e32 0x7f800000, v9
	s_xor_b32 s14, exec_lo, s14
; %bb.1009:                             ;   in Loop: Header=BB4_820 Depth=2
	v_bfe_u32 v9, v8, 16, 1
	s_delay_alu instid0(VALU_DEP_1)
	v_add3_u32 v11, v8, v9, 0x7fff
                                        ; implicit-def: $vgpr8_vgpr9
; %bb.1010:                             ;   in Loop: Header=BB4_820 Depth=2
	s_and_not1_saveexec_b32 s14, s14
; %bb.1011:                             ;   in Loop: Header=BB4_820 Depth=2
	v_and_b32_e32 v9, 0xffff, v8
	v_or_b32_e32 v11, 0x10000, v8
	s_delay_alu instid0(VALU_DEP_2) | instskip(NEXT) | instid1(VALU_DEP_2)
	v_cmp_eq_u32_e32 vcc_lo, 0, v9
	v_cndmask_b32_e32 v11, v11, v8, vcc_lo
; %bb.1012:                             ;   in Loop: Header=BB4_820 Depth=2
	s_or_b32 exec_lo, exec_lo, s14
	v_dual_lshrrev_b32 v8, 16, v58 :: v_dual_lshrrev_b32 v15, 16, v19
	v_dual_lshrrev_b32 v19, 16, v59 :: v_dual_lshrrev_b32 v14, 16, v14
	s_mov_b64 s[40:41], 0
	s_delay_alu instid0(VALU_DEP_2) | instskip(NEXT) | instid1(VALU_DEP_3)
	v_and_or_b32 v9, 0xffff0000, v13, v8
	v_and_or_b32 v8, 0xffff0000, v12, v15
	s_delay_alu instid0(VALU_DEP_3)
	v_and_or_b32 v10, 0xffff0000, v10, v19
	v_and_or_b32 v11, 0xffff0000, v11, v14
	s_mov_b32 s92, -1
.LBB4_1013:                             ;   Parent Loop BB4_47 Depth=1
                                        ;     Parent Loop BB4_820 Depth=2
                                        ; =>    This Inner Loop Header: Depth=3
	s_cmp_eq_u32 s40, 1
	s_cselect_b32 vcc_lo, -1, 0
	s_cmp_eq_u32 s40, 0
	s_wait_xcnt 0x0
	v_dual_cndmask_b32 v13, v47, v57 :: v_dual_cndmask_b32 v12, v46, v56
	s_cselect_b32 s14, -1, 0
	s_and_b32 s15, exec_lo, s92
	s_mov_b64 s[40:41], 1
	s_mov_b32 s92, 0
	v_add_nc_u64_e32 v[14:15], 0x200, v[12:13]
	global_store_b128 v[12:13], v[8:11], off th:TH_STORE_NT
	v_dual_cndmask_b32 v57, v57, v15 :: v_dual_cndmask_b32 v56, v56, v14
	v_dual_cndmask_b32 v47, v47, v15, s14 :: v_dual_cndmask_b32 v46, v46, v14, s14
	s_mov_b32 vcc_lo, s15
	s_cbranch_vccnz .LBB4_1013
.LBB4_1014:                             ;   in Loop: Header=BB4_820 Depth=2
	s_wait_xcnt 0x0
	s_or_b32 exec_lo, exec_lo, s91
	v_and_b32_e32 v9, 14, v17
	s_mov_b32 s91, exec_lo
                                        ; implicit-def: $vgpr46
                                        ; implicit-def: $vgpr47
                                        ; implicit-def: $vgpr56
                                        ; implicit-def: $vgpr8
	s_delay_alu instid0(VALU_DEP_1) | instskip(NEXT) | instid1(VALU_DEP_1)
	v_cndmask_b32_e64 v19, v90, v9, s13
	v_cmpx_ne_u32_e32 0, v19
	s_cbranch_execz .LBB4_1134
; %bb.1015:                             ;   in Loop: Header=BB4_820 Depth=2
	v_cmp_lt_i32_e32 vcc_lo, 0, v91
	s_mov_b32 s14, 0
	s_mov_b32 s92, exec_lo
	v_dual_sub_nc_u32 v9, v90, v9 :: v_dual_ashrrev_i32 v12, 31, v19
	s_delay_alu instid0(VALU_DEP_1) | instskip(NEXT) | instid1(VALU_DEP_1)
	v_dual_cndmask_b32 v8, 0, v52, vcc_lo :: v_dual_cndmask_b32 v9, 0, v9, s13
	v_dual_sub_nc_u32 v8, v8, v91 :: v_dual_add_nc_u32 v62, v9, v89
	s_delay_alu instid0(VALU_DEP_1) | instskip(NEXT) | instid1(VALU_DEP_1)
	v_lshl_add_u32 v8, v8, 5, v0
	v_ashrrev_i32_e32 v10, 31, v8
	s_delay_alu instid0(VALU_DEP_1) | instskip(NEXT) | instid1(VALU_DEP_1)
	v_lshrrev_b32_e32 v10, 27, v10
	v_add_nc_u32_e32 v10, v8, v10
	s_delay_alu instid0(VALU_DEP_1) | instskip(NEXT) | instid1(VALU_DEP_1)
	v_and_b32_e32 v11, 0xffffffe0, v10
	v_dual_sub_nc_u32 v63, v8, v11 :: v_dual_lshrrev_b32 v8, 23, v12
	s_delay_alu instid0(VALU_DEP_1) | instskip(NEXT) | instid1(VALU_DEP_2)
	v_dual_ashrrev_i32 v10, 5, v10 :: v_dual_lshlrev_b32 v11, 4, v63
	v_add_nc_u32_e32 v12, v19, v8
	s_delay_alu instid0(VALU_DEP_2) | instskip(NEXT) | instid1(VALU_DEP_2)
	v_lshl_add_u32 v11, v10, 9, v11
	v_and_b32_e32 v89, 0xfffffe00, v12
	s_delay_alu instid0(VALU_DEP_2) | instskip(NEXT) | instid1(VALU_DEP_1)
	v_dual_ashrrev_i32 v12, 9, v12 :: v_dual_add_nc_u32 v8, v11, v62
	v_dual_sub_nc_u32 v90, v19, v89 :: v_dual_ashrrev_i32 v9, 31, v8
	s_delay_alu instid0(VALU_DEP_1) | instskip(NEXT) | instid1(VALU_DEP_2)
	v_cmp_lt_i32_e64 s13, 15, v90
	v_add_nc_u64_e32 v[46:47], v[8:9], v[40:41]
	s_delay_alu instid0(VALU_DEP_2) | instskip(SKIP_1) | instid1(VALU_DEP_2)
	v_add_co_ci_u32_e64 v12, null, 0, v12, s13
	v_add_nc_u64_e32 v[56:57], v[8:9], v[42:43]
	v_dual_sub_nc_u32 v92, v19, v11 :: v_dual_sub_nc_u32 v91, v12, v10
	s_delay_alu instid0(VALU_DEP_1)
	v_cmpx_lt_i32_e32 15, v92
	s_cbranch_execz .LBB4_1096
; %bb.1016:                             ;   in Loop: Header=BB4_820 Depth=2
	v_add_nc_u64_e32 v[58:59], v[8:9], v[22:23]
	s_wait_dscnt 0x0
	v_add_nc_u64_e32 v[44:45], v[8:9], v[44:45]
	s_mov_b32 s95, 0
	s_mov_b32 s93, 0
                                        ; implicit-def: $sgpr94
	s_branch .LBB4_1018
.LBB4_1017:                             ;   in Loop: Header=BB4_1018 Depth=3
	s_or_b32 exec_lo, exec_lo, s14
	s_delay_alu instid0(VALU_DEP_2) | instskip(SKIP_3) | instid1(SALU_CYCLE_1)
	v_cmp_gt_i32_e32 vcc_lo, 16, v92
	s_or_b32 s93, vcc_lo, s93
	s_and_not1_b32 s14, s94, exec_lo
	s_and_b32 s15, s95, exec_lo
	s_or_b32 s94, s14, s15
	s_and_not1_b32 exec_lo, exec_lo, s93
	s_cbranch_execz .LBB4_1095
.LBB4_1018:                             ;   Parent Loop BB4_47 Depth=1
                                        ;     Parent Loop BB4_820 Depth=2
                                        ; =>    This Loop Header: Depth=3
                                        ;         Child Loop BB4_1019 Depth 4
                                        ;         Child Loop BB4_1054 Depth 4
                                        ;         Child Loop BB4_1058 Depth 4
                                        ;         Child Loop BB4_1092 Depth 4
	s_add_co_i32 s14, s33, 0x90
	s_mov_b64 s[40:41], 0
	s_mov_b32 vcc_hi, s14
	s_mov_b32 s30, -1
.LBB4_1019:                             ;   Parent Loop BB4_47 Depth=1
                                        ;     Parent Loop BB4_820 Depth=2
                                        ;       Parent Loop BB4_1018 Depth=3
                                        ; =>      This Inner Loop Header: Depth=4
	s_cmp_eq_u32 s40, 1
	s_cselect_b32 vcc_lo, -1, 0
	s_cmp_eq_u32 s40, 0
	v_dual_cndmask_b32 v13, v59, v45 :: v_dual_cndmask_b32 v12, v58, v44
	s_cselect_b32 s14, -1, 0
	s_and_b32 s15, exec_lo, s30
	s_mov_b64 s[40:41], 1
	s_mov_b32 s30, 0
	global_load_b128 v[8:11], v[12:13], off th:TH_LOAD_NT
	s_wait_xcnt 0x0
	v_add_nc_u64_e32 v[12:13], 0x200, v[12:13]
	s_delay_alu instid0(VALU_DEP_1)
	v_dual_cndmask_b32 v59, v59, v13, s14 :: v_dual_cndmask_b32 v58, v58, v12, s14
	v_dual_cndmask_b32 v45, v45, v13 :: v_dual_cndmask_b32 v44, v44, v12
	s_mov_b32 vcc_lo, s15
	s_wait_loadcnt 0x0
	scratch_store_b128 off, v[8:11], vcc_hi
	s_wait_xcnt 0x0
	s_mov_b32 vcc_hi, s62
	s_cbranch_vccnz .LBB4_1019
; %bb.1020:                             ;   in Loop: Header=BB4_1018 Depth=3
	s_and_saveexec_b32 vcc_hi, s95
	s_cbranch_execz .LBB4_1056
; %bb.1021:                             ;   in Loop: Header=BB4_1018 Depth=3
	s_clause 0x1
	scratch_load_b128 v[8:11], off, s33 offset:176
	scratch_load_b128 v[12:15], off, s33 offset:192
	s_mov_b32 s14, exec_lo
                                        ; implicit-def: $vgpr93
	s_wait_loadcnt 0x1
	v_lshlrev_b32_e32 v60, 16, v8
	s_wait_loadcnt 0x0
	v_lshlrev_b32_e32 v61, 16, v12
	s_delay_alu instid0(VALU_DEP_1) | instskip(NEXT) | instid1(VALU_DEP_1)
	v_mul_f32_e32 v60, v60, v61
	v_and_b32_e32 v61, 0x7f800000, v60
	s_wait_xcnt 0x0
	s_delay_alu instid0(VALU_DEP_1)
	v_cmpx_ne_u32_e32 0x7f800000, v61
	s_xor_b32 s14, exec_lo, s14
; %bb.1022:                             ;   in Loop: Header=BB4_1018 Depth=3
	v_bfe_u32 v61, v60, 16, 1
	s_delay_alu instid0(VALU_DEP_1)
	v_add3_u32 v93, v60, v61, 0x7fff
                                        ; implicit-def: $vgpr60
; %bb.1023:                             ;   in Loop: Header=BB4_1018 Depth=3
	s_and_not1_saveexec_b32 s14, s14
; %bb.1024:                             ;   in Loop: Header=BB4_1018 Depth=3
	v_and_b32_e32 v61, 0xffff, v60
	v_or_b32_e32 v93, 0x10000, v60
	s_delay_alu instid0(VALU_DEP_2) | instskip(NEXT) | instid1(VALU_DEP_2)
	v_cmp_eq_u32_e32 vcc_lo, 0, v61
	v_cndmask_b32_e32 v93, v93, v60, vcc_lo
; %bb.1025:                             ;   in Loop: Header=BB4_1018 Depth=3
	s_or_b32 exec_lo, exec_lo, s14
	v_and_b32_e32 v61, 0xffff0000, v12
	v_and_b32_e32 v60, 0xffff0000, v8
	s_mov_b32 s14, exec_lo
                                        ; implicit-def: $vgpr12
	s_delay_alu instid0(VALU_DEP_2) | instskip(NEXT) | instid1(VALU_DEP_1)
	v_mov_b32_e32 v8, v61
	v_pk_mul_f32 v[60:61], v[8:9], v[60:61]
	s_delay_alu instid0(VALU_DEP_1) | instskip(NEXT) | instid1(VALU_DEP_1)
	v_and_b32_e32 v8, 0x7f800000, v60
	v_cmpx_ne_u32_e32 0x7f800000, v8
	s_xor_b32 s14, exec_lo, s14
; %bb.1026:                             ;   in Loop: Header=BB4_1018 Depth=3
	v_bfe_u32 v8, v60, 16, 1
	s_delay_alu instid0(VALU_DEP_1)
	v_add3_u32 v12, v60, v8, 0x7fff
                                        ; implicit-def: $vgpr60_vgpr61
; %bb.1027:                             ;   in Loop: Header=BB4_1018 Depth=3
	s_and_not1_saveexec_b32 s14, s14
; %bb.1028:                             ;   in Loop: Header=BB4_1018 Depth=3
	v_and_b32_e32 v8, 0xffff, v60
	v_or_b32_e32 v12, 0x10000, v60
	s_delay_alu instid0(VALU_DEP_2) | instskip(NEXT) | instid1(VALU_DEP_2)
	v_cmp_eq_u32_e32 vcc_lo, 0, v8
	v_cndmask_b32_e32 v12, v12, v60, vcc_lo
; %bb.1029:                             ;   in Loop: Header=BB4_1018 Depth=3
	s_or_b32 exec_lo, exec_lo, s14
	v_lshlrev_b32_e32 v8, 16, v9
	v_lshlrev_b32_e32 v60, 16, v13
	s_delay_alu instid0(VALU_DEP_1) | instskip(NEXT) | instid1(VALU_DEP_1)
	v_mul_f32_e32 v8, v60, v8
	v_and_b32_e32 v60, 0x7f800000, v8
	s_delay_alu instid0(VALU_DEP_1) | instskip(SKIP_1) | instid1(SALU_CYCLE_1)
	v_cmp_ne_u32_e32 vcc_lo, 0x7f800000, v60
                                        ; implicit-def: $vgpr60
	s_and_saveexec_b32 s14, vcc_lo
	s_xor_b32 s14, exec_lo, s14
; %bb.1030:                             ;   in Loop: Header=BB4_1018 Depth=3
	v_bfe_u32 v60, v8, 16, 1
	s_delay_alu instid0(VALU_DEP_1)
	v_add3_u32 v60, v8, v60, 0x7fff
                                        ; implicit-def: $vgpr8
; %bb.1031:                             ;   in Loop: Header=BB4_1018 Depth=3
	s_and_not1_saveexec_b32 s14, s14
; %bb.1032:                             ;   in Loop: Header=BB4_1018 Depth=3
	v_and_b32_e32 v60, 0xffff, v8
	v_or_b32_e32 v61, 0x10000, v8
	s_delay_alu instid0(VALU_DEP_2) | instskip(NEXT) | instid1(VALU_DEP_2)
	v_cmp_eq_u32_e32 vcc_lo, 0, v60
	v_cndmask_b32_e32 v60, v61, v8, vcc_lo
; %bb.1033:                             ;   in Loop: Header=BB4_1018 Depth=3
	s_or_b32 exec_lo, exec_lo, s14
	v_and_b32_e32 v95, 0xffff0000, v13
	v_and_b32_e32 v94, 0xffff0000, v9
	s_mov_b32 s14, exec_lo
                                        ; implicit-def: $vgpr13
	s_delay_alu instid0(VALU_DEP_2) | instskip(NEXT) | instid1(VALU_DEP_1)
	v_mov_b32_e32 v8, v95
	v_pk_mul_f32 v[8:9], v[8:9], v[94:95]
	s_delay_alu instid0(VALU_DEP_1) | instskip(NEXT) | instid1(VALU_DEP_1)
	v_and_b32_e32 v9, 0x7f800000, v8
	v_cmpx_ne_u32_e32 0x7f800000, v9
	s_xor_b32 s14, exec_lo, s14
; %bb.1034:                             ;   in Loop: Header=BB4_1018 Depth=3
	v_bfe_u32 v9, v8, 16, 1
	s_delay_alu instid0(VALU_DEP_1)
	v_add3_u32 v13, v8, v9, 0x7fff
                                        ; implicit-def: $vgpr8_vgpr9
; %bb.1035:                             ;   in Loop: Header=BB4_1018 Depth=3
	s_and_not1_saveexec_b32 s14, s14
; %bb.1036:                             ;   in Loop: Header=BB4_1018 Depth=3
	v_and_b32_e32 v9, 0xffff, v8
	v_or_b32_e32 v13, 0x10000, v8
	s_delay_alu instid0(VALU_DEP_2) | instskip(NEXT) | instid1(VALU_DEP_2)
	v_cmp_eq_u32_e32 vcc_lo, 0, v9
	v_cndmask_b32_e32 v13, v13, v8, vcc_lo
; %bb.1037:                             ;   in Loop: Header=BB4_1018 Depth=3
	s_or_b32 exec_lo, exec_lo, s14
	v_lshlrev_b32_e32 v8, 16, v10
	v_lshlrev_b32_e32 v9, 16, v14
	s_mov_b32 s14, exec_lo
                                        ; implicit-def: $vgpr61
	s_delay_alu instid0(VALU_DEP_1) | instskip(NEXT) | instid1(VALU_DEP_1)
	v_mul_f32_e32 v8, v9, v8
	v_and_b32_e32 v9, 0x7f800000, v8
	s_delay_alu instid0(VALU_DEP_1)
	v_cmpx_ne_u32_e32 0x7f800000, v9
	s_xor_b32 s14, exec_lo, s14
; %bb.1038:                             ;   in Loop: Header=BB4_1018 Depth=3
	v_bfe_u32 v9, v8, 16, 1
	s_delay_alu instid0(VALU_DEP_1)
	v_add3_u32 v61, v8, v9, 0x7fff
                                        ; implicit-def: $vgpr8
; %bb.1039:                             ;   in Loop: Header=BB4_1018 Depth=3
	s_and_not1_saveexec_b32 s14, s14
; %bb.1040:                             ;   in Loop: Header=BB4_1018 Depth=3
	v_and_b32_e32 v9, 0xffff, v8
	v_or_b32_e32 v61, 0x10000, v8
	s_delay_alu instid0(VALU_DEP_2) | instskip(NEXT) | instid1(VALU_DEP_2)
	v_cmp_eq_u32_e32 vcc_lo, 0, v9
	v_cndmask_b32_e32 v61, v61, v8, vcc_lo
; %bb.1041:                             ;   in Loop: Header=BB4_1018 Depth=3
	s_or_b32 exec_lo, exec_lo, s14
	v_and_b32_e32 v9, 0xffff0000, v14
	v_and_b32_e32 v8, 0xffff0000, v10
	s_mov_b32 s14, exec_lo
	s_delay_alu instid0(VALU_DEP_2) | instskip(NEXT) | instid1(VALU_DEP_1)
	v_mov_b32_e32 v10, v9
	v_pk_mul_f32 v[8:9], v[10:11], v[8:9]
                                        ; implicit-def: $vgpr10
	s_delay_alu instid0(VALU_DEP_1) | instskip(NEXT) | instid1(VALU_DEP_1)
	v_and_b32_e32 v9, 0x7f800000, v8
	v_cmpx_ne_u32_e32 0x7f800000, v9
	s_xor_b32 s14, exec_lo, s14
; %bb.1042:                             ;   in Loop: Header=BB4_1018 Depth=3
	v_bfe_u32 v9, v8, 16, 1
	s_delay_alu instid0(VALU_DEP_1)
	v_add3_u32 v10, v8, v9, 0x7fff
                                        ; implicit-def: $vgpr8_vgpr9
; %bb.1043:                             ;   in Loop: Header=BB4_1018 Depth=3
	s_and_not1_saveexec_b32 s14, s14
; %bb.1044:                             ;   in Loop: Header=BB4_1018 Depth=3
	v_and_b32_e32 v9, 0xffff, v8
	v_or_b32_e32 v10, 0x10000, v8
	s_delay_alu instid0(VALU_DEP_2) | instskip(NEXT) | instid1(VALU_DEP_2)
	v_cmp_eq_u32_e32 vcc_lo, 0, v9
	v_cndmask_b32_e32 v10, v10, v8, vcc_lo
; %bb.1045:                             ;   in Loop: Header=BB4_1018 Depth=3
	s_or_b32 exec_lo, exec_lo, s14
	v_lshlrev_b32_e32 v8, 16, v11
	v_lshlrev_b32_e32 v9, 16, v15
	s_mov_b32 s14, exec_lo
                                        ; implicit-def: $vgpr14
	s_delay_alu instid0(VALU_DEP_1) | instskip(NEXT) | instid1(VALU_DEP_1)
	v_mul_f32_e32 v8, v9, v8
	v_and_b32_e32 v9, 0x7f800000, v8
	s_delay_alu instid0(VALU_DEP_1)
	v_cmpx_ne_u32_e32 0x7f800000, v9
	s_xor_b32 s14, exec_lo, s14
; %bb.1046:                             ;   in Loop: Header=BB4_1018 Depth=3
	v_bfe_u32 v9, v8, 16, 1
	s_delay_alu instid0(VALU_DEP_1)
	v_add3_u32 v14, v8, v9, 0x7fff
                                        ; implicit-def: $vgpr8
; %bb.1047:                             ;   in Loop: Header=BB4_1018 Depth=3
	s_and_not1_saveexec_b32 s14, s14
; %bb.1048:                             ;   in Loop: Header=BB4_1018 Depth=3
	v_and_b32_e32 v9, 0xffff, v8
	v_or_b32_e32 v14, 0x10000, v8
	s_delay_alu instid0(VALU_DEP_2) | instskip(NEXT) | instid1(VALU_DEP_2)
	v_cmp_eq_u32_e32 vcc_lo, 0, v9
	v_cndmask_b32_e32 v14, v14, v8, vcc_lo
; %bb.1049:                             ;   in Loop: Header=BB4_1018 Depth=3
	s_or_b32 exec_lo, exec_lo, s14
	v_and_b32_e32 v9, 0xffff0000, v15
	v_and_b32_e32 v8, 0xffff0000, v11
	s_mov_b32 s14, exec_lo
                                        ; implicit-def: $vgpr11
	s_delay_alu instid0(VALU_DEP_2) | instskip(NEXT) | instid1(VALU_DEP_1)
	v_mov_b32_e32 v94, v9
	v_pk_mul_f32 v[8:9], v[94:95], v[8:9]
	s_delay_alu instid0(VALU_DEP_1) | instskip(NEXT) | instid1(VALU_DEP_1)
	v_and_b32_e32 v9, 0x7f800000, v8
	v_cmpx_ne_u32_e32 0x7f800000, v9
	s_xor_b32 s14, exec_lo, s14
; %bb.1050:                             ;   in Loop: Header=BB4_1018 Depth=3
	v_bfe_u32 v9, v8, 16, 1
	s_delay_alu instid0(VALU_DEP_1)
	v_add3_u32 v11, v8, v9, 0x7fff
                                        ; implicit-def: $vgpr8_vgpr9
; %bb.1051:                             ;   in Loop: Header=BB4_1018 Depth=3
	s_and_not1_saveexec_b32 s14, s14
; %bb.1052:                             ;   in Loop: Header=BB4_1018 Depth=3
	v_and_b32_e32 v9, 0xffff, v8
	v_or_b32_e32 v11, 0x10000, v8
	s_delay_alu instid0(VALU_DEP_2) | instskip(NEXT) | instid1(VALU_DEP_2)
	v_cmp_eq_u32_e32 vcc_lo, 0, v9
	v_cndmask_b32_e32 v11, v11, v8, vcc_lo
; %bb.1053:                             ;   in Loop: Header=BB4_1018 Depth=3
	s_or_b32 exec_lo, exec_lo, s14
	v_dual_lshrrev_b32 v8, 16, v60 :: v_dual_lshrrev_b32 v15, 16, v93
	v_dual_lshrrev_b32 v60, 16, v61 :: v_dual_lshrrev_b32 v14, 16, v14
	s_mov_b64 s[40:41], 0
	s_delay_alu instid0(VALU_DEP_2) | instskip(NEXT) | instid1(VALU_DEP_3)
	v_and_or_b32 v9, 0xffff0000, v13, v8
	v_and_or_b32 v8, 0xffff0000, v12, v15
	s_delay_alu instid0(VALU_DEP_3)
	v_and_or_b32 v10, 0xffff0000, v10, v60
	v_and_or_b32 v11, 0xffff0000, v11, v14
	s_mov_b32 s95, -1
	scratch_store_b128 off, v[8:11], s33 offset:176
.LBB4_1054:                             ;   Parent Loop BB4_47 Depth=1
                                        ;     Parent Loop BB4_820 Depth=2
                                        ;       Parent Loop BB4_1018 Depth=3
                                        ; =>      This Inner Loop Header: Depth=4
	s_cmp_eq_u32 s40, 1
	s_cselect_b32 vcc_lo, -1, 0
	s_cmp_eq_u32 s40, 0
	s_wait_xcnt 0x0
	v_dual_cndmask_b32 v13, v47, v57 :: v_dual_cndmask_b32 v12, v46, v56
	s_cselect_b32 s14, -1, 0
	s_and_b32 s15, exec_lo, s95
	s_mov_b64 s[40:41], 1
	s_mov_b32 s95, 0
	v_add_nc_u64_e32 v[14:15], 0x200, v[12:13]
	global_store_b128 v[12:13], v[8:11], off th:TH_STORE_NT
	v_dual_cndmask_b32 v57, v57, v15 :: v_dual_cndmask_b32 v56, v56, v14
	v_dual_cndmask_b32 v47, v47, v15, s14 :: v_dual_cndmask_b32 v46, v46, v14, s14
	s_mov_b32 vcc_lo, s15
	s_cbranch_vccnz .LBB4_1054
; %bb.1055:                             ;   in Loop: Header=BB4_1018 Depth=3
	s_delay_alu instid0(VALU_DEP_1)
	v_add_nc_u64_e32 v[46:47], v[46:47], v[82:83]
	v_add_nc_u64_e32 v[56:57], v[56:57], v[82:83]
.LBB4_1056:                             ;   in Loop: Header=BB4_1018 Depth=3
	s_wait_xcnt 0x0
	s_or_b32 exec_lo, exec_lo, vcc_hi
	v_sub_nc_u32_e32 v92, v92, v76
	v_add_nc_u64_e32 v[58:59], v[58:59], v[82:83]
	v_add_nc_u64_e32 v[44:45], v[44:45], v[82:83]
	s_delay_alu instid0(VALU_DEP_3)
	v_cmp_lt_i32_e64 s95, 15, v92
	s_and_saveexec_b32 vcc_hi, s95
	s_cbranch_execz .LBB4_1059
; %bb.1057:                             ;   in Loop: Header=BB4_1018 Depth=3
	s_add_co_i32 s14, s33, 0xb0
	s_mov_b64 s[40:41], 0
	s_mov_b32 s30, s14
	s_mov_b32 s31, -1
.LBB4_1058:                             ;   Parent Loop BB4_47 Depth=1
                                        ;     Parent Loop BB4_820 Depth=2
                                        ;       Parent Loop BB4_1018 Depth=3
                                        ; =>      This Inner Loop Header: Depth=4
	s_cmp_eq_u32 s40, 1
	s_cselect_b32 vcc_lo, -1, 0
	s_cmp_eq_u32 s40, 0
	v_dual_cndmask_b32 v13, v59, v45 :: v_dual_cndmask_b32 v12, v58, v44
	s_cselect_b32 s14, -1, 0
	s_and_b32 s15, exec_lo, s31
	s_mov_b64 s[40:41], 1
	s_mov_b32 s31, 0
	global_load_b128 v[8:11], v[12:13], off th:TH_LOAD_NT
	s_wait_xcnt 0x0
	v_add_nc_u64_e32 v[12:13], 0x200, v[12:13]
	s_delay_alu instid0(VALU_DEP_1)
	v_dual_cndmask_b32 v59, v59, v13, s14 :: v_dual_cndmask_b32 v58, v58, v12, s14
	v_dual_cndmask_b32 v45, v45, v13 :: v_dual_cndmask_b32 v44, v44, v12
	s_mov_b32 vcc_lo, s15
	s_wait_loadcnt 0x0
	scratch_store_b128 off, v[8:11], s30
	s_wait_xcnt 0x0
	s_mov_b32 s30, s61
	s_cbranch_vccnz .LBB4_1058
.LBB4_1059:                             ;   in Loop: Header=BB4_1018 Depth=3
	s_or_b32 exec_lo, exec_lo, vcc_hi
	s_clause 0x1
	scratch_load_b128 v[8:11], off, s33 offset:144
	scratch_load_b128 v[12:15], off, s33 offset:160
	s_mov_b32 s14, exec_lo
                                        ; implicit-def: $vgpr93
	s_wait_loadcnt 0x1
	v_lshlrev_b32_e32 v60, 16, v8
	s_wait_loadcnt 0x0
	v_lshlrev_b32_e32 v61, 16, v12
	s_delay_alu instid0(VALU_DEP_1) | instskip(NEXT) | instid1(VALU_DEP_1)
	v_mul_f32_e32 v60, v60, v61
	v_and_b32_e32 v61, 0x7f800000, v60
	s_wait_xcnt 0x0
	s_delay_alu instid0(VALU_DEP_1)
	v_cmpx_ne_u32_e32 0x7f800000, v61
	s_xor_b32 s14, exec_lo, s14
; %bb.1060:                             ;   in Loop: Header=BB4_1018 Depth=3
	v_bfe_u32 v61, v60, 16, 1
	s_delay_alu instid0(VALU_DEP_1)
	v_add3_u32 v93, v60, v61, 0x7fff
                                        ; implicit-def: $vgpr60
; %bb.1061:                             ;   in Loop: Header=BB4_1018 Depth=3
	s_and_not1_saveexec_b32 s14, s14
; %bb.1062:                             ;   in Loop: Header=BB4_1018 Depth=3
	v_and_b32_e32 v61, 0xffff, v60
	v_or_b32_e32 v93, 0x10000, v60
	s_delay_alu instid0(VALU_DEP_2) | instskip(NEXT) | instid1(VALU_DEP_2)
	v_cmp_eq_u32_e32 vcc_lo, 0, v61
	v_cndmask_b32_e32 v93, v93, v60, vcc_lo
; %bb.1063:                             ;   in Loop: Header=BB4_1018 Depth=3
	s_or_b32 exec_lo, exec_lo, s14
	v_and_b32_e32 v61, 0xffff0000, v12
	v_and_b32_e32 v60, 0xffff0000, v8
	s_mov_b32 s14, exec_lo
                                        ; implicit-def: $vgpr12
	s_delay_alu instid0(VALU_DEP_2) | instskip(NEXT) | instid1(VALU_DEP_1)
	v_mov_b32_e32 v8, v61
	v_pk_mul_f32 v[60:61], v[8:9], v[60:61]
	s_delay_alu instid0(VALU_DEP_1) | instskip(NEXT) | instid1(VALU_DEP_1)
	v_and_b32_e32 v8, 0x7f800000, v60
	v_cmpx_ne_u32_e32 0x7f800000, v8
	s_xor_b32 s14, exec_lo, s14
; %bb.1064:                             ;   in Loop: Header=BB4_1018 Depth=3
	v_bfe_u32 v8, v60, 16, 1
	s_delay_alu instid0(VALU_DEP_1)
	v_add3_u32 v12, v60, v8, 0x7fff
                                        ; implicit-def: $vgpr60_vgpr61
; %bb.1065:                             ;   in Loop: Header=BB4_1018 Depth=3
	s_and_not1_saveexec_b32 s14, s14
; %bb.1066:                             ;   in Loop: Header=BB4_1018 Depth=3
	v_and_b32_e32 v8, 0xffff, v60
	v_or_b32_e32 v12, 0x10000, v60
	s_delay_alu instid0(VALU_DEP_2) | instskip(NEXT) | instid1(VALU_DEP_2)
	v_cmp_eq_u32_e32 vcc_lo, 0, v8
	v_cndmask_b32_e32 v12, v12, v60, vcc_lo
; %bb.1067:                             ;   in Loop: Header=BB4_1018 Depth=3
	s_or_b32 exec_lo, exec_lo, s14
	v_lshlrev_b32_e32 v8, 16, v9
	v_lshlrev_b32_e32 v60, 16, v13
	s_delay_alu instid0(VALU_DEP_1) | instskip(NEXT) | instid1(VALU_DEP_1)
	v_mul_f32_e32 v8, v60, v8
	v_and_b32_e32 v60, 0x7f800000, v8
	s_delay_alu instid0(VALU_DEP_1) | instskip(SKIP_1) | instid1(SALU_CYCLE_1)
	v_cmp_ne_u32_e32 vcc_lo, 0x7f800000, v60
                                        ; implicit-def: $vgpr60
	s_and_saveexec_b32 s14, vcc_lo
	s_xor_b32 s14, exec_lo, s14
; %bb.1068:                             ;   in Loop: Header=BB4_1018 Depth=3
	v_bfe_u32 v60, v8, 16, 1
	s_delay_alu instid0(VALU_DEP_1)
	v_add3_u32 v60, v8, v60, 0x7fff
                                        ; implicit-def: $vgpr8
; %bb.1069:                             ;   in Loop: Header=BB4_1018 Depth=3
	s_and_not1_saveexec_b32 s14, s14
; %bb.1070:                             ;   in Loop: Header=BB4_1018 Depth=3
	v_and_b32_e32 v60, 0xffff, v8
	v_or_b32_e32 v61, 0x10000, v8
	s_delay_alu instid0(VALU_DEP_2) | instskip(NEXT) | instid1(VALU_DEP_2)
	v_cmp_eq_u32_e32 vcc_lo, 0, v60
	v_cndmask_b32_e32 v60, v61, v8, vcc_lo
; %bb.1071:                             ;   in Loop: Header=BB4_1018 Depth=3
	s_or_b32 exec_lo, exec_lo, s14
	v_and_b32_e32 v95, 0xffff0000, v13
	v_and_b32_e32 v94, 0xffff0000, v9
	s_mov_b32 s14, exec_lo
                                        ; implicit-def: $vgpr13
	s_delay_alu instid0(VALU_DEP_2) | instskip(NEXT) | instid1(VALU_DEP_1)
	v_mov_b32_e32 v8, v95
	v_pk_mul_f32 v[8:9], v[8:9], v[94:95]
	s_delay_alu instid0(VALU_DEP_1) | instskip(NEXT) | instid1(VALU_DEP_1)
	v_and_b32_e32 v9, 0x7f800000, v8
	v_cmpx_ne_u32_e32 0x7f800000, v9
	s_xor_b32 s14, exec_lo, s14
; %bb.1072:                             ;   in Loop: Header=BB4_1018 Depth=3
	v_bfe_u32 v9, v8, 16, 1
	s_delay_alu instid0(VALU_DEP_1)
	v_add3_u32 v13, v8, v9, 0x7fff
                                        ; implicit-def: $vgpr8_vgpr9
; %bb.1073:                             ;   in Loop: Header=BB4_1018 Depth=3
	s_and_not1_saveexec_b32 s14, s14
; %bb.1074:                             ;   in Loop: Header=BB4_1018 Depth=3
	v_and_b32_e32 v9, 0xffff, v8
	v_or_b32_e32 v13, 0x10000, v8
	s_delay_alu instid0(VALU_DEP_2) | instskip(NEXT) | instid1(VALU_DEP_2)
	v_cmp_eq_u32_e32 vcc_lo, 0, v9
	v_cndmask_b32_e32 v13, v13, v8, vcc_lo
; %bb.1075:                             ;   in Loop: Header=BB4_1018 Depth=3
	s_or_b32 exec_lo, exec_lo, s14
	v_lshlrev_b32_e32 v8, 16, v10
	v_lshlrev_b32_e32 v9, 16, v14
	s_mov_b32 s14, exec_lo
                                        ; implicit-def: $vgpr61
	s_delay_alu instid0(VALU_DEP_1) | instskip(NEXT) | instid1(VALU_DEP_1)
	v_mul_f32_e32 v8, v9, v8
	v_and_b32_e32 v9, 0x7f800000, v8
	s_delay_alu instid0(VALU_DEP_1)
	v_cmpx_ne_u32_e32 0x7f800000, v9
	s_xor_b32 s14, exec_lo, s14
; %bb.1076:                             ;   in Loop: Header=BB4_1018 Depth=3
	v_bfe_u32 v9, v8, 16, 1
	s_delay_alu instid0(VALU_DEP_1)
	v_add3_u32 v61, v8, v9, 0x7fff
                                        ; implicit-def: $vgpr8
; %bb.1077:                             ;   in Loop: Header=BB4_1018 Depth=3
	s_and_not1_saveexec_b32 s14, s14
; %bb.1078:                             ;   in Loop: Header=BB4_1018 Depth=3
	v_and_b32_e32 v9, 0xffff, v8
	v_or_b32_e32 v61, 0x10000, v8
	s_delay_alu instid0(VALU_DEP_2) | instskip(NEXT) | instid1(VALU_DEP_2)
	v_cmp_eq_u32_e32 vcc_lo, 0, v9
	v_cndmask_b32_e32 v61, v61, v8, vcc_lo
; %bb.1079:                             ;   in Loop: Header=BB4_1018 Depth=3
	s_or_b32 exec_lo, exec_lo, s14
	v_and_b32_e32 v9, 0xffff0000, v14
	v_and_b32_e32 v8, 0xffff0000, v10
	s_mov_b32 s14, exec_lo
	s_delay_alu instid0(VALU_DEP_2) | instskip(NEXT) | instid1(VALU_DEP_1)
	v_mov_b32_e32 v10, v9
	v_pk_mul_f32 v[8:9], v[10:11], v[8:9]
                                        ; implicit-def: $vgpr10
	s_delay_alu instid0(VALU_DEP_1) | instskip(NEXT) | instid1(VALU_DEP_1)
	v_and_b32_e32 v9, 0x7f800000, v8
	v_cmpx_ne_u32_e32 0x7f800000, v9
	s_xor_b32 s14, exec_lo, s14
; %bb.1080:                             ;   in Loop: Header=BB4_1018 Depth=3
	v_bfe_u32 v9, v8, 16, 1
	s_delay_alu instid0(VALU_DEP_1)
	v_add3_u32 v10, v8, v9, 0x7fff
                                        ; implicit-def: $vgpr8_vgpr9
; %bb.1081:                             ;   in Loop: Header=BB4_1018 Depth=3
	s_and_not1_saveexec_b32 s14, s14
; %bb.1082:                             ;   in Loop: Header=BB4_1018 Depth=3
	v_and_b32_e32 v9, 0xffff, v8
	v_or_b32_e32 v10, 0x10000, v8
	s_delay_alu instid0(VALU_DEP_2) | instskip(NEXT) | instid1(VALU_DEP_2)
	v_cmp_eq_u32_e32 vcc_lo, 0, v9
	v_cndmask_b32_e32 v10, v10, v8, vcc_lo
; %bb.1083:                             ;   in Loop: Header=BB4_1018 Depth=3
	s_or_b32 exec_lo, exec_lo, s14
	v_lshlrev_b32_e32 v8, 16, v11
	v_lshlrev_b32_e32 v9, 16, v15
	s_mov_b32 s14, exec_lo
                                        ; implicit-def: $vgpr14
	s_delay_alu instid0(VALU_DEP_1) | instskip(NEXT) | instid1(VALU_DEP_1)
	v_mul_f32_e32 v8, v9, v8
	v_and_b32_e32 v9, 0x7f800000, v8
	s_delay_alu instid0(VALU_DEP_1)
	v_cmpx_ne_u32_e32 0x7f800000, v9
	s_xor_b32 s14, exec_lo, s14
; %bb.1084:                             ;   in Loop: Header=BB4_1018 Depth=3
	v_bfe_u32 v9, v8, 16, 1
	s_delay_alu instid0(VALU_DEP_1)
	v_add3_u32 v14, v8, v9, 0x7fff
                                        ; implicit-def: $vgpr8
; %bb.1085:                             ;   in Loop: Header=BB4_1018 Depth=3
	s_and_not1_saveexec_b32 s14, s14
; %bb.1086:                             ;   in Loop: Header=BB4_1018 Depth=3
	v_and_b32_e32 v9, 0xffff, v8
	v_or_b32_e32 v14, 0x10000, v8
	s_delay_alu instid0(VALU_DEP_2) | instskip(NEXT) | instid1(VALU_DEP_2)
	v_cmp_eq_u32_e32 vcc_lo, 0, v9
	v_cndmask_b32_e32 v14, v14, v8, vcc_lo
; %bb.1087:                             ;   in Loop: Header=BB4_1018 Depth=3
	s_or_b32 exec_lo, exec_lo, s14
	v_and_b32_e32 v9, 0xffff0000, v15
	v_and_b32_e32 v8, 0xffff0000, v11
	s_mov_b32 s14, exec_lo
                                        ; implicit-def: $vgpr11
	s_delay_alu instid0(VALU_DEP_2) | instskip(NEXT) | instid1(VALU_DEP_1)
	v_mov_b32_e32 v94, v9
	v_pk_mul_f32 v[8:9], v[94:95], v[8:9]
	s_delay_alu instid0(VALU_DEP_1) | instskip(NEXT) | instid1(VALU_DEP_1)
	v_and_b32_e32 v9, 0x7f800000, v8
	v_cmpx_ne_u32_e32 0x7f800000, v9
	s_xor_b32 s14, exec_lo, s14
; %bb.1088:                             ;   in Loop: Header=BB4_1018 Depth=3
	v_bfe_u32 v9, v8, 16, 1
	s_delay_alu instid0(VALU_DEP_1)
	v_add3_u32 v11, v8, v9, 0x7fff
                                        ; implicit-def: $vgpr8_vgpr9
; %bb.1089:                             ;   in Loop: Header=BB4_1018 Depth=3
	s_and_not1_saveexec_b32 s14, s14
; %bb.1090:                             ;   in Loop: Header=BB4_1018 Depth=3
	v_and_b32_e32 v9, 0xffff, v8
	v_or_b32_e32 v11, 0x10000, v8
	s_delay_alu instid0(VALU_DEP_2) | instskip(NEXT) | instid1(VALU_DEP_2)
	v_cmp_eq_u32_e32 vcc_lo, 0, v9
	v_cndmask_b32_e32 v11, v11, v8, vcc_lo
; %bb.1091:                             ;   in Loop: Header=BB4_1018 Depth=3
	s_or_b32 exec_lo, exec_lo, s14
	v_dual_lshrrev_b32 v8, 16, v60 :: v_dual_lshrrev_b32 v15, 16, v93
	v_dual_lshrrev_b32 v60, 16, v61 :: v_dual_lshrrev_b32 v14, 16, v14
	s_mov_b64 s[40:41], 0
	s_delay_alu instid0(VALU_DEP_2) | instskip(NEXT) | instid1(VALU_DEP_3)
	v_and_or_b32 v9, 0xffff0000, v13, v8
	v_and_or_b32 v8, 0xffff0000, v12, v15
	s_delay_alu instid0(VALU_DEP_3)
	v_and_or_b32 v10, 0xffff0000, v10, v60
	v_and_or_b32 v11, 0xffff0000, v11, v14
	s_mov_b32 vcc_hi, -1
	scratch_store_b128 off, v[8:11], s33 offset:144
.LBB4_1092:                             ;   Parent Loop BB4_47 Depth=1
                                        ;     Parent Loop BB4_820 Depth=2
                                        ;       Parent Loop BB4_1018 Depth=3
                                        ; =>      This Inner Loop Header: Depth=4
	s_cmp_eq_u32 s40, 1
	s_cselect_b32 vcc_lo, -1, 0
	s_cmp_eq_u32 s40, 0
	s_wait_xcnt 0x0
	v_dual_cndmask_b32 v13, v47, v57 :: v_dual_cndmask_b32 v12, v46, v56
	s_cselect_b32 s14, -1, 0
	s_and_b32 s15, exec_lo, vcc_hi
	s_mov_b64 s[40:41], 1
	s_mov_b32 vcc_hi, 0
	v_add_nc_u64_e32 v[14:15], 0x200, v[12:13]
	global_store_b128 v[12:13], v[8:11], off th:TH_STORE_NT
	v_dual_cndmask_b32 v57, v57, v15 :: v_dual_cndmask_b32 v56, v56, v14
	v_dual_cndmask_b32 v47, v47, v15, s14 :: v_dual_cndmask_b32 v46, v46, v14, s14
	s_mov_b32 vcc_lo, s15
	s_cbranch_vccnz .LBB4_1092
; %bb.1093:                             ;   in Loop: Header=BB4_1018 Depth=3
	v_sub_nc_u32_e32 v91, v91, v52
	s_wait_xcnt 0x0
	s_and_saveexec_b32 s14, s95
	s_cbranch_execz .LBB4_1017
; %bb.1094:                             ;   in Loop: Header=BB4_1018 Depth=3
	v_add_nc_u64_e32 v[46:47], v[46:47], v[82:83]
	v_add_nc_u64_e32 v[56:57], v[56:57], v[82:83]
	;; [unrolled: 1-line block ×4, first 2 shown]
	v_sub_nc_u32_e32 v92, v92, v76
	v_sub_nc_u32_e32 v91, v91, v52
	s_branch .LBB4_1017
.LBB4_1095:                             ;   in Loop: Header=BB4_820 Depth=2
	s_or_b32 exec_lo, exec_lo, s93
	s_delay_alu instid0(SALU_CYCLE_1)
	s_and_b32 s14, s94, exec_lo
.LBB4_1096:                             ;   in Loop: Header=BB4_820 Depth=2
	s_or_b32 exec_lo, exec_lo, s92
	s_and_saveexec_b32 s92, s14
	s_cbranch_execz .LBB4_1131
; %bb.1097:                             ;   in Loop: Header=BB4_820 Depth=2
	s_clause 0x1
	scratch_load_b128 v[8:11], off, s33 offset:176
	scratch_load_b128 v[12:15], off, s33 offset:192
	s_mov_b32 s14, exec_lo
                                        ; implicit-def: $vgpr58
	s_wait_loadcnt_dscnt 0x100
	v_lshlrev_b32_e32 v44, 16, v8
	s_wait_loadcnt 0x0
	v_lshlrev_b32_e32 v45, 16, v12
	s_delay_alu instid0(VALU_DEP_1) | instskip(NEXT) | instid1(VALU_DEP_1)
	v_mul_f32_e32 v44, v44, v45
	v_and_b32_e32 v45, 0x7f800000, v44
	s_wait_xcnt 0x0
	s_delay_alu instid0(VALU_DEP_1)
	v_cmpx_ne_u32_e32 0x7f800000, v45
	s_xor_b32 s14, exec_lo, s14
; %bb.1098:                             ;   in Loop: Header=BB4_820 Depth=2
	v_bfe_u32 v45, v44, 16, 1
	s_delay_alu instid0(VALU_DEP_1)
	v_add3_u32 v58, v44, v45, 0x7fff
                                        ; implicit-def: $vgpr44
; %bb.1099:                             ;   in Loop: Header=BB4_820 Depth=2
	s_and_not1_saveexec_b32 s14, s14
; %bb.1100:                             ;   in Loop: Header=BB4_820 Depth=2
	v_and_b32_e32 v45, 0xffff, v44
	v_or_b32_e32 v58, 0x10000, v44
	s_delay_alu instid0(VALU_DEP_2) | instskip(NEXT) | instid1(VALU_DEP_2)
	v_cmp_eq_u32_e32 vcc_lo, 0, v45
	v_cndmask_b32_e32 v58, v58, v44, vcc_lo
; %bb.1101:                             ;   in Loop: Header=BB4_820 Depth=2
	s_or_b32 exec_lo, exec_lo, s14
	v_and_b32_e32 v45, 0xffff0000, v12
	v_and_b32_e32 v44, 0xffff0000, v8
	s_mov_b32 s14, exec_lo
                                        ; implicit-def: $vgpr12
	s_delay_alu instid0(VALU_DEP_2) | instskip(NEXT) | instid1(VALU_DEP_1)
	v_mov_b32_e32 v8, v45
	v_pk_mul_f32 v[44:45], v[8:9], v[44:45]
	s_delay_alu instid0(VALU_DEP_1) | instskip(NEXT) | instid1(VALU_DEP_1)
	v_and_b32_e32 v8, 0x7f800000, v44
	v_cmpx_ne_u32_e32 0x7f800000, v8
	s_xor_b32 s14, exec_lo, s14
; %bb.1102:                             ;   in Loop: Header=BB4_820 Depth=2
	v_bfe_u32 v8, v44, 16, 1
	s_delay_alu instid0(VALU_DEP_1)
	v_add3_u32 v12, v44, v8, 0x7fff
                                        ; implicit-def: $vgpr44_vgpr45
; %bb.1103:                             ;   in Loop: Header=BB4_820 Depth=2
	s_and_not1_saveexec_b32 s14, s14
; %bb.1104:                             ;   in Loop: Header=BB4_820 Depth=2
	v_and_b32_e32 v8, 0xffff, v44
	v_or_b32_e32 v12, 0x10000, v44
	s_delay_alu instid0(VALU_DEP_2) | instskip(NEXT) | instid1(VALU_DEP_2)
	v_cmp_eq_u32_e32 vcc_lo, 0, v8
	v_cndmask_b32_e32 v12, v12, v44, vcc_lo
; %bb.1105:                             ;   in Loop: Header=BB4_820 Depth=2
	s_or_b32 exec_lo, exec_lo, s14
	v_lshlrev_b32_e32 v8, 16, v9
	v_lshlrev_b32_e32 v44, 16, v13
	s_delay_alu instid0(VALU_DEP_1) | instskip(NEXT) | instid1(VALU_DEP_1)
	v_mul_f32_e32 v8, v44, v8
	v_and_b32_e32 v44, 0x7f800000, v8
	s_delay_alu instid0(VALU_DEP_1) | instskip(SKIP_1) | instid1(SALU_CYCLE_1)
	v_cmp_ne_u32_e32 vcc_lo, 0x7f800000, v44
                                        ; implicit-def: $vgpr44
	s_and_saveexec_b32 s14, vcc_lo
	s_xor_b32 s14, exec_lo, s14
; %bb.1106:                             ;   in Loop: Header=BB4_820 Depth=2
	v_bfe_u32 v44, v8, 16, 1
	s_delay_alu instid0(VALU_DEP_1)
	v_add3_u32 v44, v8, v44, 0x7fff
                                        ; implicit-def: $vgpr8
; %bb.1107:                             ;   in Loop: Header=BB4_820 Depth=2
	s_and_not1_saveexec_b32 s14, s14
; %bb.1108:                             ;   in Loop: Header=BB4_820 Depth=2
	v_and_b32_e32 v44, 0xffff, v8
	v_or_b32_e32 v45, 0x10000, v8
	s_delay_alu instid0(VALU_DEP_2) | instskip(NEXT) | instid1(VALU_DEP_2)
	v_cmp_eq_u32_e32 vcc_lo, 0, v44
	v_cndmask_b32_e32 v44, v45, v8, vcc_lo
; %bb.1109:                             ;   in Loop: Header=BB4_820 Depth=2
	s_or_b32 exec_lo, exec_lo, s14
	v_and_b32_e32 v61, 0xffff0000, v13
	v_and_b32_e32 v60, 0xffff0000, v9
	s_mov_b32 s14, exec_lo
                                        ; implicit-def: $vgpr13
	s_delay_alu instid0(VALU_DEP_2) | instskip(NEXT) | instid1(VALU_DEP_1)
	v_mov_b32_e32 v8, v61
	v_pk_mul_f32 v[8:9], v[8:9], v[60:61]
	s_delay_alu instid0(VALU_DEP_1) | instskip(NEXT) | instid1(VALU_DEP_1)
	v_and_b32_e32 v9, 0x7f800000, v8
	v_cmpx_ne_u32_e32 0x7f800000, v9
	s_xor_b32 s14, exec_lo, s14
; %bb.1110:                             ;   in Loop: Header=BB4_820 Depth=2
	v_bfe_u32 v9, v8, 16, 1
	s_delay_alu instid0(VALU_DEP_1)
	v_add3_u32 v13, v8, v9, 0x7fff
                                        ; implicit-def: $vgpr8_vgpr9
; %bb.1111:                             ;   in Loop: Header=BB4_820 Depth=2
	s_and_not1_saveexec_b32 s14, s14
; %bb.1112:                             ;   in Loop: Header=BB4_820 Depth=2
	v_and_b32_e32 v9, 0xffff, v8
	v_or_b32_e32 v13, 0x10000, v8
	s_delay_alu instid0(VALU_DEP_2) | instskip(NEXT) | instid1(VALU_DEP_2)
	v_cmp_eq_u32_e32 vcc_lo, 0, v9
	v_cndmask_b32_e32 v13, v13, v8, vcc_lo
; %bb.1113:                             ;   in Loop: Header=BB4_820 Depth=2
	s_or_b32 exec_lo, exec_lo, s14
	v_lshlrev_b32_e32 v8, 16, v10
	v_lshlrev_b32_e32 v9, 16, v14
	s_mov_b32 s14, exec_lo
                                        ; implicit-def: $vgpr45
	s_delay_alu instid0(VALU_DEP_1) | instskip(NEXT) | instid1(VALU_DEP_1)
	v_mul_f32_e32 v8, v9, v8
	v_and_b32_e32 v9, 0x7f800000, v8
	s_delay_alu instid0(VALU_DEP_1)
	v_cmpx_ne_u32_e32 0x7f800000, v9
	s_xor_b32 s14, exec_lo, s14
; %bb.1114:                             ;   in Loop: Header=BB4_820 Depth=2
	v_bfe_u32 v9, v8, 16, 1
	s_delay_alu instid0(VALU_DEP_1)
	v_add3_u32 v45, v8, v9, 0x7fff
                                        ; implicit-def: $vgpr8
; %bb.1115:                             ;   in Loop: Header=BB4_820 Depth=2
	s_and_not1_saveexec_b32 s14, s14
; %bb.1116:                             ;   in Loop: Header=BB4_820 Depth=2
	v_and_b32_e32 v9, 0xffff, v8
	v_or_b32_e32 v45, 0x10000, v8
	s_delay_alu instid0(VALU_DEP_2) | instskip(NEXT) | instid1(VALU_DEP_2)
	v_cmp_eq_u32_e32 vcc_lo, 0, v9
	v_cndmask_b32_e32 v45, v45, v8, vcc_lo
; %bb.1117:                             ;   in Loop: Header=BB4_820 Depth=2
	s_or_b32 exec_lo, exec_lo, s14
	v_and_b32_e32 v9, 0xffff0000, v14
	v_and_b32_e32 v8, 0xffff0000, v10
	s_mov_b32 s14, exec_lo
	s_delay_alu instid0(VALU_DEP_2) | instskip(NEXT) | instid1(VALU_DEP_1)
	v_mov_b32_e32 v10, v9
	v_pk_mul_f32 v[8:9], v[10:11], v[8:9]
                                        ; implicit-def: $vgpr10
	s_delay_alu instid0(VALU_DEP_1) | instskip(NEXT) | instid1(VALU_DEP_1)
	v_and_b32_e32 v9, 0x7f800000, v8
	v_cmpx_ne_u32_e32 0x7f800000, v9
	s_xor_b32 s14, exec_lo, s14
; %bb.1118:                             ;   in Loop: Header=BB4_820 Depth=2
	v_bfe_u32 v9, v8, 16, 1
	s_delay_alu instid0(VALU_DEP_1)
	v_add3_u32 v10, v8, v9, 0x7fff
                                        ; implicit-def: $vgpr8_vgpr9
; %bb.1119:                             ;   in Loop: Header=BB4_820 Depth=2
	s_and_not1_saveexec_b32 s14, s14
; %bb.1120:                             ;   in Loop: Header=BB4_820 Depth=2
	v_and_b32_e32 v9, 0xffff, v8
	v_or_b32_e32 v10, 0x10000, v8
	s_delay_alu instid0(VALU_DEP_2) | instskip(NEXT) | instid1(VALU_DEP_2)
	v_cmp_eq_u32_e32 vcc_lo, 0, v9
	v_cndmask_b32_e32 v10, v10, v8, vcc_lo
; %bb.1121:                             ;   in Loop: Header=BB4_820 Depth=2
	s_or_b32 exec_lo, exec_lo, s14
	v_lshlrev_b32_e32 v8, 16, v11
	v_lshlrev_b32_e32 v9, 16, v15
	s_mov_b32 s14, exec_lo
                                        ; implicit-def: $vgpr14
	s_delay_alu instid0(VALU_DEP_1) | instskip(NEXT) | instid1(VALU_DEP_1)
	v_mul_f32_e32 v8, v9, v8
	v_and_b32_e32 v9, 0x7f800000, v8
	s_delay_alu instid0(VALU_DEP_1)
	v_cmpx_ne_u32_e32 0x7f800000, v9
	s_xor_b32 s14, exec_lo, s14
; %bb.1122:                             ;   in Loop: Header=BB4_820 Depth=2
	v_bfe_u32 v9, v8, 16, 1
	s_delay_alu instid0(VALU_DEP_1)
	v_add3_u32 v14, v8, v9, 0x7fff
                                        ; implicit-def: $vgpr8
; %bb.1123:                             ;   in Loop: Header=BB4_820 Depth=2
	s_and_not1_saveexec_b32 s14, s14
; %bb.1124:                             ;   in Loop: Header=BB4_820 Depth=2
	v_and_b32_e32 v9, 0xffff, v8
	v_or_b32_e32 v14, 0x10000, v8
	s_delay_alu instid0(VALU_DEP_2) | instskip(NEXT) | instid1(VALU_DEP_2)
	v_cmp_eq_u32_e32 vcc_lo, 0, v9
	v_cndmask_b32_e32 v14, v14, v8, vcc_lo
; %bb.1125:                             ;   in Loop: Header=BB4_820 Depth=2
	s_or_b32 exec_lo, exec_lo, s14
	v_and_b32_e32 v9, 0xffff0000, v15
	v_and_b32_e32 v8, 0xffff0000, v11
	s_mov_b32 s14, exec_lo
                                        ; implicit-def: $vgpr11
	s_delay_alu instid0(VALU_DEP_2) | instskip(NEXT) | instid1(VALU_DEP_1)
	v_mov_b32_e32 v60, v9
	v_pk_mul_f32 v[8:9], v[60:61], v[8:9]
	s_delay_alu instid0(VALU_DEP_1) | instskip(NEXT) | instid1(VALU_DEP_1)
	v_and_b32_e32 v9, 0x7f800000, v8
	v_cmpx_ne_u32_e32 0x7f800000, v9
	s_xor_b32 s14, exec_lo, s14
; %bb.1126:                             ;   in Loop: Header=BB4_820 Depth=2
	v_bfe_u32 v9, v8, 16, 1
	s_delay_alu instid0(VALU_DEP_1)
	v_add3_u32 v11, v8, v9, 0x7fff
                                        ; implicit-def: $vgpr8_vgpr9
; %bb.1127:                             ;   in Loop: Header=BB4_820 Depth=2
	s_and_not1_saveexec_b32 s14, s14
; %bb.1128:                             ;   in Loop: Header=BB4_820 Depth=2
	v_and_b32_e32 v9, 0xffff, v8
	v_or_b32_e32 v11, 0x10000, v8
	s_delay_alu instid0(VALU_DEP_2) | instskip(NEXT) | instid1(VALU_DEP_2)
	v_cmp_eq_u32_e32 vcc_lo, 0, v9
	v_cndmask_b32_e32 v11, v11, v8, vcc_lo
; %bb.1129:                             ;   in Loop: Header=BB4_820 Depth=2
	s_or_b32 exec_lo, exec_lo, s14
	v_dual_lshrrev_b32 v8, 16, v44 :: v_dual_lshrrev_b32 v15, 16, v58
	v_dual_lshrrev_b32 v44, 16, v45 :: v_dual_lshrrev_b32 v14, 16, v14
	s_mov_b64 s[40:41], 0
	s_delay_alu instid0(VALU_DEP_2) | instskip(NEXT) | instid1(VALU_DEP_3)
	v_and_or_b32 v9, 0xffff0000, v13, v8
	v_and_or_b32 v8, 0xffff0000, v12, v15
	s_delay_alu instid0(VALU_DEP_3)
	v_and_or_b32 v10, 0xffff0000, v10, v44
	v_and_or_b32 v11, 0xffff0000, v11, v14
	s_mov_b32 s93, -1
.LBB4_1130:                             ;   Parent Loop BB4_47 Depth=1
                                        ;     Parent Loop BB4_820 Depth=2
                                        ; =>    This Inner Loop Header: Depth=3
	s_cmp_eq_u32 s40, 1
	s_cselect_b32 vcc_lo, -1, 0
	s_cmp_eq_u32 s40, 0
	s_wait_xcnt 0x0
	v_dual_cndmask_b32 v13, v47, v57 :: v_dual_cndmask_b32 v12, v46, v56
	s_cselect_b32 s14, -1, 0
	s_and_b32 s15, exec_lo, s93
	s_mov_b64 s[40:41], 1
	s_mov_b32 s93, 0
	v_add_nc_u64_e32 v[14:15], 0x200, v[12:13]
	global_store_b128 v[12:13], v[8:11], off th:TH_STORE_NT
	v_dual_cndmask_b32 v57, v57, v15 :: v_dual_cndmask_b32 v56, v56, v14
	v_dual_cndmask_b32 v47, v47, v15, s14 :: v_dual_cndmask_b32 v46, v46, v14, s14
	s_mov_b32 vcc_lo, s15
	s_cbranch_vccnz .LBB4_1130
.LBB4_1131:                             ;   in Loop: Header=BB4_820 Depth=2
	s_wait_xcnt 0x0
	s_or_b32 exec_lo, exec_lo, s92
	v_and_b32_e32 v9, 14, v19
	s_mov_b32 s15, s90
	s_mov_b32 s14, exec_lo
                                        ; implicit-def: $vgpr47
                                        ; implicit-def: $vgpr56
                                        ; implicit-def: $vgpr8
	s_delay_alu instid0(VALU_DEP_1) | instskip(NEXT) | instid1(VALU_DEP_1)
	v_cndmask_b32_e64 v46, v90, v9, s13
	v_cmpx_ne_u32_e32 0, v46
	s_cbranch_execz .LBB4_1133
; %bb.1132:                             ;   in Loop: Header=BB4_820 Depth=2
	v_cmp_lt_i32_e32 vcc_lo, 0, v91
	s_or_b32 s15, s90, exec_lo
	v_dual_cndmask_b32 v8, 0, v52 :: v_dual_sub_nc_u32 v9, v90, v9
	s_delay_alu instid0(VALU_DEP_1) | instskip(NEXT) | instid1(VALU_DEP_1)
	v_dual_cndmask_b32 v9, 0, v9, s13 :: v_dual_sub_nc_u32 v8, v8, v91
	v_add3_u32 v47, v89, v62, v9
	s_delay_alu instid0(VALU_DEP_2) | instskip(NEXT) | instid1(VALU_DEP_1)
	v_lshl_add_u32 v10, v8, 5, v63
	v_ashrrev_i32_e32 v8, 31, v10
	s_delay_alu instid0(VALU_DEP_1) | instskip(NEXT) | instid1(VALU_DEP_1)
	v_lshrrev_b32_e32 v8, 27, v8
	v_add_nc_u32_e32 v8, v10, v8
	s_delay_alu instid0(VALU_DEP_1) | instskip(NEXT) | instid1(VALU_DEP_1)
	v_and_b32_e32 v11, 0xffffffe0, v8
	v_dual_ashrrev_i32 v8, 5, v8 :: v_dual_sub_nc_u32 v56, v10, v11
.LBB4_1133:                             ;   in Loop: Header=BB4_820 Depth=2
	s_or_b32 exec_lo, exec_lo, s14
	s_delay_alu instid0(SALU_CYCLE_1) | instskip(SKIP_1) | instid1(SALU_CYCLE_1)
	s_and_not1_b32 s13, s90, exec_lo
	s_and_b32 s14, s15, exec_lo
	s_or_b32 s90, s13, s14
.LBB4_1134:                             ;   in Loop: Header=BB4_820 Depth=2
	s_or_b32 exec_lo, exec_lo, s91
	s_and_saveexec_b32 s15, s90
	s_cbranch_execz .LBB4_1227
.LBB4_1135:                             ;   in Loop: Header=BB4_820 Depth=2
	s_delay_alu instid0(VALU_DEP_1) | instskip(SKIP_3) | instid1(VALU_DEP_3)
	v_dual_ashrrev_i32 v9, 31, v46 :: v_dual_lshlrev_b32 v10, 8, v8
	s_wait_dscnt 0x0
	v_dual_mov_b32 v45, 0 :: v_dual_mov_b32 v12, 0
	v_dual_mov_b32 v57, 0 :: v_dual_mov_b32 v13, 0
	v_dual_lshrrev_b32 v9, 24, v9 :: v_dual_lshlrev_b32 v11, 1, v56
	s_mov_b32 s14, 0
	s_mov_b32 s13, exec_lo
	s_delay_alu instid0(VALU_DEP_1) | instskip(NEXT) | instid1(VALU_DEP_2)
	v_dual_mov_b32 v89, 0 :: v_dual_add_nc_u32 v9, v46, v9
	v_add3_u32 v14, v47, v11, v10
	v_dual_mov_b32 v62, 0 :: v_dual_mov_b32 v90, 0
	s_delay_alu instid0(VALU_DEP_3) | instskip(NEXT) | instid1(VALU_DEP_1)
	v_dual_mov_b32 v63, 0 :: v_dual_ashrrev_i32 v44, 8, v9
	v_dual_ashrrev_i32 v15, 31, v14 :: v_dual_sub_nc_u32 v19, v44, v8
	s_delay_alu instid0(VALU_DEP_1) | instskip(SKIP_1) | instid1(VALU_DEP_3)
	v_add_nc_u64_e32 v[10:11], v[40:41], v[14:15]
	v_add_nc_u64_e32 v[8:9], v[42:43], v[14:15]
	v_cmpx_lt_i32_e32 0, v19
	s_cbranch_execz .LBB4_1177
; %bb.1136:                             ;   in Loop: Header=BB4_820 Depth=2
	s_trap 2
	ds_load_b64 v[58:59], v0
	v_add_nc_u64_e32 v[12:13], v[14:15], v[22:23]
	s_mov_b32 s41, 0
	s_mov_b32 s40, 0
                                        ; implicit-def: $sgpr14
                                        ; implicit-def: $vgpr90
                                        ; implicit-def: $vgpr62
                                        ; implicit-def: $vgpr61
                                        ; implicit-def: $vgpr60
                                        ; implicit-def: $vgpr45
                                        ; implicit-def: $vgpr57
	s_wait_dscnt 0x0
	v_add_nc_u64_e32 v[14:15], v[58:59], v[14:15]
                                        ; implicit-def: $vgpr58
                                        ; implicit-def: $vgpr59
	s_branch .LBB4_1138
.LBB4_1137:                             ;   in Loop: Header=BB4_1138 Depth=3
	s_or_b32 exec_lo, exec_lo, s90
	s_delay_alu instid0(VALU_DEP_1) | instskip(SKIP_3) | instid1(SALU_CYCLE_1)
	v_cmp_gt_i32_e32 vcc_lo, 1, v19
	s_or_b32 s40, vcc_lo, s40
	s_and_not1_b32 s14, s14, exec_lo
	s_and_b32 s90, s41, exec_lo
	s_or_b32 s14, s14, s90
	s_and_not1_b32 exec_lo, exec_lo, s40
	s_cbranch_execz .LBB4_1176
.LBB4_1138:                             ;   Parent Loop BB4_47 Depth=1
                                        ;     Parent Loop BB4_820 Depth=2
                                        ; =>    This Inner Loop Header: Depth=3
	s_clause 0x3
	flat_load_u16 v95, v[12:13] th:TH_LOAD_NT
	flat_load_u16 v93, v[12:13] offset:64 th:TH_LOAD_NT
	flat_load_u16 v91, v[12:13] offset:128 th:TH_LOAD_NT
	;; [unrolled: 1-line block ×3, first 2 shown]
	s_clause 0x3
	flat_load_u16 v104, v[14:15] th:TH_LOAD_NT
	flat_load_u16 v94, v[14:15] offset:64 th:TH_LOAD_NT
	flat_load_u16 v92, v[14:15] offset:128 th:TH_LOAD_NT
	;; [unrolled: 1-line block ×3, first 2 shown]
	s_wait_xcnt 0x0
	s_and_saveexec_b32 s90, s41
	s_cbranch_execz .LBB4_1156
; %bb.1139:                             ;   in Loop: Header=BB4_1138 Depth=3
	v_dual_lshlrev_b32 v90, 16, v90 :: v_dual_lshlrev_b32 v105, 16, v45
	s_delay_alu instid0(VALU_DEP_1) | instskip(NEXT) | instid1(VALU_DEP_1)
	v_mul_f32_e32 v105, v90, v105
	v_and_b32_e32 v90, 0x7f800000, v105
	s_delay_alu instid0(VALU_DEP_1) | instskip(SKIP_1) | instid1(SALU_CYCLE_1)
	v_cmp_ne_u32_e32 vcc_lo, 0x7f800000, v90
                                        ; implicit-def: $vgpr90
	s_and_saveexec_b32 s41, vcc_lo
	s_xor_b32 s41, exec_lo, s41
; %bb.1140:                             ;   in Loop: Header=BB4_1138 Depth=3
	v_bfe_u32 v90, v105, 16, 1
	s_delay_alu instid0(VALU_DEP_1)
	v_add3_u32 v90, v105, v90, 0x7fff
                                        ; implicit-def: $vgpr105
; %bb.1141:                             ;   in Loop: Header=BB4_1138 Depth=3
	s_and_not1_saveexec_b32 s41, s41
; %bb.1142:                             ;   in Loop: Header=BB4_1138 Depth=3
	v_and_b32_e32 v90, 0xffff, v105
	v_or_b32_e32 v106, 0x10000, v105
	s_delay_alu instid0(VALU_DEP_2) | instskip(NEXT) | instid1(VALU_DEP_2)
	v_cmp_eq_u32_e32 vcc_lo, 0, v90
	v_cndmask_b32_e32 v90, v106, v105, vcc_lo
; %bb.1143:                             ;   in Loop: Header=BB4_1138 Depth=3
	s_or_b32 exec_lo, exec_lo, s41
	v_dual_lshlrev_b32 v62, 16, v62 :: v_dual_lshlrev_b32 v105, 16, v57
	s_delay_alu instid0(VALU_DEP_1) | instskip(NEXT) | instid1(VALU_DEP_1)
	v_mul_f32_e32 v105, v62, v105
	v_and_b32_e32 v62, 0x7f800000, v105
	s_delay_alu instid0(VALU_DEP_1) | instskip(SKIP_1) | instid1(SALU_CYCLE_1)
	v_cmp_ne_u32_e32 vcc_lo, 0x7f800000, v62
                                        ; implicit-def: $vgpr62
	s_and_saveexec_b32 s41, vcc_lo
	s_xor_b32 s41, exec_lo, s41
; %bb.1144:                             ;   in Loop: Header=BB4_1138 Depth=3
	v_bfe_u32 v62, v105, 16, 1
	s_delay_alu instid0(VALU_DEP_1)
	v_add3_u32 v62, v105, v62, 0x7fff
                                        ; implicit-def: $vgpr105
; %bb.1145:                             ;   in Loop: Header=BB4_1138 Depth=3
	s_and_not1_saveexec_b32 s41, s41
; %bb.1146:                             ;   in Loop: Header=BB4_1138 Depth=3
	v_and_b32_e32 v62, 0xffff, v105
	v_or_b32_e32 v106, 0x10000, v105
	s_delay_alu instid0(VALU_DEP_2) | instskip(NEXT) | instid1(VALU_DEP_2)
	v_cmp_eq_u32_e32 vcc_lo, 0, v62
	v_cndmask_b32_e32 v62, v106, v105, vcc_lo
; %bb.1147:                             ;   in Loop: Header=BB4_1138 Depth=3
	s_or_b32 exec_lo, exec_lo, s41
	v_dual_lshlrev_b32 v61, 16, v61 :: v_dual_lshlrev_b32 v105, 16, v58
	s_delay_alu instid0(VALU_DEP_1) | instskip(NEXT) | instid1(VALU_DEP_1)
	v_mul_f32_e32 v105, v61, v105
	v_and_b32_e32 v61, 0x7f800000, v105
	s_delay_alu instid0(VALU_DEP_1) | instskip(SKIP_1) | instid1(SALU_CYCLE_1)
	v_cmp_ne_u32_e32 vcc_lo, 0x7f800000, v61
                                        ; implicit-def: $vgpr61
	s_and_saveexec_b32 s41, vcc_lo
	s_xor_b32 s41, exec_lo, s41
; %bb.1148:                             ;   in Loop: Header=BB4_1138 Depth=3
	v_bfe_u32 v61, v105, 16, 1
	s_delay_alu instid0(VALU_DEP_1)
	v_add3_u32 v61, v105, v61, 0x7fff
                                        ; implicit-def: $vgpr105
; %bb.1149:                             ;   in Loop: Header=BB4_1138 Depth=3
	s_and_not1_saveexec_b32 s41, s41
; %bb.1150:                             ;   in Loop: Header=BB4_1138 Depth=3
	v_and_b32_e32 v61, 0xffff, v105
	v_or_b32_e32 v106, 0x10000, v105
	s_delay_alu instid0(VALU_DEP_2) | instskip(NEXT) | instid1(VALU_DEP_2)
	v_cmp_eq_u32_e32 vcc_lo, 0, v61
	v_cndmask_b32_e32 v61, v106, v105, vcc_lo
; %bb.1151:                             ;   in Loop: Header=BB4_1138 Depth=3
	s_or_b32 exec_lo, exec_lo, s41
	v_dual_lshlrev_b32 v60, 16, v60 :: v_dual_lshlrev_b32 v105, 16, v59
	s_delay_alu instid0(VALU_DEP_1) | instskip(NEXT) | instid1(VALU_DEP_1)
	v_mul_f32_e32 v105, v60, v105
	v_and_b32_e32 v60, 0x7f800000, v105
	s_delay_alu instid0(VALU_DEP_1) | instskip(SKIP_1) | instid1(SALU_CYCLE_1)
	v_cmp_ne_u32_e32 vcc_lo, 0x7f800000, v60
                                        ; implicit-def: $vgpr60
	s_and_saveexec_b32 s41, vcc_lo
	s_xor_b32 s41, exec_lo, s41
; %bb.1152:                             ;   in Loop: Header=BB4_1138 Depth=3
	v_bfe_u32 v60, v105, 16, 1
	s_delay_alu instid0(VALU_DEP_1)
	v_add3_u32 v60, v105, v60, 0x7fff
                                        ; implicit-def: $vgpr105
; %bb.1153:                             ;   in Loop: Header=BB4_1138 Depth=3
	s_and_not1_saveexec_b32 s41, s41
; %bb.1154:                             ;   in Loop: Header=BB4_1138 Depth=3
	v_and_b32_e32 v60, 0xffff, v105
	v_or_b32_e32 v106, 0x10000, v105
	s_delay_alu instid0(VALU_DEP_2) | instskip(NEXT) | instid1(VALU_DEP_2)
	v_cmp_eq_u32_e32 vcc_lo, 0, v60
	v_cndmask_b32_e32 v60, v106, v105, vcc_lo
; %bb.1155:                             ;   in Loop: Header=BB4_1138 Depth=3
	s_or_b32 exec_lo, exec_lo, s41
	v_dual_lshrrev_b32 v90, 16, v90 :: v_dual_lshrrev_b32 v61, 16, v61
	s_delay_alu instid0(VALU_DEP_2)
	v_dual_lshrrev_b32 v62, 16, v62 :: v_dual_lshrrev_b32 v60, 16, v60
	s_clause 0x3
	flat_store_b16 v[10:11], v90 th:TH_STORE_NT
	flat_store_b16 v[10:11], v62 offset:64 th:TH_STORE_NT
	flat_store_b16 v[10:11], v61 offset:128 th:TH_STORE_NT
	;; [unrolled: 1-line block ×3, first 2 shown]
	s_clause 0x3
	flat_store_b16 v[8:9], v90 th:TH_STORE_NT
	flat_store_b16 v[8:9], v62 offset:64 th:TH_STORE_NT
	flat_store_b16 v[8:9], v61 offset:128 th:TH_STORE_NT
	;; [unrolled: 1-line block ×3, first 2 shown]
	s_wait_xcnt 0x4
	v_add_nc_u64_e32 v[10:11], v[10:11], v[96:97]
	s_wait_xcnt 0x0
	v_add_nc_u64_e32 v[8:9], v[8:9], v[96:97]
.LBB4_1156:                             ;   in Loop: Header=BB4_1138 Depth=3
	s_or_b32 exec_lo, exec_lo, s90
	v_sub_nc_u32_e32 v19, v19, v52
	v_add_nc_u64_e32 v[12:13], v[12:13], v[96:97]
	v_add_nc_u64_e32 v[14:15], v[14:15], v[96:97]
	s_delay_alu instid0(VALU_DEP_3)
	v_cmp_lt_i32_e64 s41, 0, v19
	s_and_saveexec_b32 s90, s41
	s_cbranch_execz .LBB4_1158
; %bb.1157:                             ;   in Loop: Header=BB4_1138 Depth=3
	s_clause 0x3
	flat_load_u16 v90, v[12:13] th:TH_LOAD_NT
	flat_load_u16 v62, v[12:13] offset:64 th:TH_LOAD_NT
	flat_load_u16 v61, v[12:13] offset:128 th:TH_LOAD_NT
	;; [unrolled: 1-line block ×3, first 2 shown]
	s_clause 0x3
	flat_load_u16 v45, v[14:15] th:TH_LOAD_NT
	flat_load_u16 v57, v[14:15] offset:64 th:TH_LOAD_NT
	flat_load_u16 v58, v[14:15] offset:128 th:TH_LOAD_NT
	;; [unrolled: 1-line block ×3, first 2 shown]
	s_wait_xcnt 0x4
	v_add_nc_u64_e32 v[12:13], 0x100, v[12:13]
	s_wait_xcnt 0x0
	v_add_nc_u64_e32 v[14:15], 0x100, v[14:15]
.LBB4_1158:                             ;   in Loop: Header=BB4_1138 Depth=3
	s_or_b32 exec_lo, exec_lo, s90
	s_wait_loadcnt_dscnt 0x303
	v_dual_lshlrev_b32 v95, 16, v95 :: v_dual_lshlrev_b32 v104, 16, v104
	s_delay_alu instid0(VALU_DEP_1) | instskip(NEXT) | instid1(VALU_DEP_1)
	v_mul_f32_e32 v104, v104, v95
	v_and_b32_e32 v95, 0x7f800000, v104
	s_delay_alu instid0(VALU_DEP_1) | instskip(SKIP_1) | instid1(SALU_CYCLE_1)
	v_cmp_ne_u32_e32 vcc_lo, 0x7f800000, v95
                                        ; implicit-def: $vgpr95
	s_and_saveexec_b32 s90, vcc_lo
	s_xor_b32 s90, exec_lo, s90
; %bb.1159:                             ;   in Loop: Header=BB4_1138 Depth=3
	v_bfe_u32 v95, v104, 16, 1
	s_delay_alu instid0(VALU_DEP_1)
	v_add3_u32 v95, v104, v95, 0x7fff
                                        ; implicit-def: $vgpr104
; %bb.1160:                             ;   in Loop: Header=BB4_1138 Depth=3
	s_and_not1_saveexec_b32 s90, s90
; %bb.1161:                             ;   in Loop: Header=BB4_1138 Depth=3
	v_and_b32_e32 v95, 0xffff, v104
	v_or_b32_e32 v105, 0x10000, v104
	s_delay_alu instid0(VALU_DEP_2) | instskip(NEXT) | instid1(VALU_DEP_2)
	v_cmp_eq_u32_e32 vcc_lo, 0, v95
	v_cndmask_b32_e32 v95, v105, v104, vcc_lo
; %bb.1162:                             ;   in Loop: Header=BB4_1138 Depth=3
	s_or_b32 exec_lo, exec_lo, s90
	s_wait_loadcnt_dscnt 0x202
	v_dual_lshlrev_b32 v93, 16, v93 :: v_dual_lshlrev_b32 v94, 16, v94
	s_delay_alu instid0(VALU_DEP_1) | instskip(NEXT) | instid1(VALU_DEP_1)
	v_mul_f32_e32 v94, v94, v93
	v_and_b32_e32 v93, 0x7f800000, v94
	s_delay_alu instid0(VALU_DEP_1) | instskip(SKIP_1) | instid1(SALU_CYCLE_1)
	v_cmp_ne_u32_e32 vcc_lo, 0x7f800000, v93
                                        ; implicit-def: $vgpr93
	s_and_saveexec_b32 s90, vcc_lo
	s_xor_b32 s90, exec_lo, s90
; %bb.1163:                             ;   in Loop: Header=BB4_1138 Depth=3
	v_bfe_u32 v93, v94, 16, 1
	s_delay_alu instid0(VALU_DEP_1)
	v_add3_u32 v93, v94, v93, 0x7fff
                                        ; implicit-def: $vgpr94
; %bb.1164:                             ;   in Loop: Header=BB4_1138 Depth=3
	s_and_not1_saveexec_b32 s90, s90
; %bb.1165:                             ;   in Loop: Header=BB4_1138 Depth=3
	v_and_b32_e32 v93, 0xffff, v94
	v_or_b32_e32 v104, 0x10000, v94
	s_delay_alu instid0(VALU_DEP_2) | instskip(NEXT) | instid1(VALU_DEP_2)
	v_cmp_eq_u32_e32 vcc_lo, 0, v93
	v_cndmask_b32_e32 v93, v104, v94, vcc_lo
; %bb.1166:                             ;   in Loop: Header=BB4_1138 Depth=3
	s_or_b32 exec_lo, exec_lo, s90
	s_wait_loadcnt_dscnt 0x101
	v_dual_lshlrev_b32 v91, 16, v91 :: v_dual_lshlrev_b32 v92, 16, v92
	s_delay_alu instid0(VALU_DEP_1) | instskip(NEXT) | instid1(VALU_DEP_1)
	v_mul_f32_e32 v92, v92, v91
	v_and_b32_e32 v91, 0x7f800000, v92
	s_delay_alu instid0(VALU_DEP_1) | instskip(SKIP_1) | instid1(SALU_CYCLE_1)
	v_cmp_ne_u32_e32 vcc_lo, 0x7f800000, v91
                                        ; implicit-def: $vgpr91
	s_and_saveexec_b32 s90, vcc_lo
	s_xor_b32 s90, exec_lo, s90
; %bb.1167:                             ;   in Loop: Header=BB4_1138 Depth=3
	v_bfe_u32 v91, v92, 16, 1
	s_delay_alu instid0(VALU_DEP_1)
	v_add3_u32 v91, v92, v91, 0x7fff
                                        ; implicit-def: $vgpr92
; %bb.1168:                             ;   in Loop: Header=BB4_1138 Depth=3
	s_and_not1_saveexec_b32 s90, s90
; %bb.1169:                             ;   in Loop: Header=BB4_1138 Depth=3
	v_and_b32_e32 v91, 0xffff, v92
	v_or_b32_e32 v94, 0x10000, v92
	s_delay_alu instid0(VALU_DEP_2) | instskip(NEXT) | instid1(VALU_DEP_2)
	v_cmp_eq_u32_e32 vcc_lo, 0, v91
	v_cndmask_b32_e32 v91, v94, v92, vcc_lo
; %bb.1170:                             ;   in Loop: Header=BB4_1138 Depth=3
	s_or_b32 exec_lo, exec_lo, s90
	s_wait_loadcnt_dscnt 0x0
	v_dual_lshlrev_b32 v63, 16, v63 :: v_dual_lshlrev_b32 v89, 16, v89
	s_delay_alu instid0(VALU_DEP_1) | instskip(NEXT) | instid1(VALU_DEP_1)
	v_mul_f32_e32 v89, v89, v63
	v_and_b32_e32 v63, 0x7f800000, v89
	s_delay_alu instid0(VALU_DEP_1) | instskip(SKIP_1) | instid1(SALU_CYCLE_1)
	v_cmp_ne_u32_e32 vcc_lo, 0x7f800000, v63
                                        ; implicit-def: $vgpr63
	s_and_saveexec_b32 s90, vcc_lo
	s_xor_b32 s90, exec_lo, s90
; %bb.1171:                             ;   in Loop: Header=BB4_1138 Depth=3
	v_bfe_u32 v63, v89, 16, 1
	s_delay_alu instid0(VALU_DEP_1)
	v_add3_u32 v63, v89, v63, 0x7fff
                                        ; implicit-def: $vgpr89
; %bb.1172:                             ;   in Loop: Header=BB4_1138 Depth=3
	s_and_not1_saveexec_b32 s90, s90
; %bb.1173:                             ;   in Loop: Header=BB4_1138 Depth=3
	v_and_b32_e32 v63, 0xffff, v89
	v_or_b32_e32 v92, 0x10000, v89
	s_delay_alu instid0(VALU_DEP_2) | instskip(NEXT) | instid1(VALU_DEP_2)
	v_cmp_eq_u32_e32 vcc_lo, 0, v63
	v_cndmask_b32_e32 v63, v92, v89, vcc_lo
; %bb.1174:                             ;   in Loop: Header=BB4_1138 Depth=3
	s_or_b32 exec_lo, exec_lo, s90
	v_dual_lshrrev_b32 v89, 16, v95 :: v_dual_lshrrev_b32 v92, 16, v93
	v_lshrrev_b32_e32 v91, 16, v91
	s_delay_alu instid0(VALU_DEP_3)
	v_lshrrev_b32_e32 v63, 16, v63
	s_clause 0x3
	flat_store_b16 v[10:11], v89 th:TH_STORE_NT
	flat_store_b16 v[10:11], v92 offset:64 th:TH_STORE_NT
	flat_store_b16 v[10:11], v91 offset:128 th:TH_STORE_NT
	;; [unrolled: 1-line block ×3, first 2 shown]
	s_wait_xcnt 0x0
	v_add_nc_u64_e32 v[10:11], 0x100, v[10:11]
	s_clause 0x3
	flat_store_b16 v[8:9], v89 th:TH_STORE_NT
	flat_store_b16 v[8:9], v92 offset:64 th:TH_STORE_NT
	flat_store_b16 v[8:9], v91 offset:128 th:TH_STORE_NT
	;; [unrolled: 1-line block ×3, first 2 shown]
	s_wait_xcnt 0x0
	v_add_nc_u64_e32 v[8:9], 0x100, v[8:9]
	s_and_saveexec_b32 s90, s41
	s_cbranch_execz .LBB4_1137
; %bb.1175:                             ;   in Loop: Header=BB4_1138 Depth=3
	v_add_nc_u64_e32 v[10:11], v[10:11], v[80:81]
	s_delay_alu instid0(VALU_DEP_2)
	v_add_nc_u64_e32 v[8:9], v[8:9], v[80:81]
	v_add_nc_u64_e32 v[12:13], v[12:13], v[80:81]
	v_add_nc_u64_e32 v[14:15], v[14:15], v[80:81]
	v_sub_nc_u32_e32 v19, v19, v52
	s_branch .LBB4_1137
.LBB4_1176:                             ;   in Loop: Header=BB4_820 Depth=2
	s_or_b32 exec_lo, exec_lo, s40
	v_dual_lshlrev_b32 v89, 16, v90 :: v_dual_lshlrev_b32 v90, 16, v45
	v_dual_lshlrev_b32 v62, 16, v62 :: v_dual_lshlrev_b32 v63, 16, v57
	;; [unrolled: 1-line block ×4, first 2 shown]
	s_and_b32 s14, s14, exec_lo
.LBB4_1177:                             ;   in Loop: Header=BB4_820 Depth=2
	s_or_b32 exec_lo, exec_lo, s13
	s_and_saveexec_b32 s13, s14
	s_cbranch_execz .LBB4_1195
; %bb.1178:                             ;   in Loop: Header=BB4_820 Depth=2
	v_mul_f32_e32 v15, v90, v89
	s_delay_alu instid0(VALU_DEP_1) | instskip(NEXT) | instid1(VALU_DEP_1)
	v_and_b32_e32 v14, 0x7f800000, v15
	v_cmp_ne_u32_e32 vcc_lo, 0x7f800000, v14
                                        ; implicit-def: $vgpr14
	s_and_saveexec_b32 s14, vcc_lo
	s_delay_alu instid0(SALU_CYCLE_1)
	s_xor_b32 s14, exec_lo, s14
; %bb.1179:                             ;   in Loop: Header=BB4_820 Depth=2
	v_bfe_u32 v14, v15, 16, 1
	s_delay_alu instid0(VALU_DEP_1)
	v_add3_u32 v14, v15, v14, 0x7fff
                                        ; implicit-def: $vgpr15
; %bb.1180:                             ;   in Loop: Header=BB4_820 Depth=2
	s_and_not1_saveexec_b32 s14, s14
; %bb.1181:                             ;   in Loop: Header=BB4_820 Depth=2
	v_and_b32_e32 v14, 0xffff, v15
	v_or_b32_e32 v58, 0x10000, v15
	s_delay_alu instid0(VALU_DEP_2) | instskip(NEXT) | instid1(VALU_DEP_2)
	v_cmp_eq_u32_e32 vcc_lo, 0, v14
	v_cndmask_b32_e32 v14, v58, v15, vcc_lo
; %bb.1182:                             ;   in Loop: Header=BB4_820 Depth=2
	s_or_b32 exec_lo, exec_lo, s14
	v_mul_f32_e32 v58, v63, v62
	s_delay_alu instid0(VALU_DEP_1) | instskip(NEXT) | instid1(VALU_DEP_1)
	v_and_b32_e32 v15, 0x7f800000, v58
	v_cmp_ne_u32_e32 vcc_lo, 0x7f800000, v15
                                        ; implicit-def: $vgpr15
	s_and_saveexec_b32 s14, vcc_lo
	s_delay_alu instid0(SALU_CYCLE_1)
	s_xor_b32 s14, exec_lo, s14
; %bb.1183:                             ;   in Loop: Header=BB4_820 Depth=2
	v_bfe_u32 v15, v58, 16, 1
	s_delay_alu instid0(VALU_DEP_1)
	v_add3_u32 v15, v58, v15, 0x7fff
                                        ; implicit-def: $vgpr58
; %bb.1184:                             ;   in Loop: Header=BB4_820 Depth=2
	s_and_not1_saveexec_b32 s14, s14
; %bb.1185:                             ;   in Loop: Header=BB4_820 Depth=2
	v_and_b32_e32 v15, 0xffff, v58
	v_or_b32_e32 v59, 0x10000, v58
	s_delay_alu instid0(VALU_DEP_2) | instskip(NEXT) | instid1(VALU_DEP_2)
	v_cmp_eq_u32_e32 vcc_lo, 0, v15
	v_cndmask_b32_e32 v15, v59, v58, vcc_lo
; %bb.1186:                             ;   in Loop: Header=BB4_820 Depth=2
	s_or_b32 exec_lo, exec_lo, s14
	v_mul_f32_e32 v57, v57, v45
	s_delay_alu instid0(VALU_DEP_1) | instskip(NEXT) | instid1(VALU_DEP_1)
	v_and_b32_e32 v45, 0x7f800000, v57
	v_cmp_ne_u32_e32 vcc_lo, 0x7f800000, v45
                                        ; implicit-def: $vgpr45
	s_and_saveexec_b32 s14, vcc_lo
	s_delay_alu instid0(SALU_CYCLE_1)
	s_xor_b32 s14, exec_lo, s14
; %bb.1187:                             ;   in Loop: Header=BB4_820 Depth=2
	v_bfe_u32 v45, v57, 16, 1
	s_delay_alu instid0(VALU_DEP_1)
	v_add3_u32 v45, v57, v45, 0x7fff
                                        ; implicit-def: $vgpr57
; %bb.1188:                             ;   in Loop: Header=BB4_820 Depth=2
	s_and_not1_saveexec_b32 s14, s14
; %bb.1189:                             ;   in Loop: Header=BB4_820 Depth=2
	v_and_b32_e32 v45, 0xffff, v57
	v_or_b32_e32 v58, 0x10000, v57
	s_delay_alu instid0(VALU_DEP_2) | instskip(NEXT) | instid1(VALU_DEP_2)
	v_cmp_eq_u32_e32 vcc_lo, 0, v45
	v_cndmask_b32_e32 v45, v58, v57, vcc_lo
; %bb.1190:                             ;   in Loop: Header=BB4_820 Depth=2
	s_or_b32 exec_lo, exec_lo, s14
	v_mul_f32_e32 v13, v13, v12
	s_delay_alu instid0(VALU_DEP_1) | instskip(NEXT) | instid1(VALU_DEP_1)
	v_and_b32_e32 v12, 0x7f800000, v13
	v_cmp_ne_u32_e32 vcc_lo, 0x7f800000, v12
                                        ; implicit-def: $vgpr12
	s_and_saveexec_b32 s14, vcc_lo
	s_delay_alu instid0(SALU_CYCLE_1)
	s_xor_b32 s14, exec_lo, s14
; %bb.1191:                             ;   in Loop: Header=BB4_820 Depth=2
	v_bfe_u32 v12, v13, 16, 1
	s_delay_alu instid0(VALU_DEP_1)
	v_add3_u32 v12, v13, v12, 0x7fff
                                        ; implicit-def: $vgpr13
; %bb.1192:                             ;   in Loop: Header=BB4_820 Depth=2
	s_and_not1_saveexec_b32 s14, s14
; %bb.1193:                             ;   in Loop: Header=BB4_820 Depth=2
	v_and_b32_e32 v12, 0xffff, v13
	v_or_b32_e32 v57, 0x10000, v13
	s_delay_alu instid0(VALU_DEP_2) | instskip(NEXT) | instid1(VALU_DEP_2)
	v_cmp_eq_u32_e32 vcc_lo, 0, v12
	v_cndmask_b32_e32 v12, v57, v13, vcc_lo
; %bb.1194:                             ;   in Loop: Header=BB4_820 Depth=2
	s_or_b32 exec_lo, exec_lo, s14
	v_dual_lshrrev_b32 v13, 16, v14 :: v_dual_lshrrev_b32 v14, 16, v15
	s_delay_alu instid0(VALU_DEP_2)
	v_dual_lshrrev_b32 v15, 16, v45 :: v_dual_lshrrev_b32 v12, 16, v12
	s_clause 0x3
	flat_store_b16 v[10:11], v13 th:TH_STORE_NT
	flat_store_b16 v[10:11], v14 offset:64 th:TH_STORE_NT
	flat_store_b16 v[10:11], v15 offset:128 th:TH_STORE_NT
	;; [unrolled: 1-line block ×3, first 2 shown]
	s_clause 0x3
	flat_store_b16 v[8:9], v13 th:TH_STORE_NT
	flat_store_b16 v[8:9], v14 offset:64 th:TH_STORE_NT
	flat_store_b16 v[8:9], v15 offset:128 th:TH_STORE_NT
	;; [unrolled: 1-line block ×3, first 2 shown]
.LBB4_1195:                             ;   in Loop: Header=BB4_820 Depth=2
	s_wait_xcnt 0x0
	s_or_b32 exec_lo, exec_lo, s13
	v_lshlrev_b32_e32 v8, 8, v44
	s_delay_alu instid0(VALU_DEP_1)
	v_cmp_ne_u32_e32 vcc_lo, v46, v8
	s_and_b32 exec_lo, exec_lo, vcc_lo
	s_cbranch_execz .LBB4_1227
; %bb.1196:                             ;   in Loop: Header=BB4_820 Depth=2
	v_lshlrev_b32_e32 v9, 5, v19
	s_delay_alu instid0(VALU_DEP_1) | instskip(NEXT) | instid1(VALU_DEP_1)
	v_sub_nc_u32_e32 v9, v56, v9
	v_ashrrev_i32_e32 v10, 31, v9
	s_delay_alu instid0(VALU_DEP_1) | instskip(NEXT) | instid1(VALU_DEP_1)
	v_lshrrev_b32_e32 v10, 27, v10
	v_add_nc_u32_e32 v10, v9, v10
	s_delay_alu instid0(VALU_DEP_1) | instskip(NEXT) | instid1(VALU_DEP_1)
	v_and_b32_e32 v11, 0x7fffffe0, v10
	v_dual_lshlrev_b32 v10, 1, v10 :: v_dual_sub_nc_u32 v9, v9, v11
	s_delay_alu instid0(VALU_DEP_1) | instskip(NEXT) | instid1(VALU_DEP_2)
	v_and_b32_e32 v10, 0xffffffc0, v10
	v_lshlrev_b32_e32 v9, 1, v9
	s_delay_alu instid0(VALU_DEP_1) | instskip(NEXT) | instid1(VALU_DEP_1)
	v_add3_u32 v8, v10, v9, v8
	v_sub_nc_u32_e32 v19, v46, v8
	s_delay_alu instid0(VALU_DEP_1)
	v_cmp_lt_i32_e32 vcc_lo, 1, v19
	s_and_b32 exec_lo, exec_lo, vcc_lo
	s_cbranch_execz .LBB4_1227
; %bb.1197:                             ;   in Loop: Header=BB4_820 Depth=2
	s_trap 2
	ds_load_b64 v[14:15], v0
	v_add_nc_u32_e32 v44, v8, v47
	s_mov_b32 s92, 0
	s_mov_b32 s90, 0
                                        ; implicit-def: $sgpr91
	s_delay_alu instid0(VALU_DEP_1) | instskip(NEXT) | instid1(VALU_DEP_1)
	v_ashrrev_i32_e32 v45, 31, v44
	v_add_nc_u64_e32 v[8:9], v[40:41], v[44:45]
	v_add_nc_u64_e32 v[10:11], v[42:43], v[44:45]
	;; [unrolled: 1-line block ×3, first 2 shown]
	s_wait_dscnt 0x0
	v_add_nc_u64_e32 v[14:15], v[14:15], v[44:45]
	s_branch .LBB4_1199
.LBB4_1198:                             ;   in Loop: Header=BB4_1199 Depth=3
	s_or_b32 exec_lo, exec_lo, s13
	s_delay_alu instid0(VALU_DEP_1) | instskip(SKIP_3) | instid1(SALU_CYCLE_1)
	v_cmp_gt_i32_e32 vcc_lo, 2, v19
	s_or_b32 s90, vcc_lo, s90
	s_and_not1_b32 s13, s91, exec_lo
	s_and_b32 s14, s92, exec_lo
	s_or_b32 s91, s13, s14
	s_and_not1_b32 exec_lo, exec_lo, s90
	s_cbranch_execz .LBB4_1220
.LBB4_1199:                             ;   Parent Loop BB4_47 Depth=1
                                        ;     Parent Loop BB4_820 Depth=2
                                        ; =>    This Loop Header: Depth=3
                                        ;         Child Loop BB4_1200 Depth 4
                                        ;         Child Loop BB4_1207 Depth 4
	;; [unrolled: 1-line block ×4, first 2 shown]
	s_add_co_i32 s13, s33, 0x90
	s_mov_b64 s[40:41], 0
	s_mov_b32 s93, s13
	s_mov_b32 s94, -1
.LBB4_1200:                             ;   Parent Loop BB4_47 Depth=1
                                        ;     Parent Loop BB4_820 Depth=2
                                        ;       Parent Loop BB4_1199 Depth=3
                                        ; =>      This Inner Loop Header: Depth=4
	s_cmp_eq_u32 s40, 1
	s_cselect_b32 vcc_lo, -1, 0
	s_cmp_eq_u32 s40, 0
	v_dual_cndmask_b32 v43, v13, v15 :: v_dual_cndmask_b32 v42, v12, v14
	s_cselect_b32 s13, -1, 0
	s_and_b32 s14, exec_lo, s94
	s_mov_b64 s[40:41], 1
	s_mov_b32 s94, 0
	flat_load_u16 v44, v[42:43] th:TH_LOAD_NT
	s_wait_xcnt 0x0
	v_add_nc_u64_e32 v[42:43], 64, v[42:43]
	s_delay_alu instid0(VALU_DEP_1)
	v_dual_cndmask_b32 v13, v13, v43, s13 :: v_dual_cndmask_b32 v12, v12, v42, s13
	v_dual_cndmask_b32 v15, v15, v43 :: v_dual_cndmask_b32 v14, v14, v42
	s_add_co_i32 s13, s33, 0xb0
	s_mov_b32 vcc_lo, s14
	s_wait_loadcnt_dscnt 0x0
	scratch_store_b16 off, v44, s93
	s_wait_xcnt 0x0
	s_mov_b32 s93, s13
	s_cbranch_vccnz .LBB4_1200
; %bb.1201:                             ;   in Loop: Header=BB4_1199 Depth=3
	s_and_saveexec_b32 s93, s92
	s_cbranch_execz .LBB4_1209
; %bb.1202:                             ;   in Loop: Header=BB4_1199 Depth=3
	s_clause 0x1
	scratch_load_u16 v42, off, s33 offset:140
	scratch_load_u16 v43, off, s33 offset:142
	s_wait_loadcnt 0x0
	v_dual_lshlrev_b32 v42, 16, v42 :: v_dual_lshlrev_b32 v43, 16, v43
	s_delay_alu instid0(VALU_DEP_1) | instskip(NEXT) | instid1(VALU_DEP_1)
	v_mul_f32_e32 v42, v43, v42
	v_and_b32_e32 v43, 0x7f800000, v42
	s_delay_alu instid0(VALU_DEP_1) | instskip(SKIP_2) | instid1(SALU_CYCLE_1)
	v_cmp_ne_u32_e32 vcc_lo, 0x7f800000, v43
                                        ; implicit-def: $vgpr43
	s_wait_xcnt 0x0
	s_and_saveexec_b32 s13, vcc_lo
	s_xor_b32 s13, exec_lo, s13
; %bb.1203:                             ;   in Loop: Header=BB4_1199 Depth=3
	v_bfe_u32 v43, v42, 16, 1
	s_delay_alu instid0(VALU_DEP_1)
	v_add3_u32 v43, v42, v43, 0x7fff
                                        ; implicit-def: $vgpr42
; %bb.1204:                             ;   in Loop: Header=BB4_1199 Depth=3
	s_and_not1_saveexec_b32 s13, s13
; %bb.1205:                             ;   in Loop: Header=BB4_1199 Depth=3
	v_and_b32_e32 v43, 0xffff, v42
	v_or_b32_e32 v44, 0x10000, v42
	s_delay_alu instid0(VALU_DEP_2) | instskip(NEXT) | instid1(VALU_DEP_2)
	v_cmp_eq_u32_e32 vcc_lo, 0, v43
	v_cndmask_b32_e32 v43, v44, v42, vcc_lo
; %bb.1206:                             ;   in Loop: Header=BB4_1199 Depth=3
	s_or_b32 exec_lo, exec_lo, s13
	s_delay_alu instid0(VALU_DEP_1)
	v_lshrrev_b32_e32 v42, 16, v43
	s_mov_b64 s[40:41], 0
	s_mov_b32 s92, -1
	scratch_store_b16 off, v42, s33 offset:140
.LBB4_1207:                             ;   Parent Loop BB4_47 Depth=1
                                        ;     Parent Loop BB4_820 Depth=2
                                        ;       Parent Loop BB4_1199 Depth=3
                                        ; =>      This Inner Loop Header: Depth=4
	s_cmp_eq_u32 s40, 1
	s_cselect_b32 vcc_lo, -1, 0
	s_cmp_eq_u32 s40, 0
	s_wait_xcnt 0x0
	v_dual_cndmask_b32 v45, v9, v11 :: v_dual_cndmask_b32 v44, v8, v10
	s_cselect_b32 s13, -1, 0
	s_and_b32 s14, exec_lo, s92
	s_mov_b64 s[40:41], 1
	s_mov_b32 s92, 0
	v_add_nc_u64_e32 v[46:47], 64, v[44:45]
	flat_store_b16 v[44:45], v42 th:TH_STORE_NT
	v_dual_cndmask_b32 v11, v11, v47 :: v_dual_cndmask_b32 v10, v10, v46
	v_dual_cndmask_b32 v9, v9, v47, s13 :: v_dual_cndmask_b32 v8, v8, v46, s13
	s_mov_b32 vcc_lo, s14
	s_cbranch_vccnz .LBB4_1207
; %bb.1208:                             ;   in Loop: Header=BB4_1199 Depth=3
	s_delay_alu instid0(VALU_DEP_1)
	v_add_nc_u64_e32 v[8:9], v[8:9], v[84:85]
	v_add_nc_u64_e32 v[10:11], v[10:11], v[84:85]
.LBB4_1209:                             ;   in Loop: Header=BB4_1199 Depth=3
	s_wait_xcnt 0x0
	s_or_b32 exec_lo, exec_lo, s93
	v_sub_nc_u32_e32 v19, v19, v77
	v_add_nc_u64_e32 v[12:13], v[12:13], v[84:85]
	v_add_nc_u64_e32 v[14:15], v[14:15], v[84:85]
	s_delay_alu instid0(VALU_DEP_3)
	v_cmp_lt_i32_e64 s92, 1, v19
	s_and_saveexec_b32 s93, s92
	s_cbranch_execz .LBB4_1212
; %bb.1210:                             ;   in Loop: Header=BB4_1199 Depth=3
	s_add_co_i32 s13, s33, 0x8c
	s_mov_b64 s[40:41], 0
	s_mov_b32 s94, s13
	s_mov_b32 s95, -1
.LBB4_1211:                             ;   Parent Loop BB4_47 Depth=1
                                        ;     Parent Loop BB4_820 Depth=2
                                        ;       Parent Loop BB4_1199 Depth=3
                                        ; =>      This Inner Loop Header: Depth=4
	s_cmp_eq_u32 s40, 1
	s_cselect_b32 vcc_lo, -1, 0
	s_cmp_eq_u32 s40, 0
	v_dual_cndmask_b32 v43, v13, v15 :: v_dual_cndmask_b32 v42, v12, v14
	s_cselect_b32 s13, -1, 0
	s_and_b32 s14, exec_lo, s95
	s_mov_b64 s[40:41], 1
	s_mov_b32 s95, 0
	flat_load_u16 v44, v[42:43] th:TH_LOAD_NT
	s_wait_xcnt 0x0
	v_add_nc_u64_e32 v[42:43], 64, v[42:43]
	s_delay_alu instid0(VALU_DEP_1)
	v_dual_cndmask_b32 v13, v13, v43, s13 :: v_dual_cndmask_b32 v12, v12, v42, s13
	v_dual_cndmask_b32 v15, v15, v43 :: v_dual_cndmask_b32 v14, v14, v42
	s_add_co_i32 s13, s33, 0x8e
	s_mov_b32 vcc_lo, s14
	s_wait_loadcnt_dscnt 0x0
	scratch_store_b16 off, v44, s94
	s_wait_xcnt 0x0
	s_mov_b32 s94, s13
	s_cbranch_vccnz .LBB4_1211
.LBB4_1212:                             ;   in Loop: Header=BB4_1199 Depth=3
	s_or_b32 exec_lo, exec_lo, s93
	s_clause 0x1
	scratch_load_u16 v42, off, s33 offset:144
	scratch_load_u16 v43, off, s33 offset:176
	s_wait_loadcnt 0x0
	v_dual_lshlrev_b32 v42, 16, v42 :: v_dual_lshlrev_b32 v43, 16, v43
	s_delay_alu instid0(VALU_DEP_1) | instskip(NEXT) | instid1(VALU_DEP_1)
	v_mul_f32_e32 v42, v43, v42
	v_and_b32_e32 v43, 0x7f800000, v42
	s_delay_alu instid0(VALU_DEP_1) | instskip(SKIP_2) | instid1(SALU_CYCLE_1)
	v_cmp_ne_u32_e32 vcc_lo, 0x7f800000, v43
                                        ; implicit-def: $vgpr43
	s_wait_xcnt 0x0
	s_and_saveexec_b32 s13, vcc_lo
	s_xor_b32 s13, exec_lo, s13
; %bb.1213:                             ;   in Loop: Header=BB4_1199 Depth=3
	v_bfe_u32 v43, v42, 16, 1
	s_delay_alu instid0(VALU_DEP_1)
	v_add3_u32 v43, v42, v43, 0x7fff
                                        ; implicit-def: $vgpr42
; %bb.1214:                             ;   in Loop: Header=BB4_1199 Depth=3
	s_and_not1_saveexec_b32 s13, s13
; %bb.1215:                             ;   in Loop: Header=BB4_1199 Depth=3
	v_and_b32_e32 v43, 0xffff, v42
	v_or_b32_e32 v44, 0x10000, v42
	s_delay_alu instid0(VALU_DEP_2) | instskip(NEXT) | instid1(VALU_DEP_2)
	v_cmp_eq_u32_e32 vcc_lo, 0, v43
	v_cndmask_b32_e32 v43, v44, v42, vcc_lo
; %bb.1216:                             ;   in Loop: Header=BB4_1199 Depth=3
	s_or_b32 exec_lo, exec_lo, s13
	s_delay_alu instid0(VALU_DEP_1)
	v_lshrrev_b32_e32 v42, 16, v43
	s_mov_b64 s[40:41], 0
	s_mov_b32 s93, -1
	scratch_store_b16 off, v42, s33 offset:144
.LBB4_1217:                             ;   Parent Loop BB4_47 Depth=1
                                        ;     Parent Loop BB4_820 Depth=2
                                        ;       Parent Loop BB4_1199 Depth=3
                                        ; =>      This Inner Loop Header: Depth=4
	s_cmp_eq_u32 s40, 1
	s_cselect_b32 vcc_lo, -1, 0
	s_cmp_eq_u32 s40, 0
	s_wait_xcnt 0x0
	v_dual_cndmask_b32 v45, v9, v11 :: v_dual_cndmask_b32 v44, v8, v10
	s_cselect_b32 s13, -1, 0
	s_and_b32 s14, exec_lo, s93
	s_mov_b64 s[40:41], 1
	s_mov_b32 s93, 0
	v_add_nc_u64_e32 v[46:47], 64, v[44:45]
	flat_store_b16 v[44:45], v42 th:TH_STORE_NT
	v_dual_cndmask_b32 v11, v11, v47 :: v_dual_cndmask_b32 v10, v10, v46
	v_dual_cndmask_b32 v9, v9, v47, s13 :: v_dual_cndmask_b32 v8, v8, v46, s13
	s_mov_b32 vcc_lo, s14
	s_cbranch_vccnz .LBB4_1217
; %bb.1218:                             ;   in Loop: Header=BB4_1199 Depth=3
	s_wait_xcnt 0x0
	s_and_saveexec_b32 s13, s92
	s_cbranch_execz .LBB4_1198
; %bb.1219:                             ;   in Loop: Header=BB4_1199 Depth=3
	v_add_nc_u64_e32 v[8:9], v[8:9], v[84:85]
	v_add_nc_u64_e32 v[10:11], v[10:11], v[84:85]
	;; [unrolled: 1-line block ×4, first 2 shown]
	v_sub_nc_u32_e32 v19, v19, v77
	s_branch .LBB4_1198
.LBB4_1220:                             ;   in Loop: Header=BB4_820 Depth=2
	s_or_b32 exec_lo, exec_lo, s90
	s_delay_alu instid0(SALU_CYCLE_1)
	s_and_b32 exec_lo, exec_lo, s91
	s_cbranch_execz .LBB4_1227
; %bb.1221:                             ;   in Loop: Header=BB4_820 Depth=2
	s_clause 0x1
	scratch_load_u16 v12, off, s33 offset:140
	scratch_load_u16 v13, off, s33 offset:142
	s_wait_loadcnt 0x0
	v_dual_lshlrev_b32 v12, 16, v12 :: v_dual_lshlrev_b32 v13, 16, v13
	s_delay_alu instid0(VALU_DEP_1) | instskip(NEXT) | instid1(VALU_DEP_1)
	v_mul_f32_e32 v12, v13, v12
	v_and_b32_e32 v13, 0x7f800000, v12
	s_delay_alu instid0(VALU_DEP_1) | instskip(SKIP_2) | instid1(SALU_CYCLE_1)
	v_cmp_ne_u32_e32 vcc_lo, 0x7f800000, v13
                                        ; implicit-def: $vgpr13
	s_wait_xcnt 0x0
	s_and_saveexec_b32 s13, vcc_lo
	s_xor_b32 s13, exec_lo, s13
; %bb.1222:                             ;   in Loop: Header=BB4_820 Depth=2
	v_bfe_u32 v13, v12, 16, 1
	s_delay_alu instid0(VALU_DEP_1)
	v_add3_u32 v13, v12, v13, 0x7fff
                                        ; implicit-def: $vgpr12
; %bb.1223:                             ;   in Loop: Header=BB4_820 Depth=2
	s_and_not1_saveexec_b32 s13, s13
; %bb.1224:                             ;   in Loop: Header=BB4_820 Depth=2
	v_and_b32_e32 v13, 0xffff, v12
	v_or_b32_e32 v14, 0x10000, v12
	s_delay_alu instid0(VALU_DEP_2) | instskip(NEXT) | instid1(VALU_DEP_2)
	v_cmp_eq_u32_e32 vcc_lo, 0, v13
	v_cndmask_b32_e32 v13, v14, v12, vcc_lo
; %bb.1225:                             ;   in Loop: Header=BB4_820 Depth=2
	s_or_b32 exec_lo, exec_lo, s13
	s_delay_alu instid0(VALU_DEP_1)
	v_lshrrev_b32_e32 v12, 16, v13
	s_mov_b64 s[40:41], 0
	s_mov_b32 s90, -1
.LBB4_1226:                             ;   Parent Loop BB4_47 Depth=1
                                        ;     Parent Loop BB4_820 Depth=2
                                        ; =>    This Inner Loop Header: Depth=3
	s_cmp_eq_u32 s40, 1
	s_cselect_b32 vcc_lo, -1, 0
	s_cmp_eq_u32 s40, 0
	s_wait_xcnt 0x0
	v_dual_cndmask_b32 v15, v9, v11 :: v_dual_cndmask_b32 v14, v8, v10
	s_cselect_b32 s13, -1, 0
	s_and_b32 s14, exec_lo, s90
	s_mov_b64 s[40:41], 1
	s_mov_b32 s90, 0
	v_add_nc_u64_e32 v[42:43], 64, v[14:15]
	flat_store_b16 v[14:15], v12 th:TH_STORE_NT
	v_dual_cndmask_b32 v11, v11, v43 :: v_dual_cndmask_b32 v10, v10, v42
	v_dual_cndmask_b32 v9, v9, v43, s13 :: v_dual_cndmask_b32 v8, v8, v42, s13
	s_mov_b32 vcc_lo, s14
	s_cbranch_vccnz .LBB4_1226
.LBB4_1227:                             ;   in Loop: Header=BB4_820 Depth=2
	s_wait_xcnt 0x0
	s_or_b32 exec_lo, exec_lo, s15
	s_mov_b32 s13, 0
.LBB4_1228:                             ;   in Loop: Header=BB4_820 Depth=2
	s_delay_alu instid0(SALU_CYCLE_1)
	s_and_b32 vcc_lo, exec_lo, s13
	s_cbranch_vccz .LBB4_1311
; %bb.1229:                             ;   in Loop: Header=BB4_820 Depth=2
	s_mov_b32 s13, -1
	s_and_saveexec_b32 s14, s12
	s_cbranch_execz .LBB4_1231
; %bb.1230:                             ;   in Loop: Header=BB4_820 Depth=2
	ds_load_b32 v8, v0 offset:720
	s_wait_dscnt 0x0
	v_and_b32_e32 v8, 15, v8
	s_delay_alu instid0(VALU_DEP_1)
	v_cmp_eq_u32_e32 vcc_lo, 0, v8
	s_or_not1_b32 s13, vcc_lo, exec_lo
.LBB4_1231:                             ;   in Loop: Header=BB4_820 Depth=2
	s_or_b32 exec_lo, exec_lo, s14
	s_and_saveexec_b32 s14, s10
	s_cbranch_execz .LBB4_1233
; %bb.1232:                             ;   in Loop: Header=BB4_820 Depth=2
	ds_load_b32 v8, v0 offset:784
	s_wait_dscnt 0x0
	v_and_b32_e32 v8, 15, v8
	s_delay_alu instid0(VALU_DEP_1) | instskip(SKIP_3) | instid1(SALU_CYCLE_1)
	v_cmp_eq_u32_e32 vcc_lo, 0, v8
	s_and_b32 s15, s13, vcc_lo
	s_and_not1_b32 s13, s13, exec_lo
	s_and_b32 s15, s15, exec_lo
	s_or_b32 s13, s13, s15
.LBB4_1233:                             ;   in Loop: Header=BB4_820 Depth=2
	s_or_b32 exec_lo, exec_lo, s14
	s_xor_b32 s13, s13, -1
	s_delay_alu instid0(SALU_CYCLE_1) | instskip(SKIP_1) | instid1(VALU_DEP_1)
	v_cndmask_b32_e64 v8, 0, 1, s13
	s_mov_b32 s13, -1
	v_cmp_ne_u32_e32 vcc_lo, 0, v8
	s_cbranch_vccz .LBB4_1312
; %bb.1234:                             ;   in Loop: Header=BB4_820 Depth=2
	s_mov_b32 s90, -1
	v_mov_b32_e32 v14, 0
	s_cbranch_execnz .LBB4_1313
.LBB4_1235:                             ;   in Loop: Header=BB4_820 Depth=2
	v_ashrrev_i32_e32 v8, 31, v17
	s_trap 2
	ds_load_b64 v[42:43], v0
	s_wait_dscnt 0x1
	v_add_nc_u64_e32 v[44:45], v[40:41], v[64:65]
	v_sub_nc_u32_e32 v19, v17, v64
	v_lshrrev_b32_e32 v8, 23, v8
	s_mov_b32 s15, 0
	s_mov_b32 s91, exec_lo
	s_delay_alu instid0(VALU_DEP_1) | instskip(NEXT) | instid1(VALU_DEP_1)
	v_add_nc_u32_e32 v8, v17, v8
	v_and_b32_e32 v60, 0xfffffe00, v8
	v_ashrrev_i32_e32 v8, 9, v8
	s_delay_alu instid0(VALU_DEP_2) | instskip(NEXT) | instid1(VALU_DEP_1)
	v_sub_nc_u32_e32 v61, v17, v60
	v_cmp_lt_i32_e64 s13, 15, v61
	s_delay_alu instid0(VALU_DEP_1)
	v_add_co_ci_u32_e64 v62, null, v8, v79, s13
	v_cmpx_lt_i32_e32 15, v19
	s_cbranch_execz .LBB4_1315
; %bb.1236:                             ;   in Loop: Header=BB4_820 Depth=2
	v_add_nc_u64_e32 v[46:47], v[22:23], v[64:65]
	s_wait_dscnt 0x0
	v_add_nc_u64_e32 v[56:57], v[42:43], v[64:65]
	s_mov_b32 s94, 0
	s_mov_b32 s92, 0
                                        ; implicit-def: $sgpr93
	s_branch .LBB4_1238
.LBB4_1237:                             ;   in Loop: Header=BB4_1238 Depth=3
	s_or_b32 exec_lo, exec_lo, s14
	s_delay_alu instid0(VALU_DEP_2) | instskip(SKIP_3) | instid1(SALU_CYCLE_1)
	v_cmp_gt_i32_e32 vcc_lo, 16, v19
	s_or_b32 s92, vcc_lo, s92
	s_and_not1_b32 s14, s93, exec_lo
	s_and_b32 s15, s94, exec_lo
	s_or_b32 s93, s14, s15
	s_and_not1_b32 exec_lo, exec_lo, s92
	s_cbranch_execz .LBB4_1314
.LBB4_1238:                             ;   Parent Loop BB4_47 Depth=1
                                        ;     Parent Loop BB4_820 Depth=2
                                        ; =>    This Loop Header: Depth=3
                                        ;         Child Loop BB4_1239 Depth 4
                                        ;         Child Loop BB4_1276 Depth 4
	s_add_co_i32 s14, s33, 0x90
	s_mov_b64 s[40:41], 0
	s_mov_b32 s95, s14
	s_mov_b32 vcc_hi, -1
.LBB4_1239:                             ;   Parent Loop BB4_47 Depth=1
                                        ;     Parent Loop BB4_820 Depth=2
                                        ;       Parent Loop BB4_1238 Depth=3
                                        ; =>      This Inner Loop Header: Depth=4
	s_cmp_eq_u32 s40, 1
	s_cselect_b32 vcc_lo, -1, 0
	s_cmp_eq_u32 s40, 0
	v_dual_cndmask_b32 v13, v47, v57 :: v_dual_cndmask_b32 v12, v46, v56
	s_cselect_b32 s14, -1, 0
	s_and_b32 s15, exec_lo, vcc_hi
	s_mov_b64 s[40:41], 1
	s_mov_b32 vcc_hi, 0
	global_load_b128 v[8:11], v[12:13], off th:TH_LOAD_NT
	s_wait_xcnt 0x0
	v_add_nc_u64_e32 v[12:13], 0x200, v[12:13]
	s_delay_alu instid0(VALU_DEP_1)
	v_dual_cndmask_b32 v47, v47, v13, s14 :: v_dual_cndmask_b32 v46, v46, v12, s14
	v_dual_cndmask_b32 v57, v57, v13 :: v_dual_cndmask_b32 v56, v56, v12
	s_mov_b32 vcc_lo, s15
	s_wait_loadcnt 0x0
	scratch_store_b128 off, v[8:11], s95
	s_wait_xcnt 0x0
	s_mov_b32 s95, s72
	s_cbranch_vccnz .LBB4_1239
; %bb.1240:                             ;   in Loop: Header=BB4_1238 Depth=3
	s_and_saveexec_b32 s14, s94
	s_cbranch_execz .LBB4_1274
; %bb.1241:                             ;   in Loop: Header=BB4_1238 Depth=3
	s_clause 0x1
	scratch_load_b128 v[8:11], off, s33 offset:176
	scratch_load_b128 v[12:15], off, s33 offset:192
	s_mov_b32 s15, exec_lo
                                        ; implicit-def: $vgpr63
	s_wait_loadcnt 0x1
	v_lshlrev_b32_e32 v58, 16, v8
	s_wait_loadcnt 0x0
	v_lshlrev_b32_e32 v59, 16, v12
	s_delay_alu instid0(VALU_DEP_1) | instskip(NEXT) | instid1(VALU_DEP_1)
	v_mul_f32_e32 v58, v58, v59
	v_and_b32_e32 v59, 0x7f800000, v58
	s_wait_xcnt 0x0
	s_delay_alu instid0(VALU_DEP_1)
	v_cmpx_ne_u32_e32 0x7f800000, v59
	s_xor_b32 s15, exec_lo, s15
; %bb.1242:                             ;   in Loop: Header=BB4_1238 Depth=3
	v_bfe_u32 v59, v58, 16, 1
	s_delay_alu instid0(VALU_DEP_1)
	v_add3_u32 v63, v58, v59, 0x7fff
                                        ; implicit-def: $vgpr58
; %bb.1243:                             ;   in Loop: Header=BB4_1238 Depth=3
	s_and_not1_saveexec_b32 s15, s15
; %bb.1244:                             ;   in Loop: Header=BB4_1238 Depth=3
	v_and_b32_e32 v59, 0xffff, v58
	v_or_b32_e32 v63, 0x10000, v58
	s_delay_alu instid0(VALU_DEP_2) | instskip(NEXT) | instid1(VALU_DEP_2)
	v_cmp_eq_u32_e32 vcc_lo, 0, v59
	v_cndmask_b32_e32 v63, v63, v58, vcc_lo
; %bb.1245:                             ;   in Loop: Header=BB4_1238 Depth=3
	s_or_b32 exec_lo, exec_lo, s15
	v_and_b32_e32 v59, 0xffff0000, v12
	v_and_b32_e32 v58, 0xffff0000, v8
	s_mov_b32 s15, exec_lo
                                        ; implicit-def: $vgpr12
	s_delay_alu instid0(VALU_DEP_2) | instskip(NEXT) | instid1(VALU_DEP_1)
	v_mov_b32_e32 v8, v59
	v_pk_mul_f32 v[58:59], v[8:9], v[58:59]
	s_delay_alu instid0(VALU_DEP_1) | instskip(NEXT) | instid1(VALU_DEP_1)
	v_and_b32_e32 v8, 0x7f800000, v58
	v_cmpx_ne_u32_e32 0x7f800000, v8
	s_xor_b32 s15, exec_lo, s15
; %bb.1246:                             ;   in Loop: Header=BB4_1238 Depth=3
	v_bfe_u32 v8, v58, 16, 1
	s_delay_alu instid0(VALU_DEP_1)
	v_add3_u32 v12, v58, v8, 0x7fff
                                        ; implicit-def: $vgpr58_vgpr59
; %bb.1247:                             ;   in Loop: Header=BB4_1238 Depth=3
	s_and_not1_saveexec_b32 s15, s15
; %bb.1248:                             ;   in Loop: Header=BB4_1238 Depth=3
	v_and_b32_e32 v8, 0xffff, v58
	v_or_b32_e32 v12, 0x10000, v58
	s_delay_alu instid0(VALU_DEP_2) | instskip(NEXT) | instid1(VALU_DEP_2)
	v_cmp_eq_u32_e32 vcc_lo, 0, v8
	v_cndmask_b32_e32 v12, v12, v58, vcc_lo
; %bb.1249:                             ;   in Loop: Header=BB4_1238 Depth=3
	s_or_b32 exec_lo, exec_lo, s15
	v_lshlrev_b32_e32 v8, 16, v9
	v_lshlrev_b32_e32 v58, 16, v13
	s_delay_alu instid0(VALU_DEP_1) | instskip(NEXT) | instid1(VALU_DEP_1)
	v_mul_f32_e32 v8, v58, v8
	v_and_b32_e32 v58, 0x7f800000, v8
	s_delay_alu instid0(VALU_DEP_1) | instskip(SKIP_1) | instid1(SALU_CYCLE_1)
	v_cmp_ne_u32_e32 vcc_lo, 0x7f800000, v58
                                        ; implicit-def: $vgpr58
	s_and_saveexec_b32 s15, vcc_lo
	s_xor_b32 s15, exec_lo, s15
; %bb.1250:                             ;   in Loop: Header=BB4_1238 Depth=3
	v_bfe_u32 v58, v8, 16, 1
	s_delay_alu instid0(VALU_DEP_1)
	v_add3_u32 v58, v8, v58, 0x7fff
                                        ; implicit-def: $vgpr8
; %bb.1251:                             ;   in Loop: Header=BB4_1238 Depth=3
	s_and_not1_saveexec_b32 s15, s15
; %bb.1252:                             ;   in Loop: Header=BB4_1238 Depth=3
	v_and_b32_e32 v58, 0xffff, v8
	v_or_b32_e32 v59, 0x10000, v8
	s_delay_alu instid0(VALU_DEP_2) | instskip(NEXT) | instid1(VALU_DEP_2)
	v_cmp_eq_u32_e32 vcc_lo, 0, v58
	v_cndmask_b32_e32 v58, v59, v8, vcc_lo
; %bb.1253:                             ;   in Loop: Header=BB4_1238 Depth=3
	s_or_b32 exec_lo, exec_lo, s15
	v_and_b32_e32 v91, 0xffff0000, v13
	v_and_b32_e32 v90, 0xffff0000, v9
	s_mov_b32 s15, exec_lo
                                        ; implicit-def: $vgpr13
	s_delay_alu instid0(VALU_DEP_2) | instskip(NEXT) | instid1(VALU_DEP_1)
	v_mov_b32_e32 v8, v91
	v_pk_mul_f32 v[8:9], v[8:9], v[90:91]
	s_delay_alu instid0(VALU_DEP_1) | instskip(NEXT) | instid1(VALU_DEP_1)
	v_and_b32_e32 v9, 0x7f800000, v8
	v_cmpx_ne_u32_e32 0x7f800000, v9
	s_xor_b32 s15, exec_lo, s15
; %bb.1254:                             ;   in Loop: Header=BB4_1238 Depth=3
	v_bfe_u32 v9, v8, 16, 1
	s_delay_alu instid0(VALU_DEP_1)
	v_add3_u32 v13, v8, v9, 0x7fff
                                        ; implicit-def: $vgpr8_vgpr9
; %bb.1255:                             ;   in Loop: Header=BB4_1238 Depth=3
	s_and_not1_saveexec_b32 s15, s15
; %bb.1256:                             ;   in Loop: Header=BB4_1238 Depth=3
	v_and_b32_e32 v9, 0xffff, v8
	v_or_b32_e32 v13, 0x10000, v8
	s_delay_alu instid0(VALU_DEP_2) | instskip(NEXT) | instid1(VALU_DEP_2)
	v_cmp_eq_u32_e32 vcc_lo, 0, v9
	v_cndmask_b32_e32 v13, v13, v8, vcc_lo
; %bb.1257:                             ;   in Loop: Header=BB4_1238 Depth=3
	s_or_b32 exec_lo, exec_lo, s15
	v_lshlrev_b32_e32 v8, 16, v10
	v_lshlrev_b32_e32 v9, 16, v14
	s_mov_b32 s15, exec_lo
                                        ; implicit-def: $vgpr59
	s_delay_alu instid0(VALU_DEP_1) | instskip(NEXT) | instid1(VALU_DEP_1)
	v_mul_f32_e32 v8, v9, v8
	v_and_b32_e32 v9, 0x7f800000, v8
	s_delay_alu instid0(VALU_DEP_1)
	v_cmpx_ne_u32_e32 0x7f800000, v9
	s_xor_b32 s15, exec_lo, s15
; %bb.1258:                             ;   in Loop: Header=BB4_1238 Depth=3
	v_bfe_u32 v9, v8, 16, 1
	s_delay_alu instid0(VALU_DEP_1)
	v_add3_u32 v59, v8, v9, 0x7fff
                                        ; implicit-def: $vgpr8
; %bb.1259:                             ;   in Loop: Header=BB4_1238 Depth=3
	s_and_not1_saveexec_b32 s15, s15
; %bb.1260:                             ;   in Loop: Header=BB4_1238 Depth=3
	v_and_b32_e32 v9, 0xffff, v8
	v_or_b32_e32 v59, 0x10000, v8
	s_delay_alu instid0(VALU_DEP_2) | instskip(NEXT) | instid1(VALU_DEP_2)
	v_cmp_eq_u32_e32 vcc_lo, 0, v9
	v_cndmask_b32_e32 v59, v59, v8, vcc_lo
; %bb.1261:                             ;   in Loop: Header=BB4_1238 Depth=3
	s_or_b32 exec_lo, exec_lo, s15
	v_and_b32_e32 v9, 0xffff0000, v14
	v_and_b32_e32 v8, 0xffff0000, v10
	s_mov_b32 s15, exec_lo
	s_delay_alu instid0(VALU_DEP_2) | instskip(NEXT) | instid1(VALU_DEP_1)
	v_mov_b32_e32 v10, v9
	v_pk_mul_f32 v[8:9], v[10:11], v[8:9]
                                        ; implicit-def: $vgpr10
	s_delay_alu instid0(VALU_DEP_1) | instskip(NEXT) | instid1(VALU_DEP_1)
	v_and_b32_e32 v9, 0x7f800000, v8
	v_cmpx_ne_u32_e32 0x7f800000, v9
	s_xor_b32 s15, exec_lo, s15
; %bb.1262:                             ;   in Loop: Header=BB4_1238 Depth=3
	v_bfe_u32 v9, v8, 16, 1
	s_delay_alu instid0(VALU_DEP_1)
	v_add3_u32 v10, v8, v9, 0x7fff
                                        ; implicit-def: $vgpr8_vgpr9
; %bb.1263:                             ;   in Loop: Header=BB4_1238 Depth=3
	s_and_not1_saveexec_b32 s15, s15
; %bb.1264:                             ;   in Loop: Header=BB4_1238 Depth=3
	v_and_b32_e32 v9, 0xffff, v8
	v_or_b32_e32 v10, 0x10000, v8
	s_delay_alu instid0(VALU_DEP_2) | instskip(NEXT) | instid1(VALU_DEP_2)
	v_cmp_eq_u32_e32 vcc_lo, 0, v9
	v_cndmask_b32_e32 v10, v10, v8, vcc_lo
; %bb.1265:                             ;   in Loop: Header=BB4_1238 Depth=3
	s_or_b32 exec_lo, exec_lo, s15
	v_lshlrev_b32_e32 v8, 16, v11
	v_lshlrev_b32_e32 v9, 16, v15
	s_mov_b32 s15, exec_lo
                                        ; implicit-def: $vgpr14
	s_delay_alu instid0(VALU_DEP_1) | instskip(NEXT) | instid1(VALU_DEP_1)
	v_mul_f32_e32 v8, v9, v8
	v_and_b32_e32 v9, 0x7f800000, v8
	s_delay_alu instid0(VALU_DEP_1)
	v_cmpx_ne_u32_e32 0x7f800000, v9
	s_xor_b32 s15, exec_lo, s15
; %bb.1266:                             ;   in Loop: Header=BB4_1238 Depth=3
	v_bfe_u32 v9, v8, 16, 1
	s_delay_alu instid0(VALU_DEP_1)
	v_add3_u32 v14, v8, v9, 0x7fff
                                        ; implicit-def: $vgpr8
; %bb.1267:                             ;   in Loop: Header=BB4_1238 Depth=3
	s_and_not1_saveexec_b32 s15, s15
; %bb.1268:                             ;   in Loop: Header=BB4_1238 Depth=3
	v_and_b32_e32 v9, 0xffff, v8
	v_or_b32_e32 v14, 0x10000, v8
	s_delay_alu instid0(VALU_DEP_2) | instskip(NEXT) | instid1(VALU_DEP_2)
	v_cmp_eq_u32_e32 vcc_lo, 0, v9
	v_cndmask_b32_e32 v14, v14, v8, vcc_lo
; %bb.1269:                             ;   in Loop: Header=BB4_1238 Depth=3
	s_or_b32 exec_lo, exec_lo, s15
	v_and_b32_e32 v9, 0xffff0000, v15
	v_and_b32_e32 v8, 0xffff0000, v11
	s_mov_b32 s15, exec_lo
                                        ; implicit-def: $vgpr11
	s_delay_alu instid0(VALU_DEP_2) | instskip(NEXT) | instid1(VALU_DEP_1)
	v_mov_b32_e32 v90, v9
	v_pk_mul_f32 v[8:9], v[90:91], v[8:9]
	s_delay_alu instid0(VALU_DEP_1) | instskip(NEXT) | instid1(VALU_DEP_1)
	v_and_b32_e32 v9, 0x7f800000, v8
	v_cmpx_ne_u32_e32 0x7f800000, v9
	s_xor_b32 s15, exec_lo, s15
; %bb.1270:                             ;   in Loop: Header=BB4_1238 Depth=3
	v_bfe_u32 v9, v8, 16, 1
	s_delay_alu instid0(VALU_DEP_1)
	v_add3_u32 v11, v8, v9, 0x7fff
                                        ; implicit-def: $vgpr8_vgpr9
; %bb.1271:                             ;   in Loop: Header=BB4_1238 Depth=3
	s_and_not1_saveexec_b32 s15, s15
; %bb.1272:                             ;   in Loop: Header=BB4_1238 Depth=3
	v_and_b32_e32 v9, 0xffff, v8
	v_or_b32_e32 v11, 0x10000, v8
	s_delay_alu instid0(VALU_DEP_2) | instskip(NEXT) | instid1(VALU_DEP_2)
	v_cmp_eq_u32_e32 vcc_lo, 0, v9
	v_cndmask_b32_e32 v11, v11, v8, vcc_lo
; %bb.1273:                             ;   in Loop: Header=BB4_1238 Depth=3
	s_or_b32 exec_lo, exec_lo, s15
	v_dual_lshrrev_b32 v8, 16, v58 :: v_dual_lshrrev_b32 v15, 16, v63
	v_dual_lshrrev_b32 v58, 16, v59 :: v_dual_lshrrev_b32 v14, 16, v14
	s_delay_alu instid0(VALU_DEP_2) | instskip(NEXT) | instid1(VALU_DEP_3)
	v_and_or_b32 v9, 0xffff0000, v13, v8
	v_and_or_b32 v8, 0xffff0000, v12, v15
	s_delay_alu instid0(VALU_DEP_3) | instskip(NEXT) | instid1(VALU_DEP_4)
	v_and_or_b32 v10, 0xffff0000, v10, v58
	v_and_or_b32 v11, 0xffff0000, v11, v14
	global_store_b128 v[44:45], v[8:11], off th:TH_STORE_NT
	s_wait_xcnt 0x0
	v_add_nc_u64_e32 v[44:45], v[98:99], v[44:45]
	scratch_store_b128 off, v[8:11], s33 offset:176
.LBB4_1274:                             ;   in Loop: Header=BB4_1238 Depth=3
	s_wait_xcnt 0x0
	s_or_b32 exec_lo, exec_lo, s14
	v_sub_nc_u32_e32 v19, v19, v76
	v_add_nc_u64_e32 v[46:47], v[46:47], v[82:83]
	v_add_nc_u64_e32 v[56:57], v[56:57], v[82:83]
	s_delay_alu instid0(VALU_DEP_3)
	v_cmp_lt_i32_e64 s94, 15, v19
	s_and_saveexec_b32 s95, s94
	s_cbranch_execz .LBB4_1277
; %bb.1275:                             ;   in Loop: Header=BB4_1238 Depth=3
	s_add_co_i32 s14, s33, 0xb0
	s_mov_b64 s[40:41], 0
	s_mov_b32 vcc_hi, s14
	s_mov_b32 s30, -1
.LBB4_1276:                             ;   Parent Loop BB4_47 Depth=1
                                        ;     Parent Loop BB4_820 Depth=2
                                        ;       Parent Loop BB4_1238 Depth=3
                                        ; =>      This Inner Loop Header: Depth=4
	s_cmp_eq_u32 s40, 1
	s_cselect_b32 vcc_lo, -1, 0
	s_cmp_eq_u32 s40, 0
	v_dual_cndmask_b32 v13, v47, v57 :: v_dual_cndmask_b32 v12, v46, v56
	s_cselect_b32 s14, -1, 0
	s_and_b32 s15, exec_lo, s30
	s_mov_b64 s[40:41], 1
	s_mov_b32 s30, 0
	global_load_b128 v[8:11], v[12:13], off th:TH_LOAD_NT
	s_wait_xcnt 0x0
	v_add_nc_u64_e32 v[12:13], 0x200, v[12:13]
	s_delay_alu instid0(VALU_DEP_1)
	v_dual_cndmask_b32 v47, v47, v13, s14 :: v_dual_cndmask_b32 v46, v46, v12, s14
	v_dual_cndmask_b32 v57, v57, v13 :: v_dual_cndmask_b32 v56, v56, v12
	s_mov_b32 vcc_lo, s15
	s_wait_loadcnt 0x0
	scratch_store_b128 off, v[8:11], vcc_hi
	s_wait_xcnt 0x0
	s_mov_b32 vcc_hi, s63
	s_cbranch_vccnz .LBB4_1276
.LBB4_1277:                             ;   in Loop: Header=BB4_1238 Depth=3
	s_or_b32 exec_lo, exec_lo, s95
	s_clause 0x1
	scratch_load_b128 v[8:11], off, s33 offset:144
	scratch_load_b128 v[12:15], off, s33 offset:160
	s_mov_b32 s14, exec_lo
                                        ; implicit-def: $vgpr63
	s_wait_loadcnt 0x1
	v_lshlrev_b32_e32 v58, 16, v8
	s_wait_loadcnt 0x0
	v_lshlrev_b32_e32 v59, 16, v12
	s_delay_alu instid0(VALU_DEP_1) | instskip(NEXT) | instid1(VALU_DEP_1)
	v_mul_f32_e32 v58, v58, v59
	v_and_b32_e32 v59, 0x7f800000, v58
	s_wait_xcnt 0x0
	s_delay_alu instid0(VALU_DEP_1)
	v_cmpx_ne_u32_e32 0x7f800000, v59
	s_xor_b32 s14, exec_lo, s14
; %bb.1278:                             ;   in Loop: Header=BB4_1238 Depth=3
	v_bfe_u32 v59, v58, 16, 1
	s_delay_alu instid0(VALU_DEP_1)
	v_add3_u32 v63, v58, v59, 0x7fff
                                        ; implicit-def: $vgpr58
; %bb.1279:                             ;   in Loop: Header=BB4_1238 Depth=3
	s_and_not1_saveexec_b32 s14, s14
; %bb.1280:                             ;   in Loop: Header=BB4_1238 Depth=3
	v_and_b32_e32 v59, 0xffff, v58
	v_or_b32_e32 v63, 0x10000, v58
	s_delay_alu instid0(VALU_DEP_2) | instskip(NEXT) | instid1(VALU_DEP_2)
	v_cmp_eq_u32_e32 vcc_lo, 0, v59
	v_cndmask_b32_e32 v63, v63, v58, vcc_lo
; %bb.1281:                             ;   in Loop: Header=BB4_1238 Depth=3
	s_or_b32 exec_lo, exec_lo, s14
	v_and_b32_e32 v59, 0xffff0000, v12
	v_and_b32_e32 v58, 0xffff0000, v8
	s_mov_b32 s14, exec_lo
                                        ; implicit-def: $vgpr12
	s_delay_alu instid0(VALU_DEP_2) | instskip(NEXT) | instid1(VALU_DEP_1)
	v_mov_b32_e32 v8, v59
	v_pk_mul_f32 v[58:59], v[8:9], v[58:59]
	s_delay_alu instid0(VALU_DEP_1) | instskip(NEXT) | instid1(VALU_DEP_1)
	v_and_b32_e32 v8, 0x7f800000, v58
	v_cmpx_ne_u32_e32 0x7f800000, v8
	s_xor_b32 s14, exec_lo, s14
; %bb.1282:                             ;   in Loop: Header=BB4_1238 Depth=3
	v_bfe_u32 v8, v58, 16, 1
	s_delay_alu instid0(VALU_DEP_1)
	v_add3_u32 v12, v58, v8, 0x7fff
                                        ; implicit-def: $vgpr58_vgpr59
; %bb.1283:                             ;   in Loop: Header=BB4_1238 Depth=3
	s_and_not1_saveexec_b32 s14, s14
; %bb.1284:                             ;   in Loop: Header=BB4_1238 Depth=3
	v_and_b32_e32 v8, 0xffff, v58
	v_or_b32_e32 v12, 0x10000, v58
	s_delay_alu instid0(VALU_DEP_2) | instskip(NEXT) | instid1(VALU_DEP_2)
	v_cmp_eq_u32_e32 vcc_lo, 0, v8
	v_cndmask_b32_e32 v12, v12, v58, vcc_lo
; %bb.1285:                             ;   in Loop: Header=BB4_1238 Depth=3
	s_or_b32 exec_lo, exec_lo, s14
	v_lshlrev_b32_e32 v8, 16, v9
	v_lshlrev_b32_e32 v58, 16, v13
	s_delay_alu instid0(VALU_DEP_1) | instskip(NEXT) | instid1(VALU_DEP_1)
	v_mul_f32_e32 v8, v58, v8
	v_and_b32_e32 v58, 0x7f800000, v8
	s_delay_alu instid0(VALU_DEP_1) | instskip(SKIP_1) | instid1(SALU_CYCLE_1)
	v_cmp_ne_u32_e32 vcc_lo, 0x7f800000, v58
                                        ; implicit-def: $vgpr58
	s_and_saveexec_b32 s14, vcc_lo
	s_xor_b32 s14, exec_lo, s14
; %bb.1286:                             ;   in Loop: Header=BB4_1238 Depth=3
	v_bfe_u32 v58, v8, 16, 1
	s_delay_alu instid0(VALU_DEP_1)
	v_add3_u32 v58, v8, v58, 0x7fff
                                        ; implicit-def: $vgpr8
; %bb.1287:                             ;   in Loop: Header=BB4_1238 Depth=3
	s_and_not1_saveexec_b32 s14, s14
; %bb.1288:                             ;   in Loop: Header=BB4_1238 Depth=3
	v_and_b32_e32 v58, 0xffff, v8
	v_or_b32_e32 v59, 0x10000, v8
	s_delay_alu instid0(VALU_DEP_2) | instskip(NEXT) | instid1(VALU_DEP_2)
	v_cmp_eq_u32_e32 vcc_lo, 0, v58
	v_cndmask_b32_e32 v58, v59, v8, vcc_lo
; %bb.1289:                             ;   in Loop: Header=BB4_1238 Depth=3
	s_or_b32 exec_lo, exec_lo, s14
	v_and_b32_e32 v91, 0xffff0000, v13
	v_and_b32_e32 v90, 0xffff0000, v9
	s_mov_b32 s14, exec_lo
                                        ; implicit-def: $vgpr13
	s_delay_alu instid0(VALU_DEP_2) | instskip(NEXT) | instid1(VALU_DEP_1)
	v_mov_b32_e32 v8, v91
	v_pk_mul_f32 v[8:9], v[8:9], v[90:91]
	s_delay_alu instid0(VALU_DEP_1) | instskip(NEXT) | instid1(VALU_DEP_1)
	v_and_b32_e32 v9, 0x7f800000, v8
	v_cmpx_ne_u32_e32 0x7f800000, v9
	s_xor_b32 s14, exec_lo, s14
; %bb.1290:                             ;   in Loop: Header=BB4_1238 Depth=3
	v_bfe_u32 v9, v8, 16, 1
	s_delay_alu instid0(VALU_DEP_1)
	v_add3_u32 v13, v8, v9, 0x7fff
                                        ; implicit-def: $vgpr8_vgpr9
; %bb.1291:                             ;   in Loop: Header=BB4_1238 Depth=3
	s_and_not1_saveexec_b32 s14, s14
; %bb.1292:                             ;   in Loop: Header=BB4_1238 Depth=3
	v_and_b32_e32 v9, 0xffff, v8
	v_or_b32_e32 v13, 0x10000, v8
	s_delay_alu instid0(VALU_DEP_2) | instskip(NEXT) | instid1(VALU_DEP_2)
	v_cmp_eq_u32_e32 vcc_lo, 0, v9
	v_cndmask_b32_e32 v13, v13, v8, vcc_lo
; %bb.1293:                             ;   in Loop: Header=BB4_1238 Depth=3
	s_or_b32 exec_lo, exec_lo, s14
	v_lshlrev_b32_e32 v8, 16, v10
	v_lshlrev_b32_e32 v9, 16, v14
	s_mov_b32 s14, exec_lo
                                        ; implicit-def: $vgpr59
	s_delay_alu instid0(VALU_DEP_1) | instskip(NEXT) | instid1(VALU_DEP_1)
	v_mul_f32_e32 v8, v9, v8
	v_and_b32_e32 v9, 0x7f800000, v8
	s_delay_alu instid0(VALU_DEP_1)
	v_cmpx_ne_u32_e32 0x7f800000, v9
	s_xor_b32 s14, exec_lo, s14
; %bb.1294:                             ;   in Loop: Header=BB4_1238 Depth=3
	v_bfe_u32 v9, v8, 16, 1
	s_delay_alu instid0(VALU_DEP_1)
	v_add3_u32 v59, v8, v9, 0x7fff
                                        ; implicit-def: $vgpr8
; %bb.1295:                             ;   in Loop: Header=BB4_1238 Depth=3
	s_and_not1_saveexec_b32 s14, s14
; %bb.1296:                             ;   in Loop: Header=BB4_1238 Depth=3
	v_and_b32_e32 v9, 0xffff, v8
	v_or_b32_e32 v59, 0x10000, v8
	s_delay_alu instid0(VALU_DEP_2) | instskip(NEXT) | instid1(VALU_DEP_2)
	v_cmp_eq_u32_e32 vcc_lo, 0, v9
	v_cndmask_b32_e32 v59, v59, v8, vcc_lo
; %bb.1297:                             ;   in Loop: Header=BB4_1238 Depth=3
	s_or_b32 exec_lo, exec_lo, s14
	v_and_b32_e32 v9, 0xffff0000, v14
	v_and_b32_e32 v8, 0xffff0000, v10
	s_mov_b32 s14, exec_lo
	s_delay_alu instid0(VALU_DEP_2) | instskip(NEXT) | instid1(VALU_DEP_1)
	v_mov_b32_e32 v10, v9
	v_pk_mul_f32 v[8:9], v[10:11], v[8:9]
                                        ; implicit-def: $vgpr10
	s_delay_alu instid0(VALU_DEP_1) | instskip(NEXT) | instid1(VALU_DEP_1)
	v_and_b32_e32 v9, 0x7f800000, v8
	v_cmpx_ne_u32_e32 0x7f800000, v9
	s_xor_b32 s14, exec_lo, s14
; %bb.1298:                             ;   in Loop: Header=BB4_1238 Depth=3
	v_bfe_u32 v9, v8, 16, 1
	s_delay_alu instid0(VALU_DEP_1)
	v_add3_u32 v10, v8, v9, 0x7fff
                                        ; implicit-def: $vgpr8_vgpr9
; %bb.1299:                             ;   in Loop: Header=BB4_1238 Depth=3
	s_and_not1_saveexec_b32 s14, s14
; %bb.1300:                             ;   in Loop: Header=BB4_1238 Depth=3
	v_and_b32_e32 v9, 0xffff, v8
	v_or_b32_e32 v10, 0x10000, v8
	s_delay_alu instid0(VALU_DEP_2) | instskip(NEXT) | instid1(VALU_DEP_2)
	v_cmp_eq_u32_e32 vcc_lo, 0, v9
	v_cndmask_b32_e32 v10, v10, v8, vcc_lo
; %bb.1301:                             ;   in Loop: Header=BB4_1238 Depth=3
	s_or_b32 exec_lo, exec_lo, s14
	v_lshlrev_b32_e32 v8, 16, v11
	v_lshlrev_b32_e32 v9, 16, v15
	s_mov_b32 s14, exec_lo
                                        ; implicit-def: $vgpr14
	s_delay_alu instid0(VALU_DEP_1) | instskip(NEXT) | instid1(VALU_DEP_1)
	v_mul_f32_e32 v8, v9, v8
	v_and_b32_e32 v9, 0x7f800000, v8
	s_delay_alu instid0(VALU_DEP_1)
	v_cmpx_ne_u32_e32 0x7f800000, v9
	s_xor_b32 s14, exec_lo, s14
; %bb.1302:                             ;   in Loop: Header=BB4_1238 Depth=3
	v_bfe_u32 v9, v8, 16, 1
	s_delay_alu instid0(VALU_DEP_1)
	v_add3_u32 v14, v8, v9, 0x7fff
                                        ; implicit-def: $vgpr8
; %bb.1303:                             ;   in Loop: Header=BB4_1238 Depth=3
	s_and_not1_saveexec_b32 s14, s14
; %bb.1304:                             ;   in Loop: Header=BB4_1238 Depth=3
	v_and_b32_e32 v9, 0xffff, v8
	v_or_b32_e32 v14, 0x10000, v8
	s_delay_alu instid0(VALU_DEP_2) | instskip(NEXT) | instid1(VALU_DEP_2)
	v_cmp_eq_u32_e32 vcc_lo, 0, v9
	v_cndmask_b32_e32 v14, v14, v8, vcc_lo
; %bb.1305:                             ;   in Loop: Header=BB4_1238 Depth=3
	s_or_b32 exec_lo, exec_lo, s14
	v_and_b32_e32 v9, 0xffff0000, v15
	v_and_b32_e32 v8, 0xffff0000, v11
	s_mov_b32 s14, exec_lo
                                        ; implicit-def: $vgpr11
	s_delay_alu instid0(VALU_DEP_2) | instskip(NEXT) | instid1(VALU_DEP_1)
	v_mov_b32_e32 v90, v9
	v_pk_mul_f32 v[8:9], v[90:91], v[8:9]
	s_delay_alu instid0(VALU_DEP_1) | instskip(NEXT) | instid1(VALU_DEP_1)
	v_and_b32_e32 v9, 0x7f800000, v8
	v_cmpx_ne_u32_e32 0x7f800000, v9
	s_xor_b32 s14, exec_lo, s14
; %bb.1306:                             ;   in Loop: Header=BB4_1238 Depth=3
	v_bfe_u32 v9, v8, 16, 1
	s_delay_alu instid0(VALU_DEP_1)
	v_add3_u32 v11, v8, v9, 0x7fff
                                        ; implicit-def: $vgpr8_vgpr9
; %bb.1307:                             ;   in Loop: Header=BB4_1238 Depth=3
	s_and_not1_saveexec_b32 s14, s14
; %bb.1308:                             ;   in Loop: Header=BB4_1238 Depth=3
	v_and_b32_e32 v9, 0xffff, v8
	v_or_b32_e32 v11, 0x10000, v8
	s_delay_alu instid0(VALU_DEP_2) | instskip(NEXT) | instid1(VALU_DEP_2)
	v_cmp_eq_u32_e32 vcc_lo, 0, v9
	v_cndmask_b32_e32 v11, v11, v8, vcc_lo
; %bb.1309:                             ;   in Loop: Header=BB4_1238 Depth=3
	s_or_b32 exec_lo, exec_lo, s14
	v_dual_lshrrev_b32 v8, 16, v58 :: v_dual_lshrrev_b32 v15, 16, v63
	v_dual_lshrrev_b32 v58, 16, v59 :: v_dual_lshrrev_b32 v14, 16, v14
	v_sub_nc_u32_e32 v62, v62, v52
	s_delay_alu instid0(VALU_DEP_3) | instskip(NEXT) | instid1(VALU_DEP_4)
	v_and_or_b32 v9, 0xffff0000, v13, v8
	v_and_or_b32 v8, 0xffff0000, v12, v15
	s_delay_alu instid0(VALU_DEP_4)
	v_and_or_b32 v10, 0xffff0000, v10, v58
	v_and_or_b32 v11, 0xffff0000, v11, v14
	global_store_b128 v[44:45], v[8:11], off th:TH_STORE_NT
	s_wait_xcnt 0x0
	v_add_nc_u64_e32 v[44:45], 0x200, v[44:45]
	scratch_store_b128 off, v[8:11], s33 offset:144
	s_wait_xcnt 0x0
	s_and_saveexec_b32 s14, s94
	s_cbranch_execz .LBB4_1237
; %bb.1310:                             ;   in Loop: Header=BB4_1238 Depth=3
	v_add_nc_u64_e32 v[46:47], v[46:47], v[82:83]
	v_add_nc_u64_e32 v[56:57], v[56:57], v[82:83]
	v_add_nc_u64_e32 v[44:45], v[44:45], v[82:83]
	v_sub_nc_u32_e32 v19, v19, v76
	v_sub_nc_u32_e32 v62, v62, v52
	s_branch .LBB4_1237
.LBB4_1311:                             ;   in Loop: Header=BB4_820 Depth=2
	v_cmp_lt_i32_e64 s13, 0, v2
	s_and_saveexec_b32 s14, s2
	s_cbranch_execnz .LBB4_1549
	s_branch .LBB4_1567
.LBB4_1312:                             ;   in Loop: Header=BB4_820 Depth=2
	s_mov_b32 s90, 0
	v_mov_b32_e32 v14, 0
	s_and_not1_b32 vcc_lo, exec_lo, s13
	s_cbranch_vccz .LBB4_1235
.LBB4_1313:                             ;   in Loop: Header=BB4_820 Depth=2
	v_dual_mov_b32 v15, v0 :: v_dual_mov_b32 v8, v78
	s_and_saveexec_b32 s15, s90
	s_cbranch_execnz .LBB4_1465
	s_branch .LBB4_1548
.LBB4_1314:                             ;   in Loop: Header=BB4_820 Depth=2
	s_or_b32 exec_lo, exec_lo, s92
	s_delay_alu instid0(SALU_CYCLE_1)
	s_and_b32 s15, s93, exec_lo
.LBB4_1315:                             ;   in Loop: Header=BB4_820 Depth=2
	s_or_b32 exec_lo, exec_lo, s91
	s_and_saveexec_b32 s14, s15
	s_cbranch_execz .LBB4_1349
; %bb.1316:                             ;   in Loop: Header=BB4_820 Depth=2
	s_clause 0x1
	scratch_load_b128 v[8:11], off, s33 offset:176
	scratch_load_b128 v[12:15], off, s33 offset:192
	s_wait_loadcnt 0x1
	v_lshlrev_b32_e32 v19, 16, v8
	s_wait_loadcnt 0x0
	v_lshlrev_b32_e32 v46, 16, v12
	s_delay_alu instid0(VALU_DEP_1) | instskip(NEXT) | instid1(VALU_DEP_1)
	v_mul_f32_e32 v46, v19, v46
	v_and_b32_e32 v19, 0x7f800000, v46
	s_delay_alu instid0(VALU_DEP_1) | instskip(SKIP_2) | instid1(SALU_CYCLE_1)
	v_cmp_ne_u32_e32 vcc_lo, 0x7f800000, v19
                                        ; implicit-def: $vgpr19
	s_wait_xcnt 0x0
	s_and_saveexec_b32 s15, vcc_lo
	s_xor_b32 s15, exec_lo, s15
; %bb.1317:                             ;   in Loop: Header=BB4_820 Depth=2
	v_bfe_u32 v19, v46, 16, 1
	s_delay_alu instid0(VALU_DEP_1)
	v_add3_u32 v19, v46, v19, 0x7fff
                                        ; implicit-def: $vgpr46
; %bb.1318:                             ;   in Loop: Header=BB4_820 Depth=2
	s_and_not1_saveexec_b32 s15, s15
; %bb.1319:                             ;   in Loop: Header=BB4_820 Depth=2
	v_and_b32_e32 v19, 0xffff, v46
	v_or_b32_e32 v47, 0x10000, v46
	s_delay_alu instid0(VALU_DEP_2) | instskip(NEXT) | instid1(VALU_DEP_2)
	v_cmp_eq_u32_e32 vcc_lo, 0, v19
	v_cndmask_b32_e32 v19, v47, v46, vcc_lo
; %bb.1320:                             ;   in Loop: Header=BB4_820 Depth=2
	s_or_b32 exec_lo, exec_lo, s15
	v_and_b32_e32 v47, 0xffff0000, v12
	v_and_b32_e32 v46, 0xffff0000, v8
	s_mov_b32 s15, exec_lo
                                        ; implicit-def: $vgpr12
	s_delay_alu instid0(VALU_DEP_2) | instskip(NEXT) | instid1(VALU_DEP_1)
	v_mov_b32_e32 v8, v47
	v_pk_mul_f32 v[46:47], v[8:9], v[46:47]
	s_delay_alu instid0(VALU_DEP_1) | instskip(NEXT) | instid1(VALU_DEP_1)
	v_and_b32_e32 v8, 0x7f800000, v46
	v_cmpx_ne_u32_e32 0x7f800000, v8
	s_xor_b32 s15, exec_lo, s15
; %bb.1321:                             ;   in Loop: Header=BB4_820 Depth=2
	v_bfe_u32 v8, v46, 16, 1
	s_delay_alu instid0(VALU_DEP_1)
	v_add3_u32 v12, v46, v8, 0x7fff
                                        ; implicit-def: $vgpr46_vgpr47
; %bb.1322:                             ;   in Loop: Header=BB4_820 Depth=2
	s_and_not1_saveexec_b32 s15, s15
; %bb.1323:                             ;   in Loop: Header=BB4_820 Depth=2
	v_and_b32_e32 v8, 0xffff, v46
	v_or_b32_e32 v12, 0x10000, v46
	s_delay_alu instid0(VALU_DEP_2) | instskip(NEXT) | instid1(VALU_DEP_2)
	v_cmp_eq_u32_e32 vcc_lo, 0, v8
	v_cndmask_b32_e32 v12, v12, v46, vcc_lo
; %bb.1324:                             ;   in Loop: Header=BB4_820 Depth=2
	s_or_b32 exec_lo, exec_lo, s15
	v_lshlrev_b32_e32 v8, 16, v9
	v_lshlrev_b32_e32 v46, 16, v13
	s_delay_alu instid0(VALU_DEP_1) | instskip(NEXT) | instid1(VALU_DEP_1)
	v_mul_f32_e32 v8, v46, v8
	v_and_b32_e32 v46, 0x7f800000, v8
	s_delay_alu instid0(VALU_DEP_1) | instskip(SKIP_1) | instid1(SALU_CYCLE_1)
	v_cmp_ne_u32_e32 vcc_lo, 0x7f800000, v46
                                        ; implicit-def: $vgpr46
	s_and_saveexec_b32 s15, vcc_lo
	s_xor_b32 s15, exec_lo, s15
; %bb.1325:                             ;   in Loop: Header=BB4_820 Depth=2
	v_bfe_u32 v46, v8, 16, 1
	s_delay_alu instid0(VALU_DEP_1)
	v_add3_u32 v46, v8, v46, 0x7fff
                                        ; implicit-def: $vgpr8
; %bb.1326:                             ;   in Loop: Header=BB4_820 Depth=2
	s_and_not1_saveexec_b32 s15, s15
; %bb.1327:                             ;   in Loop: Header=BB4_820 Depth=2
	v_and_b32_e32 v46, 0xffff, v8
	v_or_b32_e32 v47, 0x10000, v8
	s_delay_alu instid0(VALU_DEP_2) | instskip(NEXT) | instid1(VALU_DEP_2)
	v_cmp_eq_u32_e32 vcc_lo, 0, v46
	v_cndmask_b32_e32 v46, v47, v8, vcc_lo
; %bb.1328:                             ;   in Loop: Header=BB4_820 Depth=2
	s_or_b32 exec_lo, exec_lo, s15
	v_and_b32_e32 v57, 0xffff0000, v13
	v_and_b32_e32 v56, 0xffff0000, v9
	s_mov_b32 s15, exec_lo
                                        ; implicit-def: $vgpr13
	s_delay_alu instid0(VALU_DEP_2) | instskip(NEXT) | instid1(VALU_DEP_1)
	v_mov_b32_e32 v8, v57
	v_pk_mul_f32 v[8:9], v[8:9], v[56:57]
	s_delay_alu instid0(VALU_DEP_1) | instskip(NEXT) | instid1(VALU_DEP_1)
	v_and_b32_e32 v9, 0x7f800000, v8
	v_cmpx_ne_u32_e32 0x7f800000, v9
	s_xor_b32 s15, exec_lo, s15
; %bb.1329:                             ;   in Loop: Header=BB4_820 Depth=2
	v_bfe_u32 v9, v8, 16, 1
	s_delay_alu instid0(VALU_DEP_1)
	v_add3_u32 v13, v8, v9, 0x7fff
                                        ; implicit-def: $vgpr8_vgpr9
; %bb.1330:                             ;   in Loop: Header=BB4_820 Depth=2
	s_and_not1_saveexec_b32 s15, s15
; %bb.1331:                             ;   in Loop: Header=BB4_820 Depth=2
	v_and_b32_e32 v9, 0xffff, v8
	v_or_b32_e32 v13, 0x10000, v8
	s_delay_alu instid0(VALU_DEP_2) | instskip(NEXT) | instid1(VALU_DEP_2)
	v_cmp_eq_u32_e32 vcc_lo, 0, v9
	v_cndmask_b32_e32 v13, v13, v8, vcc_lo
; %bb.1332:                             ;   in Loop: Header=BB4_820 Depth=2
	s_or_b32 exec_lo, exec_lo, s15
	v_lshlrev_b32_e32 v8, 16, v10
	v_lshlrev_b32_e32 v9, 16, v14
	s_mov_b32 s15, exec_lo
                                        ; implicit-def: $vgpr47
	s_delay_alu instid0(VALU_DEP_1) | instskip(NEXT) | instid1(VALU_DEP_1)
	v_mul_f32_e32 v8, v9, v8
	v_and_b32_e32 v9, 0x7f800000, v8
	s_delay_alu instid0(VALU_DEP_1)
	v_cmpx_ne_u32_e32 0x7f800000, v9
	s_xor_b32 s15, exec_lo, s15
; %bb.1333:                             ;   in Loop: Header=BB4_820 Depth=2
	v_bfe_u32 v9, v8, 16, 1
	s_delay_alu instid0(VALU_DEP_1)
	v_add3_u32 v47, v8, v9, 0x7fff
                                        ; implicit-def: $vgpr8
; %bb.1334:                             ;   in Loop: Header=BB4_820 Depth=2
	s_and_not1_saveexec_b32 s15, s15
; %bb.1335:                             ;   in Loop: Header=BB4_820 Depth=2
	v_and_b32_e32 v9, 0xffff, v8
	v_or_b32_e32 v47, 0x10000, v8
	s_delay_alu instid0(VALU_DEP_2) | instskip(NEXT) | instid1(VALU_DEP_2)
	v_cmp_eq_u32_e32 vcc_lo, 0, v9
	v_cndmask_b32_e32 v47, v47, v8, vcc_lo
; %bb.1336:                             ;   in Loop: Header=BB4_820 Depth=2
	s_or_b32 exec_lo, exec_lo, s15
	v_and_b32_e32 v9, 0xffff0000, v14
	v_and_b32_e32 v8, 0xffff0000, v10
	s_mov_b32 s15, exec_lo
	s_delay_alu instid0(VALU_DEP_2) | instskip(NEXT) | instid1(VALU_DEP_1)
	v_mov_b32_e32 v10, v9
	v_pk_mul_f32 v[8:9], v[10:11], v[8:9]
                                        ; implicit-def: $vgpr10
	s_delay_alu instid0(VALU_DEP_1) | instskip(NEXT) | instid1(VALU_DEP_1)
	v_and_b32_e32 v9, 0x7f800000, v8
	v_cmpx_ne_u32_e32 0x7f800000, v9
	s_xor_b32 s15, exec_lo, s15
; %bb.1337:                             ;   in Loop: Header=BB4_820 Depth=2
	v_bfe_u32 v9, v8, 16, 1
	s_delay_alu instid0(VALU_DEP_1)
	v_add3_u32 v10, v8, v9, 0x7fff
                                        ; implicit-def: $vgpr8_vgpr9
; %bb.1338:                             ;   in Loop: Header=BB4_820 Depth=2
	s_and_not1_saveexec_b32 s15, s15
; %bb.1339:                             ;   in Loop: Header=BB4_820 Depth=2
	v_and_b32_e32 v9, 0xffff, v8
	v_or_b32_e32 v10, 0x10000, v8
	s_delay_alu instid0(VALU_DEP_2) | instskip(NEXT) | instid1(VALU_DEP_2)
	v_cmp_eq_u32_e32 vcc_lo, 0, v9
	v_cndmask_b32_e32 v10, v10, v8, vcc_lo
; %bb.1340:                             ;   in Loop: Header=BB4_820 Depth=2
	s_or_b32 exec_lo, exec_lo, s15
	v_lshlrev_b32_e32 v8, 16, v11
	v_lshlrev_b32_e32 v9, 16, v15
	s_mov_b32 s15, exec_lo
                                        ; implicit-def: $vgpr14
	s_delay_alu instid0(VALU_DEP_1) | instskip(NEXT) | instid1(VALU_DEP_1)
	v_mul_f32_e32 v8, v9, v8
	v_and_b32_e32 v9, 0x7f800000, v8
	s_delay_alu instid0(VALU_DEP_1)
	v_cmpx_ne_u32_e32 0x7f800000, v9
	s_xor_b32 s15, exec_lo, s15
; %bb.1341:                             ;   in Loop: Header=BB4_820 Depth=2
	v_bfe_u32 v9, v8, 16, 1
	s_delay_alu instid0(VALU_DEP_1)
	v_add3_u32 v14, v8, v9, 0x7fff
                                        ; implicit-def: $vgpr8
; %bb.1342:                             ;   in Loop: Header=BB4_820 Depth=2
	s_and_not1_saveexec_b32 s15, s15
; %bb.1343:                             ;   in Loop: Header=BB4_820 Depth=2
	v_and_b32_e32 v9, 0xffff, v8
	v_or_b32_e32 v14, 0x10000, v8
	s_delay_alu instid0(VALU_DEP_2) | instskip(NEXT) | instid1(VALU_DEP_2)
	v_cmp_eq_u32_e32 vcc_lo, 0, v9
	v_cndmask_b32_e32 v14, v14, v8, vcc_lo
; %bb.1344:                             ;   in Loop: Header=BB4_820 Depth=2
	s_or_b32 exec_lo, exec_lo, s15
	v_and_b32_e32 v9, 0xffff0000, v15
	v_and_b32_e32 v8, 0xffff0000, v11
	s_mov_b32 s15, exec_lo
                                        ; implicit-def: $vgpr11
	s_delay_alu instid0(VALU_DEP_2) | instskip(NEXT) | instid1(VALU_DEP_1)
	v_mov_b32_e32 v56, v9
	v_pk_mul_f32 v[8:9], v[56:57], v[8:9]
	s_delay_alu instid0(VALU_DEP_1) | instskip(NEXT) | instid1(VALU_DEP_1)
	v_and_b32_e32 v9, 0x7f800000, v8
	v_cmpx_ne_u32_e32 0x7f800000, v9
	s_xor_b32 s15, exec_lo, s15
; %bb.1345:                             ;   in Loop: Header=BB4_820 Depth=2
	v_bfe_u32 v9, v8, 16, 1
	s_delay_alu instid0(VALU_DEP_1)
	v_add3_u32 v11, v8, v9, 0x7fff
                                        ; implicit-def: $vgpr8_vgpr9
; %bb.1346:                             ;   in Loop: Header=BB4_820 Depth=2
	s_and_not1_saveexec_b32 s15, s15
; %bb.1347:                             ;   in Loop: Header=BB4_820 Depth=2
	v_and_b32_e32 v9, 0xffff, v8
	v_or_b32_e32 v11, 0x10000, v8
	s_delay_alu instid0(VALU_DEP_2) | instskip(NEXT) | instid1(VALU_DEP_2)
	v_cmp_eq_u32_e32 vcc_lo, 0, v9
	v_cndmask_b32_e32 v11, v11, v8, vcc_lo
; %bb.1348:                             ;   in Loop: Header=BB4_820 Depth=2
	s_or_b32 exec_lo, exec_lo, s15
	v_dual_lshrrev_b32 v8, 16, v46 :: v_dual_lshrrev_b32 v15, 16, v19
	v_dual_lshrrev_b32 v19, 16, v47 :: v_dual_lshrrev_b32 v14, 16, v14
	s_delay_alu instid0(VALU_DEP_2) | instskip(NEXT) | instid1(VALU_DEP_3)
	v_and_or_b32 v9, 0xffff0000, v13, v8
	v_and_or_b32 v8, 0xffff0000, v12, v15
	s_delay_alu instid0(VALU_DEP_3) | instskip(NEXT) | instid1(VALU_DEP_4)
	v_and_or_b32 v10, 0xffff0000, v10, v19
	v_and_or_b32 v11, 0xffff0000, v11, v14
	global_store_b128 v[44:45], v[8:11], off th:TH_STORE_NT
.LBB4_1349:                             ;   in Loop: Header=BB4_820 Depth=2
	s_wait_xcnt 0x0
	s_or_b32 exec_lo, exec_lo, s14
	v_and_b32_e32 v9, 14, v17
	s_mov_b32 s91, exec_lo
                                        ; implicit-def: $vgpr17
                                        ; implicit-def: $vgpr14
                                        ; implicit-def: $vgpr15
                                        ; implicit-def: $vgpr8
	s_delay_alu instid0(VALU_DEP_1) | instskip(NEXT) | instid1(VALU_DEP_1)
	v_cndmask_b32_e64 v19, v61, v9, s13
	v_cmpx_ne_u32_e32 0, v19
	s_cbranch_execz .LBB4_1464
; %bb.1350:                             ;   in Loop: Header=BB4_820 Depth=2
	v_cmp_lt_i32_e32 vcc_lo, 0, v62
	s_mov_b32 s15, 0
	s_mov_b32 s92, exec_lo
	v_dual_ashrrev_i32 v12, 31, v19 :: v_dual_sub_nc_u32 v9, v61, v9
	s_delay_alu instid0(VALU_DEP_1) | instskip(NEXT) | instid1(VALU_DEP_1)
	v_dual_cndmask_b32 v8, 0, v52, vcc_lo :: v_dual_cndmask_b32 v9, 0, v9, s13
	v_dual_sub_nc_u32 v8, v8, v62 :: v_dual_add_nc_u32 v58, v9, v60
	s_delay_alu instid0(VALU_DEP_1) | instskip(NEXT) | instid1(VALU_DEP_1)
	v_lshl_add_u32 v8, v8, 5, v0
	v_ashrrev_i32_e32 v10, 31, v8
	s_delay_alu instid0(VALU_DEP_1) | instskip(NEXT) | instid1(VALU_DEP_1)
	v_lshrrev_b32_e32 v10, 27, v10
	v_add_nc_u32_e32 v10, v8, v10
	s_delay_alu instid0(VALU_DEP_1) | instskip(NEXT) | instid1(VALU_DEP_1)
	v_and_b32_e32 v11, 0xffffffe0, v10
	v_dual_sub_nc_u32 v59, v8, v11 :: v_dual_lshrrev_b32 v8, 23, v12
	s_delay_alu instid0(VALU_DEP_1) | instskip(NEXT) | instid1(VALU_DEP_2)
	v_dual_ashrrev_i32 v10, 5, v10 :: v_dual_lshlrev_b32 v11, 4, v59
	v_add_nc_u32_e32 v12, v19, v8
	s_delay_alu instid0(VALU_DEP_2) | instskip(NEXT) | instid1(VALU_DEP_1)
	v_lshl_add_u32 v11, v10, 9, v11
	v_add_nc_u32_e32 v8, v11, v58
	s_delay_alu instid0(VALU_DEP_1) | instskip(NEXT) | instid1(VALU_DEP_4)
	v_ashrrev_i32_e32 v9, 31, v8
	v_and_b32_e32 v60, 0xfffffe00, v12
	v_ashrrev_i32_e32 v12, 9, v12
	s_delay_alu instid0(VALU_DEP_3) | instskip(NEXT) | instid1(VALU_DEP_3)
	v_add_nc_u64_e32 v[44:45], v[8:9], v[40:41]
	v_sub_nc_u32_e32 v61, v19, v60
	s_delay_alu instid0(VALU_DEP_1) | instskip(NEXT) | instid1(VALU_DEP_1)
	v_cmp_lt_i32_e64 s13, 15, v61
	v_add_co_ci_u32_e64 v12, null, 0, v12, s13
	s_delay_alu instid0(VALU_DEP_1) | instskip(NEXT) | instid1(VALU_DEP_1)
	v_dual_sub_nc_u32 v17, v19, v11 :: v_dual_sub_nc_u32 v62, v12, v10
	v_cmpx_lt_i32_e32 15, v17
	s_cbranch_execz .LBB4_1427
; %bb.1351:                             ;   in Loop: Header=BB4_820 Depth=2
	v_add_nc_u64_e32 v[46:47], v[8:9], v[22:23]
	s_wait_dscnt 0x0
	v_add_nc_u64_e32 v[42:43], v[8:9], v[42:43]
	s_mov_b32 s95, 0
	s_mov_b32 s93, 0
                                        ; implicit-def: $sgpr94
	s_branch .LBB4_1353
.LBB4_1352:                             ;   in Loop: Header=BB4_1353 Depth=3
	s_or_b32 exec_lo, exec_lo, s14
	s_delay_alu instid0(VALU_DEP_2) | instskip(SKIP_3) | instid1(SALU_CYCLE_1)
	v_cmp_gt_i32_e32 vcc_lo, 16, v17
	s_or_b32 s93, vcc_lo, s93
	s_and_not1_b32 s14, s94, exec_lo
	s_and_b32 s15, s95, exec_lo
	s_or_b32 s94, s14, s15
	s_and_not1_b32 exec_lo, exec_lo, s93
	s_cbranch_execz .LBB4_1426
.LBB4_1353:                             ;   Parent Loop BB4_47 Depth=1
                                        ;     Parent Loop BB4_820 Depth=2
                                        ; =>    This Loop Header: Depth=3
                                        ;         Child Loop BB4_1354 Depth 4
                                        ;         Child Loop BB4_1391 Depth 4
	s_add_co_i32 s14, s33, 0x90
	s_mov_b64 s[40:41], 0
	s_mov_b32 vcc_hi, s14
	s_mov_b32 s30, -1
.LBB4_1354:                             ;   Parent Loop BB4_47 Depth=1
                                        ;     Parent Loop BB4_820 Depth=2
                                        ;       Parent Loop BB4_1353 Depth=3
                                        ; =>      This Inner Loop Header: Depth=4
	s_cmp_eq_u32 s40, 1
	s_cselect_b32 vcc_lo, -1, 0
	s_cmp_eq_u32 s40, 0
	v_dual_cndmask_b32 v13, v47, v43 :: v_dual_cndmask_b32 v12, v46, v42
	s_cselect_b32 s14, -1, 0
	s_and_b32 s15, exec_lo, s30
	s_mov_b64 s[40:41], 1
	s_mov_b32 s30, 0
	global_load_b128 v[8:11], v[12:13], off th:TH_LOAD_NT
	s_wait_xcnt 0x0
	v_add_nc_u64_e32 v[12:13], 0x200, v[12:13]
	s_delay_alu instid0(VALU_DEP_1)
	v_dual_cndmask_b32 v47, v47, v13, s14 :: v_dual_cndmask_b32 v46, v46, v12, s14
	v_dual_cndmask_b32 v43, v43, v13 :: v_dual_cndmask_b32 v42, v42, v12
	s_mov_b32 vcc_lo, s15
	s_wait_loadcnt 0x0
	scratch_store_b128 off, v[8:11], vcc_hi
	s_wait_xcnt 0x0
	s_mov_b32 vcc_hi, s74
	s_cbranch_vccnz .LBB4_1354
; %bb.1355:                             ;   in Loop: Header=BB4_1353 Depth=3
	s_and_saveexec_b32 s14, s95
	s_cbranch_execz .LBB4_1389
; %bb.1356:                             ;   in Loop: Header=BB4_1353 Depth=3
	s_clause 0x1
	scratch_load_b128 v[8:11], off, s33 offset:176
	scratch_load_b128 v[12:15], off, s33 offset:192
	s_mov_b32 s15, exec_lo
                                        ; implicit-def: $vgpr63
	s_wait_loadcnt 0x1
	v_lshlrev_b32_e32 v56, 16, v8
	s_wait_loadcnt 0x0
	v_lshlrev_b32_e32 v57, 16, v12
	s_delay_alu instid0(VALU_DEP_1) | instskip(NEXT) | instid1(VALU_DEP_1)
	v_mul_f32_e32 v56, v56, v57
	v_and_b32_e32 v57, 0x7f800000, v56
	s_wait_xcnt 0x0
	s_delay_alu instid0(VALU_DEP_1)
	v_cmpx_ne_u32_e32 0x7f800000, v57
	s_xor_b32 s15, exec_lo, s15
; %bb.1357:                             ;   in Loop: Header=BB4_1353 Depth=3
	v_bfe_u32 v57, v56, 16, 1
	s_delay_alu instid0(VALU_DEP_1)
	v_add3_u32 v63, v56, v57, 0x7fff
                                        ; implicit-def: $vgpr56
; %bb.1358:                             ;   in Loop: Header=BB4_1353 Depth=3
	s_and_not1_saveexec_b32 s15, s15
; %bb.1359:                             ;   in Loop: Header=BB4_1353 Depth=3
	v_and_b32_e32 v57, 0xffff, v56
	v_or_b32_e32 v63, 0x10000, v56
	s_delay_alu instid0(VALU_DEP_2) | instskip(NEXT) | instid1(VALU_DEP_2)
	v_cmp_eq_u32_e32 vcc_lo, 0, v57
	v_cndmask_b32_e32 v63, v63, v56, vcc_lo
; %bb.1360:                             ;   in Loop: Header=BB4_1353 Depth=3
	s_or_b32 exec_lo, exec_lo, s15
	v_and_b32_e32 v57, 0xffff0000, v12
	v_and_b32_e32 v56, 0xffff0000, v8
	s_mov_b32 s15, exec_lo
                                        ; implicit-def: $vgpr12
	s_delay_alu instid0(VALU_DEP_2) | instskip(NEXT) | instid1(VALU_DEP_1)
	v_mov_b32_e32 v8, v57
	v_pk_mul_f32 v[56:57], v[8:9], v[56:57]
	s_delay_alu instid0(VALU_DEP_1) | instskip(NEXT) | instid1(VALU_DEP_1)
	v_and_b32_e32 v8, 0x7f800000, v56
	v_cmpx_ne_u32_e32 0x7f800000, v8
	s_xor_b32 s15, exec_lo, s15
; %bb.1361:                             ;   in Loop: Header=BB4_1353 Depth=3
	v_bfe_u32 v8, v56, 16, 1
	s_delay_alu instid0(VALU_DEP_1)
	v_add3_u32 v12, v56, v8, 0x7fff
                                        ; implicit-def: $vgpr56_vgpr57
; %bb.1362:                             ;   in Loop: Header=BB4_1353 Depth=3
	s_and_not1_saveexec_b32 s15, s15
; %bb.1363:                             ;   in Loop: Header=BB4_1353 Depth=3
	v_and_b32_e32 v8, 0xffff, v56
	v_or_b32_e32 v12, 0x10000, v56
	s_delay_alu instid0(VALU_DEP_2) | instskip(NEXT) | instid1(VALU_DEP_2)
	v_cmp_eq_u32_e32 vcc_lo, 0, v8
	v_cndmask_b32_e32 v12, v12, v56, vcc_lo
; %bb.1364:                             ;   in Loop: Header=BB4_1353 Depth=3
	s_or_b32 exec_lo, exec_lo, s15
	v_lshlrev_b32_e32 v8, 16, v9
	v_lshlrev_b32_e32 v56, 16, v13
	s_delay_alu instid0(VALU_DEP_1) | instskip(NEXT) | instid1(VALU_DEP_1)
	v_mul_f32_e32 v8, v56, v8
	v_and_b32_e32 v56, 0x7f800000, v8
	s_delay_alu instid0(VALU_DEP_1) | instskip(SKIP_1) | instid1(SALU_CYCLE_1)
	v_cmp_ne_u32_e32 vcc_lo, 0x7f800000, v56
                                        ; implicit-def: $vgpr56
	s_and_saveexec_b32 s15, vcc_lo
	s_xor_b32 s15, exec_lo, s15
; %bb.1365:                             ;   in Loop: Header=BB4_1353 Depth=3
	v_bfe_u32 v56, v8, 16, 1
	s_delay_alu instid0(VALU_DEP_1)
	v_add3_u32 v56, v8, v56, 0x7fff
                                        ; implicit-def: $vgpr8
; %bb.1366:                             ;   in Loop: Header=BB4_1353 Depth=3
	s_and_not1_saveexec_b32 s15, s15
; %bb.1367:                             ;   in Loop: Header=BB4_1353 Depth=3
	v_and_b32_e32 v56, 0xffff, v8
	v_or_b32_e32 v57, 0x10000, v8
	s_delay_alu instid0(VALU_DEP_2) | instskip(NEXT) | instid1(VALU_DEP_2)
	v_cmp_eq_u32_e32 vcc_lo, 0, v56
	v_cndmask_b32_e32 v56, v57, v8, vcc_lo
; %bb.1368:                             ;   in Loop: Header=BB4_1353 Depth=3
	s_or_b32 exec_lo, exec_lo, s15
	v_and_b32_e32 v91, 0xffff0000, v13
	v_and_b32_e32 v90, 0xffff0000, v9
	s_mov_b32 s15, exec_lo
                                        ; implicit-def: $vgpr13
	s_delay_alu instid0(VALU_DEP_2) | instskip(NEXT) | instid1(VALU_DEP_1)
	v_mov_b32_e32 v8, v91
	v_pk_mul_f32 v[8:9], v[8:9], v[90:91]
	s_delay_alu instid0(VALU_DEP_1) | instskip(NEXT) | instid1(VALU_DEP_1)
	v_and_b32_e32 v9, 0x7f800000, v8
	v_cmpx_ne_u32_e32 0x7f800000, v9
	s_xor_b32 s15, exec_lo, s15
; %bb.1369:                             ;   in Loop: Header=BB4_1353 Depth=3
	v_bfe_u32 v9, v8, 16, 1
	s_delay_alu instid0(VALU_DEP_1)
	v_add3_u32 v13, v8, v9, 0x7fff
                                        ; implicit-def: $vgpr8_vgpr9
; %bb.1370:                             ;   in Loop: Header=BB4_1353 Depth=3
	s_and_not1_saveexec_b32 s15, s15
; %bb.1371:                             ;   in Loop: Header=BB4_1353 Depth=3
	v_and_b32_e32 v9, 0xffff, v8
	v_or_b32_e32 v13, 0x10000, v8
	s_delay_alu instid0(VALU_DEP_2) | instskip(NEXT) | instid1(VALU_DEP_2)
	v_cmp_eq_u32_e32 vcc_lo, 0, v9
	v_cndmask_b32_e32 v13, v13, v8, vcc_lo
; %bb.1372:                             ;   in Loop: Header=BB4_1353 Depth=3
	s_or_b32 exec_lo, exec_lo, s15
	v_lshlrev_b32_e32 v8, 16, v10
	v_lshlrev_b32_e32 v9, 16, v14
	s_mov_b32 s15, exec_lo
                                        ; implicit-def: $vgpr57
	s_delay_alu instid0(VALU_DEP_1) | instskip(NEXT) | instid1(VALU_DEP_1)
	v_mul_f32_e32 v8, v9, v8
	v_and_b32_e32 v9, 0x7f800000, v8
	s_delay_alu instid0(VALU_DEP_1)
	v_cmpx_ne_u32_e32 0x7f800000, v9
	s_xor_b32 s15, exec_lo, s15
; %bb.1373:                             ;   in Loop: Header=BB4_1353 Depth=3
	v_bfe_u32 v9, v8, 16, 1
	s_delay_alu instid0(VALU_DEP_1)
	v_add3_u32 v57, v8, v9, 0x7fff
                                        ; implicit-def: $vgpr8
; %bb.1374:                             ;   in Loop: Header=BB4_1353 Depth=3
	s_and_not1_saveexec_b32 s15, s15
; %bb.1375:                             ;   in Loop: Header=BB4_1353 Depth=3
	v_and_b32_e32 v9, 0xffff, v8
	v_or_b32_e32 v57, 0x10000, v8
	s_delay_alu instid0(VALU_DEP_2) | instskip(NEXT) | instid1(VALU_DEP_2)
	v_cmp_eq_u32_e32 vcc_lo, 0, v9
	v_cndmask_b32_e32 v57, v57, v8, vcc_lo
; %bb.1376:                             ;   in Loop: Header=BB4_1353 Depth=3
	s_or_b32 exec_lo, exec_lo, s15
	v_and_b32_e32 v9, 0xffff0000, v14
	v_and_b32_e32 v8, 0xffff0000, v10
	s_mov_b32 s15, exec_lo
	s_delay_alu instid0(VALU_DEP_2) | instskip(NEXT) | instid1(VALU_DEP_1)
	v_mov_b32_e32 v10, v9
	v_pk_mul_f32 v[8:9], v[10:11], v[8:9]
                                        ; implicit-def: $vgpr10
	s_delay_alu instid0(VALU_DEP_1) | instskip(NEXT) | instid1(VALU_DEP_1)
	v_and_b32_e32 v9, 0x7f800000, v8
	v_cmpx_ne_u32_e32 0x7f800000, v9
	s_xor_b32 s15, exec_lo, s15
; %bb.1377:                             ;   in Loop: Header=BB4_1353 Depth=3
	v_bfe_u32 v9, v8, 16, 1
	s_delay_alu instid0(VALU_DEP_1)
	v_add3_u32 v10, v8, v9, 0x7fff
                                        ; implicit-def: $vgpr8_vgpr9
; %bb.1378:                             ;   in Loop: Header=BB4_1353 Depth=3
	s_and_not1_saveexec_b32 s15, s15
; %bb.1379:                             ;   in Loop: Header=BB4_1353 Depth=3
	v_and_b32_e32 v9, 0xffff, v8
	v_or_b32_e32 v10, 0x10000, v8
	s_delay_alu instid0(VALU_DEP_2) | instskip(NEXT) | instid1(VALU_DEP_2)
	v_cmp_eq_u32_e32 vcc_lo, 0, v9
	v_cndmask_b32_e32 v10, v10, v8, vcc_lo
; %bb.1380:                             ;   in Loop: Header=BB4_1353 Depth=3
	s_or_b32 exec_lo, exec_lo, s15
	v_lshlrev_b32_e32 v8, 16, v11
	v_lshlrev_b32_e32 v9, 16, v15
	s_mov_b32 s15, exec_lo
                                        ; implicit-def: $vgpr14
	s_delay_alu instid0(VALU_DEP_1) | instskip(NEXT) | instid1(VALU_DEP_1)
	v_mul_f32_e32 v8, v9, v8
	v_and_b32_e32 v9, 0x7f800000, v8
	s_delay_alu instid0(VALU_DEP_1)
	v_cmpx_ne_u32_e32 0x7f800000, v9
	s_xor_b32 s15, exec_lo, s15
; %bb.1381:                             ;   in Loop: Header=BB4_1353 Depth=3
	v_bfe_u32 v9, v8, 16, 1
	s_delay_alu instid0(VALU_DEP_1)
	v_add3_u32 v14, v8, v9, 0x7fff
                                        ; implicit-def: $vgpr8
; %bb.1382:                             ;   in Loop: Header=BB4_1353 Depth=3
	s_and_not1_saveexec_b32 s15, s15
; %bb.1383:                             ;   in Loop: Header=BB4_1353 Depth=3
	v_and_b32_e32 v9, 0xffff, v8
	v_or_b32_e32 v14, 0x10000, v8
	s_delay_alu instid0(VALU_DEP_2) | instskip(NEXT) | instid1(VALU_DEP_2)
	v_cmp_eq_u32_e32 vcc_lo, 0, v9
	v_cndmask_b32_e32 v14, v14, v8, vcc_lo
; %bb.1384:                             ;   in Loop: Header=BB4_1353 Depth=3
	s_or_b32 exec_lo, exec_lo, s15
	v_and_b32_e32 v9, 0xffff0000, v15
	v_and_b32_e32 v8, 0xffff0000, v11
	s_mov_b32 s15, exec_lo
                                        ; implicit-def: $vgpr11
	s_delay_alu instid0(VALU_DEP_2) | instskip(NEXT) | instid1(VALU_DEP_1)
	v_mov_b32_e32 v90, v9
	v_pk_mul_f32 v[8:9], v[90:91], v[8:9]
	s_delay_alu instid0(VALU_DEP_1) | instskip(NEXT) | instid1(VALU_DEP_1)
	v_and_b32_e32 v9, 0x7f800000, v8
	v_cmpx_ne_u32_e32 0x7f800000, v9
	s_xor_b32 s15, exec_lo, s15
; %bb.1385:                             ;   in Loop: Header=BB4_1353 Depth=3
	v_bfe_u32 v9, v8, 16, 1
	s_delay_alu instid0(VALU_DEP_1)
	v_add3_u32 v11, v8, v9, 0x7fff
                                        ; implicit-def: $vgpr8_vgpr9
; %bb.1386:                             ;   in Loop: Header=BB4_1353 Depth=3
	s_and_not1_saveexec_b32 s15, s15
; %bb.1387:                             ;   in Loop: Header=BB4_1353 Depth=3
	v_and_b32_e32 v9, 0xffff, v8
	v_or_b32_e32 v11, 0x10000, v8
	s_delay_alu instid0(VALU_DEP_2) | instskip(NEXT) | instid1(VALU_DEP_2)
	v_cmp_eq_u32_e32 vcc_lo, 0, v9
	v_cndmask_b32_e32 v11, v11, v8, vcc_lo
; %bb.1388:                             ;   in Loop: Header=BB4_1353 Depth=3
	s_or_b32 exec_lo, exec_lo, s15
	v_dual_lshrrev_b32 v8, 16, v56 :: v_dual_lshrrev_b32 v15, 16, v63
	v_dual_lshrrev_b32 v56, 16, v57 :: v_dual_lshrrev_b32 v14, 16, v14
	s_delay_alu instid0(VALU_DEP_2) | instskip(NEXT) | instid1(VALU_DEP_3)
	v_and_or_b32 v9, 0xffff0000, v13, v8
	v_and_or_b32 v8, 0xffff0000, v12, v15
	s_delay_alu instid0(VALU_DEP_3) | instskip(NEXT) | instid1(VALU_DEP_4)
	v_and_or_b32 v10, 0xffff0000, v10, v56
	v_and_or_b32 v11, 0xffff0000, v11, v14
	global_store_b128 v[44:45], v[8:11], off th:TH_STORE_NT
	s_wait_xcnt 0x0
	v_add_nc_u64_e32 v[44:45], v[98:99], v[44:45]
	scratch_store_b128 off, v[8:11], s33 offset:176
.LBB4_1389:                             ;   in Loop: Header=BB4_1353 Depth=3
	s_wait_xcnt 0x0
	s_or_b32 exec_lo, exec_lo, s14
	v_sub_nc_u32_e32 v17, v17, v76
	v_add_nc_u64_e32 v[46:47], v[46:47], v[82:83]
	v_add_nc_u64_e32 v[42:43], v[42:43], v[82:83]
	s_delay_alu instid0(VALU_DEP_3)
	v_cmp_lt_i32_e64 s95, 15, v17
	s_and_saveexec_b32 vcc_hi, s95
	s_cbranch_execz .LBB4_1392
; %bb.1390:                             ;   in Loop: Header=BB4_1353 Depth=3
	s_add_co_i32 s14, s33, 0xb0
	s_mov_b64 s[40:41], 0
	s_mov_b32 s30, s14
	s_mov_b32 s31, -1
.LBB4_1391:                             ;   Parent Loop BB4_47 Depth=1
                                        ;     Parent Loop BB4_820 Depth=2
                                        ;       Parent Loop BB4_1353 Depth=3
                                        ; =>      This Inner Loop Header: Depth=4
	s_cmp_eq_u32 s40, 1
	s_cselect_b32 vcc_lo, -1, 0
	s_cmp_eq_u32 s40, 0
	v_dual_cndmask_b32 v13, v47, v43 :: v_dual_cndmask_b32 v12, v46, v42
	s_cselect_b32 s14, -1, 0
	s_and_b32 s15, exec_lo, s31
	s_mov_b64 s[40:41], 1
	s_mov_b32 s31, 0
	global_load_b128 v[8:11], v[12:13], off th:TH_LOAD_NT
	s_wait_xcnt 0x0
	v_add_nc_u64_e32 v[12:13], 0x200, v[12:13]
	s_delay_alu instid0(VALU_DEP_1)
	v_dual_cndmask_b32 v47, v47, v13, s14 :: v_dual_cndmask_b32 v46, v46, v12, s14
	v_dual_cndmask_b32 v43, v43, v13 :: v_dual_cndmask_b32 v42, v42, v12
	s_mov_b32 vcc_lo, s15
	s_wait_loadcnt 0x0
	scratch_store_b128 off, v[8:11], s30
	s_wait_xcnt 0x0
	s_mov_b32 s30, s73
	s_cbranch_vccnz .LBB4_1391
.LBB4_1392:                             ;   in Loop: Header=BB4_1353 Depth=3
	s_or_b32 exec_lo, exec_lo, vcc_hi
	s_clause 0x1
	scratch_load_b128 v[8:11], off, s33 offset:144
	scratch_load_b128 v[12:15], off, s33 offset:160
	s_mov_b32 s14, exec_lo
                                        ; implicit-def: $vgpr63
	s_wait_loadcnt 0x1
	v_lshlrev_b32_e32 v56, 16, v8
	s_wait_loadcnt 0x0
	v_lshlrev_b32_e32 v57, 16, v12
	s_delay_alu instid0(VALU_DEP_1) | instskip(NEXT) | instid1(VALU_DEP_1)
	v_mul_f32_e32 v56, v56, v57
	v_and_b32_e32 v57, 0x7f800000, v56
	s_wait_xcnt 0x0
	s_delay_alu instid0(VALU_DEP_1)
	v_cmpx_ne_u32_e32 0x7f800000, v57
	s_xor_b32 s14, exec_lo, s14
; %bb.1393:                             ;   in Loop: Header=BB4_1353 Depth=3
	v_bfe_u32 v57, v56, 16, 1
	s_delay_alu instid0(VALU_DEP_1)
	v_add3_u32 v63, v56, v57, 0x7fff
                                        ; implicit-def: $vgpr56
; %bb.1394:                             ;   in Loop: Header=BB4_1353 Depth=3
	s_and_not1_saveexec_b32 s14, s14
; %bb.1395:                             ;   in Loop: Header=BB4_1353 Depth=3
	v_and_b32_e32 v57, 0xffff, v56
	v_or_b32_e32 v63, 0x10000, v56
	s_delay_alu instid0(VALU_DEP_2) | instskip(NEXT) | instid1(VALU_DEP_2)
	v_cmp_eq_u32_e32 vcc_lo, 0, v57
	v_cndmask_b32_e32 v63, v63, v56, vcc_lo
; %bb.1396:                             ;   in Loop: Header=BB4_1353 Depth=3
	s_or_b32 exec_lo, exec_lo, s14
	v_and_b32_e32 v57, 0xffff0000, v12
	v_and_b32_e32 v56, 0xffff0000, v8
	s_mov_b32 s14, exec_lo
                                        ; implicit-def: $vgpr12
	s_delay_alu instid0(VALU_DEP_2) | instskip(NEXT) | instid1(VALU_DEP_1)
	v_mov_b32_e32 v8, v57
	v_pk_mul_f32 v[56:57], v[8:9], v[56:57]
	s_delay_alu instid0(VALU_DEP_1) | instskip(NEXT) | instid1(VALU_DEP_1)
	v_and_b32_e32 v8, 0x7f800000, v56
	v_cmpx_ne_u32_e32 0x7f800000, v8
	s_xor_b32 s14, exec_lo, s14
; %bb.1397:                             ;   in Loop: Header=BB4_1353 Depth=3
	v_bfe_u32 v8, v56, 16, 1
	s_delay_alu instid0(VALU_DEP_1)
	v_add3_u32 v12, v56, v8, 0x7fff
                                        ; implicit-def: $vgpr56_vgpr57
; %bb.1398:                             ;   in Loop: Header=BB4_1353 Depth=3
	s_and_not1_saveexec_b32 s14, s14
; %bb.1399:                             ;   in Loop: Header=BB4_1353 Depth=3
	v_and_b32_e32 v8, 0xffff, v56
	v_or_b32_e32 v12, 0x10000, v56
	s_delay_alu instid0(VALU_DEP_2) | instskip(NEXT) | instid1(VALU_DEP_2)
	v_cmp_eq_u32_e32 vcc_lo, 0, v8
	v_cndmask_b32_e32 v12, v12, v56, vcc_lo
; %bb.1400:                             ;   in Loop: Header=BB4_1353 Depth=3
	s_or_b32 exec_lo, exec_lo, s14
	v_lshlrev_b32_e32 v8, 16, v9
	v_lshlrev_b32_e32 v56, 16, v13
	s_delay_alu instid0(VALU_DEP_1) | instskip(NEXT) | instid1(VALU_DEP_1)
	v_mul_f32_e32 v8, v56, v8
	v_and_b32_e32 v56, 0x7f800000, v8
	s_delay_alu instid0(VALU_DEP_1) | instskip(SKIP_1) | instid1(SALU_CYCLE_1)
	v_cmp_ne_u32_e32 vcc_lo, 0x7f800000, v56
                                        ; implicit-def: $vgpr56
	s_and_saveexec_b32 s14, vcc_lo
	s_xor_b32 s14, exec_lo, s14
; %bb.1401:                             ;   in Loop: Header=BB4_1353 Depth=3
	v_bfe_u32 v56, v8, 16, 1
	s_delay_alu instid0(VALU_DEP_1)
	v_add3_u32 v56, v8, v56, 0x7fff
                                        ; implicit-def: $vgpr8
; %bb.1402:                             ;   in Loop: Header=BB4_1353 Depth=3
	s_and_not1_saveexec_b32 s14, s14
; %bb.1403:                             ;   in Loop: Header=BB4_1353 Depth=3
	v_and_b32_e32 v56, 0xffff, v8
	v_or_b32_e32 v57, 0x10000, v8
	s_delay_alu instid0(VALU_DEP_2) | instskip(NEXT) | instid1(VALU_DEP_2)
	v_cmp_eq_u32_e32 vcc_lo, 0, v56
	v_cndmask_b32_e32 v56, v57, v8, vcc_lo
; %bb.1404:                             ;   in Loop: Header=BB4_1353 Depth=3
	s_or_b32 exec_lo, exec_lo, s14
	v_and_b32_e32 v91, 0xffff0000, v13
	v_and_b32_e32 v90, 0xffff0000, v9
	s_mov_b32 s14, exec_lo
                                        ; implicit-def: $vgpr13
	s_delay_alu instid0(VALU_DEP_2) | instskip(NEXT) | instid1(VALU_DEP_1)
	v_mov_b32_e32 v8, v91
	v_pk_mul_f32 v[8:9], v[8:9], v[90:91]
	s_delay_alu instid0(VALU_DEP_1) | instskip(NEXT) | instid1(VALU_DEP_1)
	v_and_b32_e32 v9, 0x7f800000, v8
	v_cmpx_ne_u32_e32 0x7f800000, v9
	s_xor_b32 s14, exec_lo, s14
; %bb.1405:                             ;   in Loop: Header=BB4_1353 Depth=3
	v_bfe_u32 v9, v8, 16, 1
	s_delay_alu instid0(VALU_DEP_1)
	v_add3_u32 v13, v8, v9, 0x7fff
                                        ; implicit-def: $vgpr8_vgpr9
; %bb.1406:                             ;   in Loop: Header=BB4_1353 Depth=3
	s_and_not1_saveexec_b32 s14, s14
; %bb.1407:                             ;   in Loop: Header=BB4_1353 Depth=3
	v_and_b32_e32 v9, 0xffff, v8
	v_or_b32_e32 v13, 0x10000, v8
	s_delay_alu instid0(VALU_DEP_2) | instskip(NEXT) | instid1(VALU_DEP_2)
	v_cmp_eq_u32_e32 vcc_lo, 0, v9
	v_cndmask_b32_e32 v13, v13, v8, vcc_lo
; %bb.1408:                             ;   in Loop: Header=BB4_1353 Depth=3
	s_or_b32 exec_lo, exec_lo, s14
	v_lshlrev_b32_e32 v8, 16, v10
	v_lshlrev_b32_e32 v9, 16, v14
	s_mov_b32 s14, exec_lo
                                        ; implicit-def: $vgpr57
	s_delay_alu instid0(VALU_DEP_1) | instskip(NEXT) | instid1(VALU_DEP_1)
	v_mul_f32_e32 v8, v9, v8
	v_and_b32_e32 v9, 0x7f800000, v8
	s_delay_alu instid0(VALU_DEP_1)
	v_cmpx_ne_u32_e32 0x7f800000, v9
	s_xor_b32 s14, exec_lo, s14
; %bb.1409:                             ;   in Loop: Header=BB4_1353 Depth=3
	v_bfe_u32 v9, v8, 16, 1
	s_delay_alu instid0(VALU_DEP_1)
	v_add3_u32 v57, v8, v9, 0x7fff
                                        ; implicit-def: $vgpr8
; %bb.1410:                             ;   in Loop: Header=BB4_1353 Depth=3
	s_and_not1_saveexec_b32 s14, s14
; %bb.1411:                             ;   in Loop: Header=BB4_1353 Depth=3
	v_and_b32_e32 v9, 0xffff, v8
	v_or_b32_e32 v57, 0x10000, v8
	s_delay_alu instid0(VALU_DEP_2) | instskip(NEXT) | instid1(VALU_DEP_2)
	v_cmp_eq_u32_e32 vcc_lo, 0, v9
	v_cndmask_b32_e32 v57, v57, v8, vcc_lo
; %bb.1412:                             ;   in Loop: Header=BB4_1353 Depth=3
	s_or_b32 exec_lo, exec_lo, s14
	v_and_b32_e32 v9, 0xffff0000, v14
	v_and_b32_e32 v8, 0xffff0000, v10
	s_mov_b32 s14, exec_lo
	s_delay_alu instid0(VALU_DEP_2) | instskip(NEXT) | instid1(VALU_DEP_1)
	v_mov_b32_e32 v10, v9
	v_pk_mul_f32 v[8:9], v[10:11], v[8:9]
                                        ; implicit-def: $vgpr10
	s_delay_alu instid0(VALU_DEP_1) | instskip(NEXT) | instid1(VALU_DEP_1)
	v_and_b32_e32 v9, 0x7f800000, v8
	v_cmpx_ne_u32_e32 0x7f800000, v9
	s_xor_b32 s14, exec_lo, s14
; %bb.1413:                             ;   in Loop: Header=BB4_1353 Depth=3
	v_bfe_u32 v9, v8, 16, 1
	s_delay_alu instid0(VALU_DEP_1)
	v_add3_u32 v10, v8, v9, 0x7fff
                                        ; implicit-def: $vgpr8_vgpr9
; %bb.1414:                             ;   in Loop: Header=BB4_1353 Depth=3
	s_and_not1_saveexec_b32 s14, s14
; %bb.1415:                             ;   in Loop: Header=BB4_1353 Depth=3
	v_and_b32_e32 v9, 0xffff, v8
	v_or_b32_e32 v10, 0x10000, v8
	s_delay_alu instid0(VALU_DEP_2) | instskip(NEXT) | instid1(VALU_DEP_2)
	v_cmp_eq_u32_e32 vcc_lo, 0, v9
	v_cndmask_b32_e32 v10, v10, v8, vcc_lo
; %bb.1416:                             ;   in Loop: Header=BB4_1353 Depth=3
	s_or_b32 exec_lo, exec_lo, s14
	v_lshlrev_b32_e32 v8, 16, v11
	v_lshlrev_b32_e32 v9, 16, v15
	s_mov_b32 s14, exec_lo
                                        ; implicit-def: $vgpr14
	s_delay_alu instid0(VALU_DEP_1) | instskip(NEXT) | instid1(VALU_DEP_1)
	v_mul_f32_e32 v8, v9, v8
	v_and_b32_e32 v9, 0x7f800000, v8
	s_delay_alu instid0(VALU_DEP_1)
	v_cmpx_ne_u32_e32 0x7f800000, v9
	s_xor_b32 s14, exec_lo, s14
; %bb.1417:                             ;   in Loop: Header=BB4_1353 Depth=3
	v_bfe_u32 v9, v8, 16, 1
	s_delay_alu instid0(VALU_DEP_1)
	v_add3_u32 v14, v8, v9, 0x7fff
                                        ; implicit-def: $vgpr8
; %bb.1418:                             ;   in Loop: Header=BB4_1353 Depth=3
	s_and_not1_saveexec_b32 s14, s14
; %bb.1419:                             ;   in Loop: Header=BB4_1353 Depth=3
	v_and_b32_e32 v9, 0xffff, v8
	v_or_b32_e32 v14, 0x10000, v8
	s_delay_alu instid0(VALU_DEP_2) | instskip(NEXT) | instid1(VALU_DEP_2)
	v_cmp_eq_u32_e32 vcc_lo, 0, v9
	v_cndmask_b32_e32 v14, v14, v8, vcc_lo
; %bb.1420:                             ;   in Loop: Header=BB4_1353 Depth=3
	s_or_b32 exec_lo, exec_lo, s14
	v_and_b32_e32 v9, 0xffff0000, v15
	v_and_b32_e32 v8, 0xffff0000, v11
	s_mov_b32 s14, exec_lo
                                        ; implicit-def: $vgpr11
	s_delay_alu instid0(VALU_DEP_2) | instskip(NEXT) | instid1(VALU_DEP_1)
	v_mov_b32_e32 v90, v9
	v_pk_mul_f32 v[8:9], v[90:91], v[8:9]
	s_delay_alu instid0(VALU_DEP_1) | instskip(NEXT) | instid1(VALU_DEP_1)
	v_and_b32_e32 v9, 0x7f800000, v8
	v_cmpx_ne_u32_e32 0x7f800000, v9
	s_xor_b32 s14, exec_lo, s14
; %bb.1421:                             ;   in Loop: Header=BB4_1353 Depth=3
	v_bfe_u32 v9, v8, 16, 1
	s_delay_alu instid0(VALU_DEP_1)
	v_add3_u32 v11, v8, v9, 0x7fff
                                        ; implicit-def: $vgpr8_vgpr9
; %bb.1422:                             ;   in Loop: Header=BB4_1353 Depth=3
	s_and_not1_saveexec_b32 s14, s14
; %bb.1423:                             ;   in Loop: Header=BB4_1353 Depth=3
	v_and_b32_e32 v9, 0xffff, v8
	v_or_b32_e32 v11, 0x10000, v8
	s_delay_alu instid0(VALU_DEP_2) | instskip(NEXT) | instid1(VALU_DEP_2)
	v_cmp_eq_u32_e32 vcc_lo, 0, v9
	v_cndmask_b32_e32 v11, v11, v8, vcc_lo
; %bb.1424:                             ;   in Loop: Header=BB4_1353 Depth=3
	s_or_b32 exec_lo, exec_lo, s14
	v_dual_lshrrev_b32 v8, 16, v56 :: v_dual_lshrrev_b32 v15, 16, v63
	v_dual_lshrrev_b32 v56, 16, v57 :: v_dual_lshrrev_b32 v14, 16, v14
	v_sub_nc_u32_e32 v62, v62, v52
	s_delay_alu instid0(VALU_DEP_3) | instskip(NEXT) | instid1(VALU_DEP_4)
	v_and_or_b32 v9, 0xffff0000, v13, v8
	v_and_or_b32 v8, 0xffff0000, v12, v15
	s_delay_alu instid0(VALU_DEP_4)
	v_and_or_b32 v10, 0xffff0000, v10, v56
	v_and_or_b32 v11, 0xffff0000, v11, v14
	global_store_b128 v[44:45], v[8:11], off th:TH_STORE_NT
	s_wait_xcnt 0x0
	v_add_nc_u64_e32 v[44:45], 0x200, v[44:45]
	scratch_store_b128 off, v[8:11], s33 offset:144
	s_wait_xcnt 0x0
	s_and_saveexec_b32 s14, s95
	s_cbranch_execz .LBB4_1352
; %bb.1425:                             ;   in Loop: Header=BB4_1353 Depth=3
	v_add_nc_u64_e32 v[46:47], v[46:47], v[82:83]
	v_add_nc_u64_e32 v[42:43], v[42:43], v[82:83]
	;; [unrolled: 1-line block ×3, first 2 shown]
	v_sub_nc_u32_e32 v17, v17, v76
	v_sub_nc_u32_e32 v62, v62, v52
	s_branch .LBB4_1352
.LBB4_1426:                             ;   in Loop: Header=BB4_820 Depth=2
	s_or_b32 exec_lo, exec_lo, s93
	s_delay_alu instid0(SALU_CYCLE_1)
	s_and_b32 s15, s94, exec_lo
.LBB4_1427:                             ;   in Loop: Header=BB4_820 Depth=2
	s_or_b32 exec_lo, exec_lo, s92
	s_and_saveexec_b32 s14, s15
	s_cbranch_execz .LBB4_1461
; %bb.1428:                             ;   in Loop: Header=BB4_820 Depth=2
	s_clause 0x1
	scratch_load_b128 v[8:11], off, s33 offset:176
	scratch_load_b128 v[12:15], off, s33 offset:192
	s_wait_loadcnt 0x1
	v_lshlrev_b32_e32 v17, 16, v8
	s_wait_loadcnt_dscnt 0x0
	v_lshlrev_b32_e32 v42, 16, v12
	s_delay_alu instid0(VALU_DEP_1) | instskip(NEXT) | instid1(VALU_DEP_1)
	v_mul_f32_e32 v42, v17, v42
	v_and_b32_e32 v17, 0x7f800000, v42
	s_delay_alu instid0(VALU_DEP_1) | instskip(SKIP_2) | instid1(SALU_CYCLE_1)
	v_cmp_ne_u32_e32 vcc_lo, 0x7f800000, v17
                                        ; implicit-def: $vgpr17
	s_wait_xcnt 0x0
	s_and_saveexec_b32 s15, vcc_lo
	s_xor_b32 s15, exec_lo, s15
; %bb.1429:                             ;   in Loop: Header=BB4_820 Depth=2
	v_bfe_u32 v17, v42, 16, 1
	s_delay_alu instid0(VALU_DEP_1)
	v_add3_u32 v17, v42, v17, 0x7fff
                                        ; implicit-def: $vgpr42
; %bb.1430:                             ;   in Loop: Header=BB4_820 Depth=2
	s_and_not1_saveexec_b32 s15, s15
; %bb.1431:                             ;   in Loop: Header=BB4_820 Depth=2
	v_and_b32_e32 v17, 0xffff, v42
	v_or_b32_e32 v43, 0x10000, v42
	s_delay_alu instid0(VALU_DEP_2) | instskip(NEXT) | instid1(VALU_DEP_2)
	v_cmp_eq_u32_e32 vcc_lo, 0, v17
	v_cndmask_b32_e32 v17, v43, v42, vcc_lo
; %bb.1432:                             ;   in Loop: Header=BB4_820 Depth=2
	s_or_b32 exec_lo, exec_lo, s15
	v_and_b32_e32 v43, 0xffff0000, v12
	v_and_b32_e32 v42, 0xffff0000, v8
	s_mov_b32 s15, exec_lo
                                        ; implicit-def: $vgpr12
	s_delay_alu instid0(VALU_DEP_2) | instskip(NEXT) | instid1(VALU_DEP_1)
	v_mov_b32_e32 v8, v43
	v_pk_mul_f32 v[42:43], v[8:9], v[42:43]
	s_delay_alu instid0(VALU_DEP_1) | instskip(NEXT) | instid1(VALU_DEP_1)
	v_and_b32_e32 v8, 0x7f800000, v42
	v_cmpx_ne_u32_e32 0x7f800000, v8
	s_xor_b32 s15, exec_lo, s15
; %bb.1433:                             ;   in Loop: Header=BB4_820 Depth=2
	v_bfe_u32 v8, v42, 16, 1
	s_delay_alu instid0(VALU_DEP_1)
	v_add3_u32 v12, v42, v8, 0x7fff
                                        ; implicit-def: $vgpr42_vgpr43
; %bb.1434:                             ;   in Loop: Header=BB4_820 Depth=2
	s_and_not1_saveexec_b32 s15, s15
; %bb.1435:                             ;   in Loop: Header=BB4_820 Depth=2
	v_and_b32_e32 v8, 0xffff, v42
	v_or_b32_e32 v12, 0x10000, v42
	s_delay_alu instid0(VALU_DEP_2) | instskip(NEXT) | instid1(VALU_DEP_2)
	v_cmp_eq_u32_e32 vcc_lo, 0, v8
	v_cndmask_b32_e32 v12, v12, v42, vcc_lo
; %bb.1436:                             ;   in Loop: Header=BB4_820 Depth=2
	s_or_b32 exec_lo, exec_lo, s15
	v_lshlrev_b32_e32 v8, 16, v9
	v_lshlrev_b32_e32 v42, 16, v13
	s_delay_alu instid0(VALU_DEP_1) | instskip(NEXT) | instid1(VALU_DEP_1)
	v_mul_f32_e32 v8, v42, v8
	v_and_b32_e32 v42, 0x7f800000, v8
	s_delay_alu instid0(VALU_DEP_1) | instskip(SKIP_1) | instid1(SALU_CYCLE_1)
	v_cmp_ne_u32_e32 vcc_lo, 0x7f800000, v42
                                        ; implicit-def: $vgpr42
	s_and_saveexec_b32 s15, vcc_lo
	s_xor_b32 s15, exec_lo, s15
; %bb.1437:                             ;   in Loop: Header=BB4_820 Depth=2
	v_bfe_u32 v42, v8, 16, 1
	s_delay_alu instid0(VALU_DEP_1)
	v_add3_u32 v42, v8, v42, 0x7fff
                                        ; implicit-def: $vgpr8
; %bb.1438:                             ;   in Loop: Header=BB4_820 Depth=2
	s_and_not1_saveexec_b32 s15, s15
; %bb.1439:                             ;   in Loop: Header=BB4_820 Depth=2
	v_and_b32_e32 v42, 0xffff, v8
	v_or_b32_e32 v43, 0x10000, v8
	s_delay_alu instid0(VALU_DEP_2) | instskip(NEXT) | instid1(VALU_DEP_2)
	v_cmp_eq_u32_e32 vcc_lo, 0, v42
	v_cndmask_b32_e32 v42, v43, v8, vcc_lo
; %bb.1440:                             ;   in Loop: Header=BB4_820 Depth=2
	s_or_b32 exec_lo, exec_lo, s15
	v_and_b32_e32 v47, 0xffff0000, v13
	v_and_b32_e32 v46, 0xffff0000, v9
	s_mov_b32 s15, exec_lo
                                        ; implicit-def: $vgpr13
	s_delay_alu instid0(VALU_DEP_2) | instskip(NEXT) | instid1(VALU_DEP_1)
	v_mov_b32_e32 v8, v47
	v_pk_mul_f32 v[8:9], v[8:9], v[46:47]
	s_delay_alu instid0(VALU_DEP_1) | instskip(NEXT) | instid1(VALU_DEP_1)
	v_and_b32_e32 v9, 0x7f800000, v8
	v_cmpx_ne_u32_e32 0x7f800000, v9
	s_xor_b32 s15, exec_lo, s15
; %bb.1441:                             ;   in Loop: Header=BB4_820 Depth=2
	v_bfe_u32 v9, v8, 16, 1
	s_delay_alu instid0(VALU_DEP_1)
	v_add3_u32 v13, v8, v9, 0x7fff
                                        ; implicit-def: $vgpr8_vgpr9
; %bb.1442:                             ;   in Loop: Header=BB4_820 Depth=2
	s_and_not1_saveexec_b32 s15, s15
; %bb.1443:                             ;   in Loop: Header=BB4_820 Depth=2
	v_and_b32_e32 v9, 0xffff, v8
	v_or_b32_e32 v13, 0x10000, v8
	s_delay_alu instid0(VALU_DEP_2) | instskip(NEXT) | instid1(VALU_DEP_2)
	v_cmp_eq_u32_e32 vcc_lo, 0, v9
	v_cndmask_b32_e32 v13, v13, v8, vcc_lo
; %bb.1444:                             ;   in Loop: Header=BB4_820 Depth=2
	s_or_b32 exec_lo, exec_lo, s15
	v_lshlrev_b32_e32 v8, 16, v10
	v_lshlrev_b32_e32 v9, 16, v14
	s_mov_b32 s15, exec_lo
                                        ; implicit-def: $vgpr43
	s_delay_alu instid0(VALU_DEP_1) | instskip(NEXT) | instid1(VALU_DEP_1)
	v_mul_f32_e32 v8, v9, v8
	v_and_b32_e32 v9, 0x7f800000, v8
	s_delay_alu instid0(VALU_DEP_1)
	v_cmpx_ne_u32_e32 0x7f800000, v9
	s_xor_b32 s15, exec_lo, s15
; %bb.1445:                             ;   in Loop: Header=BB4_820 Depth=2
	v_bfe_u32 v9, v8, 16, 1
	s_delay_alu instid0(VALU_DEP_1)
	v_add3_u32 v43, v8, v9, 0x7fff
                                        ; implicit-def: $vgpr8
; %bb.1446:                             ;   in Loop: Header=BB4_820 Depth=2
	s_and_not1_saveexec_b32 s15, s15
; %bb.1447:                             ;   in Loop: Header=BB4_820 Depth=2
	v_and_b32_e32 v9, 0xffff, v8
	v_or_b32_e32 v43, 0x10000, v8
	s_delay_alu instid0(VALU_DEP_2) | instskip(NEXT) | instid1(VALU_DEP_2)
	v_cmp_eq_u32_e32 vcc_lo, 0, v9
	v_cndmask_b32_e32 v43, v43, v8, vcc_lo
; %bb.1448:                             ;   in Loop: Header=BB4_820 Depth=2
	s_or_b32 exec_lo, exec_lo, s15
	v_and_b32_e32 v9, 0xffff0000, v14
	v_and_b32_e32 v8, 0xffff0000, v10
	s_mov_b32 s15, exec_lo
	s_delay_alu instid0(VALU_DEP_2) | instskip(NEXT) | instid1(VALU_DEP_1)
	v_mov_b32_e32 v10, v9
	v_pk_mul_f32 v[8:9], v[10:11], v[8:9]
                                        ; implicit-def: $vgpr10
	s_delay_alu instid0(VALU_DEP_1) | instskip(NEXT) | instid1(VALU_DEP_1)
	v_and_b32_e32 v9, 0x7f800000, v8
	v_cmpx_ne_u32_e32 0x7f800000, v9
	s_xor_b32 s15, exec_lo, s15
; %bb.1449:                             ;   in Loop: Header=BB4_820 Depth=2
	v_bfe_u32 v9, v8, 16, 1
	s_delay_alu instid0(VALU_DEP_1)
	v_add3_u32 v10, v8, v9, 0x7fff
                                        ; implicit-def: $vgpr8_vgpr9
; %bb.1450:                             ;   in Loop: Header=BB4_820 Depth=2
	s_and_not1_saveexec_b32 s15, s15
; %bb.1451:                             ;   in Loop: Header=BB4_820 Depth=2
	v_and_b32_e32 v9, 0xffff, v8
	v_or_b32_e32 v10, 0x10000, v8
	s_delay_alu instid0(VALU_DEP_2) | instskip(NEXT) | instid1(VALU_DEP_2)
	v_cmp_eq_u32_e32 vcc_lo, 0, v9
	v_cndmask_b32_e32 v10, v10, v8, vcc_lo
; %bb.1452:                             ;   in Loop: Header=BB4_820 Depth=2
	s_or_b32 exec_lo, exec_lo, s15
	v_lshlrev_b32_e32 v8, 16, v11
	v_lshlrev_b32_e32 v9, 16, v15
	s_mov_b32 s15, exec_lo
                                        ; implicit-def: $vgpr14
	s_delay_alu instid0(VALU_DEP_1) | instskip(NEXT) | instid1(VALU_DEP_1)
	v_mul_f32_e32 v8, v9, v8
	v_and_b32_e32 v9, 0x7f800000, v8
	s_delay_alu instid0(VALU_DEP_1)
	v_cmpx_ne_u32_e32 0x7f800000, v9
	s_xor_b32 s15, exec_lo, s15
; %bb.1453:                             ;   in Loop: Header=BB4_820 Depth=2
	v_bfe_u32 v9, v8, 16, 1
	s_delay_alu instid0(VALU_DEP_1)
	v_add3_u32 v14, v8, v9, 0x7fff
                                        ; implicit-def: $vgpr8
; %bb.1454:                             ;   in Loop: Header=BB4_820 Depth=2
	s_and_not1_saveexec_b32 s15, s15
; %bb.1455:                             ;   in Loop: Header=BB4_820 Depth=2
	v_and_b32_e32 v9, 0xffff, v8
	v_or_b32_e32 v14, 0x10000, v8
	s_delay_alu instid0(VALU_DEP_2) | instskip(NEXT) | instid1(VALU_DEP_2)
	v_cmp_eq_u32_e32 vcc_lo, 0, v9
	v_cndmask_b32_e32 v14, v14, v8, vcc_lo
; %bb.1456:                             ;   in Loop: Header=BB4_820 Depth=2
	s_or_b32 exec_lo, exec_lo, s15
	v_and_b32_e32 v9, 0xffff0000, v15
	v_and_b32_e32 v8, 0xffff0000, v11
	s_mov_b32 s15, exec_lo
                                        ; implicit-def: $vgpr11
	s_delay_alu instid0(VALU_DEP_2) | instskip(NEXT) | instid1(VALU_DEP_1)
	v_mov_b32_e32 v46, v9
	v_pk_mul_f32 v[8:9], v[46:47], v[8:9]
	s_delay_alu instid0(VALU_DEP_1) | instskip(NEXT) | instid1(VALU_DEP_1)
	v_and_b32_e32 v9, 0x7f800000, v8
	v_cmpx_ne_u32_e32 0x7f800000, v9
	s_xor_b32 s15, exec_lo, s15
; %bb.1457:                             ;   in Loop: Header=BB4_820 Depth=2
	v_bfe_u32 v9, v8, 16, 1
	s_delay_alu instid0(VALU_DEP_1)
	v_add3_u32 v11, v8, v9, 0x7fff
                                        ; implicit-def: $vgpr8_vgpr9
; %bb.1458:                             ;   in Loop: Header=BB4_820 Depth=2
	s_and_not1_saveexec_b32 s15, s15
; %bb.1459:                             ;   in Loop: Header=BB4_820 Depth=2
	v_and_b32_e32 v9, 0xffff, v8
	v_or_b32_e32 v11, 0x10000, v8
	s_delay_alu instid0(VALU_DEP_2) | instskip(NEXT) | instid1(VALU_DEP_2)
	v_cmp_eq_u32_e32 vcc_lo, 0, v9
	v_cndmask_b32_e32 v11, v11, v8, vcc_lo
; %bb.1460:                             ;   in Loop: Header=BB4_820 Depth=2
	s_or_b32 exec_lo, exec_lo, s15
	v_dual_lshrrev_b32 v8, 16, v42 :: v_dual_lshrrev_b32 v15, 16, v17
	v_dual_lshrrev_b32 v17, 16, v43 :: v_dual_lshrrev_b32 v14, 16, v14
	s_delay_alu instid0(VALU_DEP_2) | instskip(NEXT) | instid1(VALU_DEP_3)
	v_and_or_b32 v9, 0xffff0000, v13, v8
	v_and_or_b32 v8, 0xffff0000, v12, v15
	s_delay_alu instid0(VALU_DEP_3) | instskip(NEXT) | instid1(VALU_DEP_4)
	v_and_or_b32 v10, 0xffff0000, v10, v17
	v_and_or_b32 v11, 0xffff0000, v11, v14
	global_store_b128 v[44:45], v[8:11], off th:TH_STORE_NT
.LBB4_1461:                             ;   in Loop: Header=BB4_820 Depth=2
	s_wait_xcnt 0x0
	s_or_b32 exec_lo, exec_lo, s14
	v_and_b32_e32 v9, 14, v19
	s_mov_b32 s15, s90
	s_mov_b32 s14, exec_lo
                                        ; implicit-def: $vgpr14
                                        ; implicit-def: $vgpr15
                                        ; implicit-def: $vgpr8
	s_delay_alu instid0(VALU_DEP_1) | instskip(NEXT) | instid1(VALU_DEP_1)
	v_cndmask_b32_e64 v17, v61, v9, s13
	v_cmpx_ne_u32_e32 0, v17
	s_cbranch_execz .LBB4_1463
; %bb.1462:                             ;   in Loop: Header=BB4_820 Depth=2
	v_cmp_lt_i32_e32 vcc_lo, 0, v62
	s_or_b32 s15, s90, exec_lo
	v_dual_cndmask_b32 v8, 0, v52 :: v_dual_sub_nc_u32 v9, v61, v9
	s_delay_alu instid0(VALU_DEP_1) | instskip(NEXT) | instid1(VALU_DEP_1)
	v_dual_cndmask_b32 v9, 0, v9, s13 :: v_dual_sub_nc_u32 v8, v8, v62
	v_add3_u32 v14, v60, v58, v9
	s_delay_alu instid0(VALU_DEP_2) | instskip(NEXT) | instid1(VALU_DEP_1)
	v_lshl_add_u32 v10, v8, 5, v59
	v_ashrrev_i32_e32 v8, 31, v10
	s_delay_alu instid0(VALU_DEP_1) | instskip(NEXT) | instid1(VALU_DEP_1)
	v_lshrrev_b32_e32 v8, 27, v8
	v_add_nc_u32_e32 v8, v10, v8
	s_delay_alu instid0(VALU_DEP_1) | instskip(NEXT) | instid1(VALU_DEP_1)
	v_and_b32_e32 v11, 0xffffffe0, v8
	v_dual_ashrrev_i32 v8, 5, v8 :: v_dual_sub_nc_u32 v15, v10, v11
.LBB4_1463:                             ;   in Loop: Header=BB4_820 Depth=2
	s_or_b32 exec_lo, exec_lo, s14
	s_delay_alu instid0(SALU_CYCLE_1) | instskip(SKIP_1) | instid1(SALU_CYCLE_1)
	s_and_not1_b32 s13, s90, exec_lo
	s_and_b32 s14, s15, exec_lo
	s_or_b32 s90, s13, s14
.LBB4_1464:                             ;   in Loop: Header=BB4_820 Depth=2
	s_or_b32 exec_lo, exec_lo, s91
	s_and_saveexec_b32 s15, s90
	s_cbranch_execz .LBB4_1548
.LBB4_1465:                             ;   in Loop: Header=BB4_820 Depth=2
	s_delay_alu instid0(VALU_DEP_1) | instskip(SKIP_3) | instid1(VALU_DEP_2)
	v_dual_ashrrev_i32 v9, 31, v17 :: v_dual_lshlrev_b32 v10, 8, v8
	s_wait_dscnt 0x0
	v_dual_mov_b32 v43, 0 :: v_dual_mov_b32 v44, 0
	s_mov_b32 s14, 0
	v_dual_lshrrev_b32 v9, 24, v9 :: v_dual_lshlrev_b32 v11, 1, v15
	s_mov_b32 s13, exec_lo
	v_dual_mov_b32 v59, 0 :: v_dual_mov_b32 v57, 0
	s_delay_alu instid0(VALU_DEP_2) | instskip(NEXT) | instid1(VALU_DEP_3)
	v_add_nc_u32_e32 v9, v17, v9
	v_add3_u32 v12, v14, v11, v10
	v_dual_mov_b32 v60, 0 :: v_dual_mov_b32 v10, 0
	s_delay_alu instid0(VALU_DEP_3) | instskip(NEXT) | instid1(VALU_DEP_3)
	v_dual_mov_b32 v11, 0 :: v_dual_ashrrev_i32 v19, 8, v9
	v_dual_mov_b32 v58, 0 :: v_dual_ashrrev_i32 v13, 31, v12
	s_delay_alu instid0(VALU_DEP_2) | instskip(NEXT) | instid1(VALU_DEP_2)
	v_sub_nc_u32_e32 v42, v19, v8
	v_add_nc_u64_e32 v[8:9], v[40:41], v[12:13]
	s_delay_alu instid0(VALU_DEP_2)
	v_cmpx_lt_i32_e32 0, v42
	s_cbranch_execz .LBB4_1505
; %bb.1466:                             ;   in Loop: Header=BB4_820 Depth=2
	s_trap 2
	ds_load_b64 v[44:45], v0
	v_add_nc_u64_e32 v[10:11], v[12:13], v[22:23]
	s_mov_b32 s41, 0
	s_mov_b32 s40, 0
                                        ; implicit-def: $sgpr14
                                        ; implicit-def: $vgpr60
                                        ; implicit-def: $vgpr57
                                        ; implicit-def: $vgpr56
                                        ; implicit-def: $vgpr47
                                        ; implicit-def: $vgpr43
                                        ; implicit-def: $vgpr46
	s_wait_dscnt 0x0
	v_add_nc_u64_e32 v[12:13], v[44:45], v[12:13]
                                        ; implicit-def: $vgpr44
                                        ; implicit-def: $vgpr45
	s_branch .LBB4_1468
.LBB4_1467:                             ;   in Loop: Header=BB4_1468 Depth=3
	s_or_b32 exec_lo, exec_lo, s90
	v_dual_cndmask_b32 v59, 0, v52, s41 :: v_dual_cndmask_b32 v105, 0, v97, s41
	v_add_nc_u64_e32 v[92:93], v[10:11], v[80:81]
	v_add_nc_u64_e32 v[94:95], v[12:13], v[80:81]
	v_cndmask_b32_e64 v104, 0x100, v96, s41
	s_delay_alu instid0(VALU_DEP_4)
	v_sub_nc_u32_e32 v42, v42, v59
	s_clause 0x3
	flat_store_d16_hi_b16 v[8:9], v90 th:TH_STORE_NT
	flat_store_d16_hi_b16 v[8:9], v63 offset:64 th:TH_STORE_NT
	flat_store_d16_hi_b16 v[8:9], v61 offset:128 th:TH_STORE_NT
	;; [unrolled: 1-line block ×3, first 2 shown]
	v_cndmask_b32_e64 v11, v11, v93, s41
	v_cmp_gt_i32_e32 vcc_lo, 1, v42
	s_wait_xcnt 0x0
	v_add_nc_u64_e32 v[8:9], v[8:9], v[104:105]
	v_dual_cndmask_b32 v10, v10, v92, s41 :: v_dual_cndmask_b32 v13, v13, v95, s41
	v_cndmask_b32_e64 v12, v12, v94, s41
	s_or_b32 s40, vcc_lo, s40
	s_and_not1_b32 s14, s14, exec_lo
	s_and_b32 s90, s41, exec_lo
	s_delay_alu instid0(SALU_CYCLE_1)
	s_or_b32 s14, s14, s90
	s_and_not1_b32 exec_lo, exec_lo, s40
	s_cbranch_execz .LBB4_1504
.LBB4_1468:                             ;   Parent Loop BB4_47 Depth=1
                                        ;     Parent Loop BB4_820 Depth=2
                                        ; =>    This Inner Loop Header: Depth=3
	s_clause 0x3
	flat_load_u16 v90, v[10:11] th:TH_LOAD_NT
	flat_load_u16 v63, v[10:11] offset:64 th:TH_LOAD_NT
	flat_load_u16 v61, v[10:11] offset:128 th:TH_LOAD_NT
	;; [unrolled: 1-line block ×3, first 2 shown]
	s_clause 0x3
	flat_load_u16 v91, v[12:13] th:TH_LOAD_NT
	flat_load_u16 v89, v[12:13] offset:64 th:TH_LOAD_NT
	flat_load_u16 v62, v[12:13] offset:128 th:TH_LOAD_NT
	;; [unrolled: 1-line block ×3, first 2 shown]
	s_wait_xcnt 0x0
	s_and_saveexec_b32 s90, s41
	s_cbranch_execz .LBB4_1486
; %bb.1469:                             ;   in Loop: Header=BB4_1468 Depth=3
	v_dual_lshlrev_b32 v60, 16, v60 :: v_dual_lshlrev_b32 v92, 16, v43
	s_delay_alu instid0(VALU_DEP_1) | instskip(NEXT) | instid1(VALU_DEP_1)
	v_mul_f32_e32 v92, v60, v92
	v_and_b32_e32 v60, 0x7f800000, v92
	s_delay_alu instid0(VALU_DEP_1) | instskip(SKIP_1) | instid1(SALU_CYCLE_1)
	v_cmp_ne_u32_e32 vcc_lo, 0x7f800000, v60
                                        ; implicit-def: $vgpr60
	s_and_saveexec_b32 s41, vcc_lo
	s_xor_b32 s41, exec_lo, s41
; %bb.1470:                             ;   in Loop: Header=BB4_1468 Depth=3
	v_bfe_u32 v60, v92, 16, 1
	s_delay_alu instid0(VALU_DEP_1)
	v_add3_u32 v60, v92, v60, 0x7fff
                                        ; implicit-def: $vgpr92
; %bb.1471:                             ;   in Loop: Header=BB4_1468 Depth=3
	s_and_not1_saveexec_b32 s41, s41
; %bb.1472:                             ;   in Loop: Header=BB4_1468 Depth=3
	v_and_b32_e32 v60, 0xffff, v92
	v_or_b32_e32 v93, 0x10000, v92
	s_delay_alu instid0(VALU_DEP_2) | instskip(NEXT) | instid1(VALU_DEP_2)
	v_cmp_eq_u32_e32 vcc_lo, 0, v60
	v_cndmask_b32_e32 v60, v93, v92, vcc_lo
; %bb.1473:                             ;   in Loop: Header=BB4_1468 Depth=3
	s_or_b32 exec_lo, exec_lo, s41
	v_dual_lshlrev_b32 v57, 16, v57 :: v_dual_lshlrev_b32 v92, 16, v44
	s_delay_alu instid0(VALU_DEP_1) | instskip(NEXT) | instid1(VALU_DEP_1)
	v_mul_f32_e32 v92, v57, v92
	v_and_b32_e32 v57, 0x7f800000, v92
	s_delay_alu instid0(VALU_DEP_1) | instskip(SKIP_1) | instid1(SALU_CYCLE_1)
	v_cmp_ne_u32_e32 vcc_lo, 0x7f800000, v57
                                        ; implicit-def: $vgpr57
	s_and_saveexec_b32 s41, vcc_lo
	s_xor_b32 s41, exec_lo, s41
; %bb.1474:                             ;   in Loop: Header=BB4_1468 Depth=3
	v_bfe_u32 v57, v92, 16, 1
	s_delay_alu instid0(VALU_DEP_1)
	v_add3_u32 v57, v92, v57, 0x7fff
                                        ; implicit-def: $vgpr92
; %bb.1475:                             ;   in Loop: Header=BB4_1468 Depth=3
	s_and_not1_saveexec_b32 s41, s41
; %bb.1476:                             ;   in Loop: Header=BB4_1468 Depth=3
	v_and_b32_e32 v57, 0xffff, v92
	v_or_b32_e32 v93, 0x10000, v92
	s_delay_alu instid0(VALU_DEP_2) | instskip(NEXT) | instid1(VALU_DEP_2)
	v_cmp_eq_u32_e32 vcc_lo, 0, v57
	v_cndmask_b32_e32 v57, v93, v92, vcc_lo
; %bb.1477:                             ;   in Loop: Header=BB4_1468 Depth=3
	s_or_b32 exec_lo, exec_lo, s41
	v_dual_lshlrev_b32 v56, 16, v56 :: v_dual_lshlrev_b32 v92, 16, v45
	s_delay_alu instid0(VALU_DEP_1) | instskip(NEXT) | instid1(VALU_DEP_1)
	v_mul_f32_e32 v92, v56, v92
	v_and_b32_e32 v56, 0x7f800000, v92
	s_delay_alu instid0(VALU_DEP_1) | instskip(SKIP_1) | instid1(SALU_CYCLE_1)
	v_cmp_ne_u32_e32 vcc_lo, 0x7f800000, v56
                                        ; implicit-def: $vgpr56
	s_and_saveexec_b32 s41, vcc_lo
	s_xor_b32 s41, exec_lo, s41
; %bb.1478:                             ;   in Loop: Header=BB4_1468 Depth=3
	v_bfe_u32 v56, v92, 16, 1
	s_delay_alu instid0(VALU_DEP_1)
	v_add3_u32 v56, v92, v56, 0x7fff
                                        ; implicit-def: $vgpr92
; %bb.1479:                             ;   in Loop: Header=BB4_1468 Depth=3
	s_and_not1_saveexec_b32 s41, s41
; %bb.1480:                             ;   in Loop: Header=BB4_1468 Depth=3
	v_and_b32_e32 v56, 0xffff, v92
	v_or_b32_e32 v93, 0x10000, v92
	s_delay_alu instid0(VALU_DEP_2) | instskip(NEXT) | instid1(VALU_DEP_2)
	v_cmp_eq_u32_e32 vcc_lo, 0, v56
	v_cndmask_b32_e32 v56, v93, v92, vcc_lo
; %bb.1481:                             ;   in Loop: Header=BB4_1468 Depth=3
	s_or_b32 exec_lo, exec_lo, s41
	v_dual_lshlrev_b32 v47, 16, v47 :: v_dual_lshlrev_b32 v92, 16, v46
	s_delay_alu instid0(VALU_DEP_1) | instskip(NEXT) | instid1(VALU_DEP_1)
	v_mul_f32_e32 v92, v47, v92
	v_and_b32_e32 v47, 0x7f800000, v92
	s_delay_alu instid0(VALU_DEP_1) | instskip(SKIP_1) | instid1(SALU_CYCLE_1)
	v_cmp_ne_u32_e32 vcc_lo, 0x7f800000, v47
                                        ; implicit-def: $vgpr47
	s_and_saveexec_b32 s41, vcc_lo
	s_xor_b32 s41, exec_lo, s41
; %bb.1482:                             ;   in Loop: Header=BB4_1468 Depth=3
	v_bfe_u32 v47, v92, 16, 1
	s_delay_alu instid0(VALU_DEP_1)
	v_add3_u32 v47, v92, v47, 0x7fff
                                        ; implicit-def: $vgpr92
; %bb.1483:                             ;   in Loop: Header=BB4_1468 Depth=3
	s_and_not1_saveexec_b32 s41, s41
; %bb.1484:                             ;   in Loop: Header=BB4_1468 Depth=3
	v_and_b32_e32 v47, 0xffff, v92
	v_or_b32_e32 v93, 0x10000, v92
	s_delay_alu instid0(VALU_DEP_2) | instskip(NEXT) | instid1(VALU_DEP_2)
	v_cmp_eq_u32_e32 vcc_lo, 0, v47
	v_cndmask_b32_e32 v47, v93, v92, vcc_lo
; %bb.1485:                             ;   in Loop: Header=BB4_1468 Depth=3
	s_or_b32 exec_lo, exec_lo, s41
	v_dual_lshrrev_b32 v60, 16, v60 :: v_dual_lshrrev_b32 v57, 16, v57
	s_delay_alu instid0(VALU_DEP_2)
	v_dual_lshrrev_b32 v56, 16, v56 :: v_dual_lshrrev_b32 v47, 16, v47
	s_clause 0x3
	flat_store_b16 v[8:9], v60 th:TH_STORE_NT
	flat_store_b16 v[8:9], v57 offset:64 th:TH_STORE_NT
	flat_store_b16 v[8:9], v56 offset:128 th:TH_STORE_NT
	;; [unrolled: 1-line block ×3, first 2 shown]
	s_wait_xcnt 0x0
	v_add_nc_u64_e32 v[8:9], v[8:9], v[96:97]
.LBB4_1486:                             ;   in Loop: Header=BB4_1468 Depth=3
	s_or_b32 exec_lo, exec_lo, s90
	v_sub_nc_u32_e32 v42, v42, v52
	v_add_nc_u64_e32 v[10:11], v[10:11], v[96:97]
	v_add_nc_u64_e32 v[12:13], v[12:13], v[96:97]
	s_delay_alu instid0(VALU_DEP_3)
	v_cmp_lt_i32_e64 s41, 0, v42
	s_and_saveexec_b32 s90, s41
	s_cbranch_execz .LBB4_1488
; %bb.1487:                             ;   in Loop: Header=BB4_1468 Depth=3
	s_clause 0x3
	flat_load_u16 v60, v[10:11] th:TH_LOAD_NT
	flat_load_u16 v57, v[10:11] offset:64 th:TH_LOAD_NT
	flat_load_u16 v56, v[10:11] offset:128 th:TH_LOAD_NT
	;; [unrolled: 1-line block ×3, first 2 shown]
	s_clause 0x3
	flat_load_u16 v43, v[12:13] th:TH_LOAD_NT
	flat_load_u16 v44, v[12:13] offset:64 th:TH_LOAD_NT
	flat_load_u16 v45, v[12:13] offset:128 th:TH_LOAD_NT
	;; [unrolled: 1-line block ×3, first 2 shown]
	s_wait_xcnt 0x4
	v_add_nc_u64_e32 v[10:11], 0x100, v[10:11]
	s_wait_xcnt 0x0
	v_add_nc_u64_e32 v[12:13], 0x100, v[12:13]
.LBB4_1488:                             ;   in Loop: Header=BB4_1468 Depth=3
	s_or_b32 exec_lo, exec_lo, s90
	s_wait_loadcnt_dscnt 0x303
	v_dual_lshlrev_b32 v90, 16, v90 :: v_dual_lshlrev_b32 v91, 16, v91
	s_delay_alu instid0(VALU_DEP_1) | instskip(NEXT) | instid1(VALU_DEP_1)
	v_mul_f32_e32 v91, v91, v90
	v_and_b32_e32 v90, 0x7f800000, v91
	s_delay_alu instid0(VALU_DEP_1) | instskip(SKIP_1) | instid1(SALU_CYCLE_1)
	v_cmp_ne_u32_e32 vcc_lo, 0x7f800000, v90
                                        ; implicit-def: $vgpr90
	s_and_saveexec_b32 s90, vcc_lo
	s_xor_b32 s90, exec_lo, s90
; %bb.1489:                             ;   in Loop: Header=BB4_1468 Depth=3
	v_bfe_u32 v90, v91, 16, 1
	s_delay_alu instid0(VALU_DEP_1)
	v_add3_u32 v90, v91, v90, 0x7fff
                                        ; implicit-def: $vgpr91
; %bb.1490:                             ;   in Loop: Header=BB4_1468 Depth=3
	s_and_not1_saveexec_b32 s90, s90
; %bb.1491:                             ;   in Loop: Header=BB4_1468 Depth=3
	v_and_b32_e32 v90, 0xffff, v91
	v_or_b32_e32 v92, 0x10000, v91
	s_delay_alu instid0(VALU_DEP_2) | instskip(NEXT) | instid1(VALU_DEP_2)
	v_cmp_eq_u32_e32 vcc_lo, 0, v90
	v_cndmask_b32_e32 v90, v92, v91, vcc_lo
; %bb.1492:                             ;   in Loop: Header=BB4_1468 Depth=3
	s_or_b32 exec_lo, exec_lo, s90
	s_wait_loadcnt_dscnt 0x202
	v_dual_lshlrev_b32 v63, 16, v63 :: v_dual_lshlrev_b32 v89, 16, v89
	s_delay_alu instid0(VALU_DEP_1) | instskip(NEXT) | instid1(VALU_DEP_1)
	v_mul_f32_e32 v89, v89, v63
	v_and_b32_e32 v63, 0x7f800000, v89
	s_delay_alu instid0(VALU_DEP_1) | instskip(SKIP_1) | instid1(SALU_CYCLE_1)
	v_cmp_ne_u32_e32 vcc_lo, 0x7f800000, v63
                                        ; implicit-def: $vgpr63
	s_and_saveexec_b32 s90, vcc_lo
	s_xor_b32 s90, exec_lo, s90
; %bb.1493:                             ;   in Loop: Header=BB4_1468 Depth=3
	v_bfe_u32 v63, v89, 16, 1
	s_delay_alu instid0(VALU_DEP_1)
	v_add3_u32 v63, v89, v63, 0x7fff
                                        ; implicit-def: $vgpr89
; %bb.1494:                             ;   in Loop: Header=BB4_1468 Depth=3
	s_and_not1_saveexec_b32 s90, s90
; %bb.1495:                             ;   in Loop: Header=BB4_1468 Depth=3
	v_and_b32_e32 v63, 0xffff, v89
	v_or_b32_e32 v91, 0x10000, v89
	s_delay_alu instid0(VALU_DEP_2) | instskip(NEXT) | instid1(VALU_DEP_2)
	v_cmp_eq_u32_e32 vcc_lo, 0, v63
	v_cndmask_b32_e32 v63, v91, v89, vcc_lo
; %bb.1496:                             ;   in Loop: Header=BB4_1468 Depth=3
	s_or_b32 exec_lo, exec_lo, s90
	s_wait_loadcnt_dscnt 0x101
	v_dual_lshlrev_b32 v61, 16, v61 :: v_dual_lshlrev_b32 v62, 16, v62
	s_delay_alu instid0(VALU_DEP_1) | instskip(NEXT) | instid1(VALU_DEP_1)
	v_mul_f32_e32 v62, v62, v61
	v_and_b32_e32 v61, 0x7f800000, v62
	s_delay_alu instid0(VALU_DEP_1) | instskip(SKIP_1) | instid1(SALU_CYCLE_1)
	v_cmp_ne_u32_e32 vcc_lo, 0x7f800000, v61
                                        ; implicit-def: $vgpr61
	s_and_saveexec_b32 s90, vcc_lo
	s_xor_b32 s90, exec_lo, s90
; %bb.1497:                             ;   in Loop: Header=BB4_1468 Depth=3
	v_bfe_u32 v61, v62, 16, 1
	s_delay_alu instid0(VALU_DEP_1)
	v_add3_u32 v61, v62, v61, 0x7fff
                                        ; implicit-def: $vgpr62
; %bb.1498:                             ;   in Loop: Header=BB4_1468 Depth=3
	s_and_not1_saveexec_b32 s90, s90
; %bb.1499:                             ;   in Loop: Header=BB4_1468 Depth=3
	v_and_b32_e32 v61, 0xffff, v62
	v_or_b32_e32 v89, 0x10000, v62
	s_delay_alu instid0(VALU_DEP_2) | instskip(NEXT) | instid1(VALU_DEP_2)
	v_cmp_eq_u32_e32 vcc_lo, 0, v61
	v_cndmask_b32_e32 v61, v89, v62, vcc_lo
; %bb.1500:                             ;   in Loop: Header=BB4_1468 Depth=3
	s_or_b32 exec_lo, exec_lo, s90
	s_wait_loadcnt_dscnt 0x0
	v_dual_lshlrev_b32 v58, 16, v58 :: v_dual_lshlrev_b32 v59, 16, v59
	s_delay_alu instid0(VALU_DEP_1) | instskip(NEXT) | instid1(VALU_DEP_1)
	v_mul_f32_e32 v59, v59, v58
	v_and_b32_e32 v58, 0x7f800000, v59
	s_delay_alu instid0(VALU_DEP_1) | instskip(SKIP_1) | instid1(SALU_CYCLE_1)
	v_cmp_ne_u32_e32 vcc_lo, 0x7f800000, v58
                                        ; implicit-def: $vgpr58
	s_and_saveexec_b32 s90, vcc_lo
	s_xor_b32 s90, exec_lo, s90
; %bb.1501:                             ;   in Loop: Header=BB4_1468 Depth=3
	v_bfe_u32 v58, v59, 16, 1
	s_delay_alu instid0(VALU_DEP_1)
	v_add3_u32 v58, v59, v58, 0x7fff
                                        ; implicit-def: $vgpr59
; %bb.1502:                             ;   in Loop: Header=BB4_1468 Depth=3
	s_and_not1_saveexec_b32 s90, s90
	s_cbranch_execz .LBB4_1467
; %bb.1503:                             ;   in Loop: Header=BB4_1468 Depth=3
	v_and_b32_e32 v58, 0xffff, v59
	v_or_b32_e32 v62, 0x10000, v59
	s_delay_alu instid0(VALU_DEP_2) | instskip(NEXT) | instid1(VALU_DEP_2)
	v_cmp_eq_u32_e32 vcc_lo, 0, v58
	v_cndmask_b32_e32 v58, v62, v59, vcc_lo
	s_branch .LBB4_1467
.LBB4_1504:                             ;   in Loop: Header=BB4_820 Depth=2
	s_or_b32 exec_lo, exec_lo, s40
	v_dual_lshlrev_b32 v59, 16, v60 :: v_dual_lshlrev_b32 v60, 16, v43
	v_dual_lshlrev_b32 v57, 16, v57 :: v_dual_lshlrev_b32 v58, 16, v44
	;; [unrolled: 1-line block ×4, first 2 shown]
	s_and_b32 s14, s14, exec_lo
.LBB4_1505:                             ;   in Loop: Header=BB4_820 Depth=2
	s_or_b32 exec_lo, exec_lo, s13
	s_and_saveexec_b32 s13, s14
	s_cbranch_execz .LBB4_1523
; %bb.1506:                             ;   in Loop: Header=BB4_820 Depth=2
	v_mul_f32_e32 v13, v60, v59
	s_delay_alu instid0(VALU_DEP_1) | instskip(NEXT) | instid1(VALU_DEP_1)
	v_and_b32_e32 v12, 0x7f800000, v13
	v_cmp_ne_u32_e32 vcc_lo, 0x7f800000, v12
                                        ; implicit-def: $vgpr12
	s_and_saveexec_b32 s14, vcc_lo
	s_delay_alu instid0(SALU_CYCLE_1)
	s_xor_b32 s14, exec_lo, s14
; %bb.1507:                             ;   in Loop: Header=BB4_820 Depth=2
	v_bfe_u32 v12, v13, 16, 1
	s_delay_alu instid0(VALU_DEP_1)
	v_add3_u32 v12, v13, v12, 0x7fff
                                        ; implicit-def: $vgpr13
; %bb.1508:                             ;   in Loop: Header=BB4_820 Depth=2
	s_and_not1_saveexec_b32 s14, s14
; %bb.1509:                             ;   in Loop: Header=BB4_820 Depth=2
	v_and_b32_e32 v12, 0xffff, v13
	v_or_b32_e32 v45, 0x10000, v13
	s_delay_alu instid0(VALU_DEP_2) | instskip(NEXT) | instid1(VALU_DEP_2)
	v_cmp_eq_u32_e32 vcc_lo, 0, v12
	v_cndmask_b32_e32 v12, v45, v13, vcc_lo
; %bb.1510:                             ;   in Loop: Header=BB4_820 Depth=2
	s_or_b32 exec_lo, exec_lo, s14
	v_mul_f32_e32 v45, v58, v57
	s_delay_alu instid0(VALU_DEP_1) | instskip(NEXT) | instid1(VALU_DEP_1)
	v_and_b32_e32 v13, 0x7f800000, v45
	v_cmp_ne_u32_e32 vcc_lo, 0x7f800000, v13
                                        ; implicit-def: $vgpr13
	s_and_saveexec_b32 s14, vcc_lo
	s_delay_alu instid0(SALU_CYCLE_1)
	s_xor_b32 s14, exec_lo, s14
; %bb.1511:                             ;   in Loop: Header=BB4_820 Depth=2
	v_bfe_u32 v13, v45, 16, 1
	s_delay_alu instid0(VALU_DEP_1)
	v_add3_u32 v13, v45, v13, 0x7fff
                                        ; implicit-def: $vgpr45
; %bb.1512:                             ;   in Loop: Header=BB4_820 Depth=2
	s_and_not1_saveexec_b32 s14, s14
; %bb.1513:                             ;   in Loop: Header=BB4_820 Depth=2
	v_and_b32_e32 v13, 0xffff, v45
	v_or_b32_e32 v46, 0x10000, v45
	s_delay_alu instid0(VALU_DEP_2) | instskip(NEXT) | instid1(VALU_DEP_2)
	v_cmp_eq_u32_e32 vcc_lo, 0, v13
	v_cndmask_b32_e32 v13, v46, v45, vcc_lo
; %bb.1514:                             ;   in Loop: Header=BB4_820 Depth=2
	s_or_b32 exec_lo, exec_lo, s14
	v_mul_f32_e32 v44, v44, v43
	s_delay_alu instid0(VALU_DEP_1) | instskip(NEXT) | instid1(VALU_DEP_1)
	v_and_b32_e32 v43, 0x7f800000, v44
	v_cmp_ne_u32_e32 vcc_lo, 0x7f800000, v43
                                        ; implicit-def: $vgpr43
	s_and_saveexec_b32 s14, vcc_lo
	s_delay_alu instid0(SALU_CYCLE_1)
	s_xor_b32 s14, exec_lo, s14
; %bb.1515:                             ;   in Loop: Header=BB4_820 Depth=2
	v_bfe_u32 v43, v44, 16, 1
	s_delay_alu instid0(VALU_DEP_1)
	v_add3_u32 v43, v44, v43, 0x7fff
                                        ; implicit-def: $vgpr44
; %bb.1516:                             ;   in Loop: Header=BB4_820 Depth=2
	s_and_not1_saveexec_b32 s14, s14
; %bb.1517:                             ;   in Loop: Header=BB4_820 Depth=2
	v_and_b32_e32 v43, 0xffff, v44
	v_or_b32_e32 v45, 0x10000, v44
	s_delay_alu instid0(VALU_DEP_2) | instskip(NEXT) | instid1(VALU_DEP_2)
	v_cmp_eq_u32_e32 vcc_lo, 0, v43
	v_cndmask_b32_e32 v43, v45, v44, vcc_lo
; %bb.1518:                             ;   in Loop: Header=BB4_820 Depth=2
	s_or_b32 exec_lo, exec_lo, s14
	v_mul_f32_e32 v10, v11, v10
	s_delay_alu instid0(VALU_DEP_1) | instskip(NEXT) | instid1(VALU_DEP_1)
	v_and_b32_e32 v11, 0x7f800000, v10
	v_cmp_ne_u32_e32 vcc_lo, 0x7f800000, v11
                                        ; implicit-def: $vgpr11
	s_and_saveexec_b32 s14, vcc_lo
	s_delay_alu instid0(SALU_CYCLE_1)
	s_xor_b32 s14, exec_lo, s14
; %bb.1519:                             ;   in Loop: Header=BB4_820 Depth=2
	v_bfe_u32 v11, v10, 16, 1
	s_delay_alu instid0(VALU_DEP_1)
	v_add3_u32 v11, v10, v11, 0x7fff
                                        ; implicit-def: $vgpr10
; %bb.1520:                             ;   in Loop: Header=BB4_820 Depth=2
	s_and_not1_saveexec_b32 s14, s14
; %bb.1521:                             ;   in Loop: Header=BB4_820 Depth=2
	v_and_b32_e32 v11, 0xffff, v10
	v_or_b32_e32 v44, 0x10000, v10
	s_delay_alu instid0(VALU_DEP_2) | instskip(NEXT) | instid1(VALU_DEP_2)
	v_cmp_eq_u32_e32 vcc_lo, 0, v11
	v_cndmask_b32_e32 v11, v44, v10, vcc_lo
; %bb.1522:                             ;   in Loop: Header=BB4_820 Depth=2
	s_or_b32 exec_lo, exec_lo, s14
	s_clause 0x3
	flat_store_d16_hi_b16 v[8:9], v12 th:TH_STORE_NT
	flat_store_d16_hi_b16 v[8:9], v13 offset:64 th:TH_STORE_NT
	flat_store_d16_hi_b16 v[8:9], v43 offset:128 th:TH_STORE_NT
	;; [unrolled: 1-line block ×3, first 2 shown]
.LBB4_1523:                             ;   in Loop: Header=BB4_820 Depth=2
	s_wait_xcnt 0x0
	s_or_b32 exec_lo, exec_lo, s13
	v_lshlrev_b32_e32 v8, 8, v19
	s_delay_alu instid0(VALU_DEP_1)
	v_cmp_ne_u32_e32 vcc_lo, v17, v8
	s_and_b32 exec_lo, exec_lo, vcc_lo
	s_cbranch_execz .LBB4_1548
; %bb.1524:                             ;   in Loop: Header=BB4_820 Depth=2
	v_lshlrev_b32_e32 v9, 5, v42
	s_delay_alu instid0(VALU_DEP_1) | instskip(NEXT) | instid1(VALU_DEP_1)
	v_sub_nc_u32_e32 v9, v15, v9
	v_ashrrev_i32_e32 v10, 31, v9
	s_delay_alu instid0(VALU_DEP_1) | instskip(NEXT) | instid1(VALU_DEP_1)
	v_lshrrev_b32_e32 v10, 27, v10
	v_add_nc_u32_e32 v10, v9, v10
	s_delay_alu instid0(VALU_DEP_1) | instskip(NEXT) | instid1(VALU_DEP_1)
	v_and_b32_e32 v11, 0x7fffffe0, v10
	v_sub_nc_u32_e32 v9, v9, v11
	s_delay_alu instid0(VALU_DEP_1) | instskip(NEXT) | instid1(VALU_DEP_1)
	v_dual_lshlrev_b32 v9, 1, v9 :: v_dual_lshlrev_b32 v10, 1, v10
	v_and_b32_e32 v10, 0xffffffc0, v10
	s_delay_alu instid0(VALU_DEP_1) | instskip(NEXT) | instid1(VALU_DEP_1)
	v_add3_u32 v8, v10, v9, v8
	v_sub_nc_u32_e32 v15, v17, v8
	s_delay_alu instid0(VALU_DEP_1)
	v_cmp_lt_i32_e32 vcc_lo, 1, v15
	s_and_b32 exec_lo, exec_lo, vcc_lo
	s_cbranch_execz .LBB4_1548
; %bb.1525:                             ;   in Loop: Header=BB4_820 Depth=2
	s_trap 2
	ds_load_b64 v[10:11], v0
	v_add_nc_u32_e32 v42, v8, v14
	s_mov_b32 s92, 0
	s_mov_b32 s90, 0
                                        ; implicit-def: $sgpr91
	s_delay_alu instid0(VALU_DEP_1) | instskip(NEXT) | instid1(VALU_DEP_1)
	v_ashrrev_i32_e32 v43, 31, v42
	v_add_nc_u64_e32 v[8:9], v[40:41], v[42:43]
	v_add_nc_u64_e32 v[12:13], v[42:43], v[22:23]
	s_wait_dscnt 0x0
	v_add_nc_u64_e32 v[10:11], v[10:11], v[42:43]
	s_branch .LBB4_1527
.LBB4_1526:                             ;   in Loop: Header=BB4_1527 Depth=3
	s_or_b32 exec_lo, exec_lo, s13
	s_delay_alu instid0(VALU_DEP_1) | instskip(SKIP_2) | instid1(VALU_DEP_3)
	v_dual_cndmask_b32 v17, 0, v77, s92 :: v_dual_lshrrev_b32 v19, 16, v15
	v_add_nc_u64_e32 v[22:23], v[10:11], v[84:85]
	v_dual_cndmask_b32 v41, 0, v101, s92 :: v_dual_cndmask_b32 v40, 64, v100, s92
	v_sub_nc_u32_e32 v15, v14, v17
	v_add_nc_u64_e32 v[42:43], v[12:13], v[84:85]
	flat_store_b16 v[8:9], v19 th:TH_STORE_NT
	scratch_store_b16 off, v19, s33 offset:144
	v_cndmask_b32_e64 v11, v11, v23, s92
	v_cmp_gt_i32_e32 vcc_lo, 2, v15
	s_wait_xcnt 0x1
	v_add_nc_u64_e32 v[8:9], v[8:9], v[40:41]
	v_dual_cndmask_b32 v10, v10, v22, s92 :: v_dual_cndmask_b32 v13, v13, v43, s92
	v_cndmask_b32_e64 v12, v12, v42, s92
	s_or_b32 s90, vcc_lo, s90
	s_and_not1_b32 s13, s91, exec_lo
	s_and_b32 s14, s92, exec_lo
	s_delay_alu instid0(SALU_CYCLE_1)
	s_or_b32 s91, s13, s14
	s_wait_xcnt 0x0
	s_and_not1_b32 exec_lo, exec_lo, s90
	s_cbranch_execz .LBB4_1542
.LBB4_1527:                             ;   Parent Loop BB4_47 Depth=1
                                        ;     Parent Loop BB4_820 Depth=2
                                        ; =>    This Loop Header: Depth=3
                                        ;         Child Loop BB4_1528 Depth 4
                                        ;         Child Loop BB4_1537 Depth 4
	s_add_co_i32 s13, s33, 0x90
	s_mov_b64 s[40:41], 0
	s_mov_b32 s93, s13
	s_mov_b32 s94, -1
.LBB4_1528:                             ;   Parent Loop BB4_47 Depth=1
                                        ;     Parent Loop BB4_820 Depth=2
                                        ;       Parent Loop BB4_1527 Depth=3
                                        ; =>      This Inner Loop Header: Depth=4
	s_cmp_eq_u32 s40, 1
	s_cselect_b32 vcc_lo, -1, 0
	s_cmp_eq_u32 s40, 0
	v_dual_cndmask_b32 v23, v13, v11 :: v_dual_cndmask_b32 v22, v12, v10
	s_cselect_b32 s13, -1, 0
	s_and_b32 s14, exec_lo, s94
	s_mov_b64 s[40:41], 1
	s_mov_b32 s94, 0
	flat_load_u16 v14, v[22:23] th:TH_LOAD_NT
	s_wait_xcnt 0x0
	v_add_nc_u64_e32 v[22:23], 64, v[22:23]
	s_delay_alu instid0(VALU_DEP_1)
	v_dual_cndmask_b32 v11, v11, v23 :: v_dual_cndmask_b32 v10, v10, v22
	v_dual_cndmask_b32 v13, v13, v23, s13 :: v_dual_cndmask_b32 v12, v12, v22, s13
	s_add_co_i32 s13, s33, 0xb0
	s_mov_b32 vcc_lo, s14
	s_wait_loadcnt_dscnt 0x0
	scratch_store_b16 off, v14, s93
	s_wait_xcnt 0x0
	s_mov_b32 s93, s13
	s_cbranch_vccnz .LBB4_1528
; %bb.1529:                             ;   in Loop: Header=BB4_1527 Depth=3
	s_and_saveexec_b32 s13, s92
	s_cbranch_execz .LBB4_1535
; %bb.1530:                             ;   in Loop: Header=BB4_1527 Depth=3
	s_clause 0x1
	scratch_load_u16 v14, off, s33 offset:140
	scratch_load_u16 v17, off, s33 offset:142
	s_wait_loadcnt 0x0
	v_dual_lshlrev_b32 v14, 16, v14 :: v_dual_lshlrev_b32 v17, 16, v17
	s_delay_alu instid0(VALU_DEP_1) | instskip(NEXT) | instid1(VALU_DEP_1)
	v_mul_f32_e32 v14, v17, v14
	v_and_b32_e32 v17, 0x7f800000, v14
	s_delay_alu instid0(VALU_DEP_1) | instskip(SKIP_2) | instid1(SALU_CYCLE_1)
	v_cmp_ne_u32_e32 vcc_lo, 0x7f800000, v17
                                        ; implicit-def: $vgpr17
	s_wait_xcnt 0x0
	s_and_saveexec_b32 s14, vcc_lo
	s_xor_b32 s14, exec_lo, s14
; %bb.1531:                             ;   in Loop: Header=BB4_1527 Depth=3
	v_bfe_u32 v17, v14, 16, 1
	s_delay_alu instid0(VALU_DEP_1)
	v_add3_u32 v17, v14, v17, 0x7fff
                                        ; implicit-def: $vgpr14
; %bb.1532:                             ;   in Loop: Header=BB4_1527 Depth=3
	s_and_not1_saveexec_b32 s14, s14
; %bb.1533:                             ;   in Loop: Header=BB4_1527 Depth=3
	v_and_b32_e32 v17, 0xffff, v14
	v_or_b32_e32 v19, 0x10000, v14
	s_delay_alu instid0(VALU_DEP_2) | instskip(NEXT) | instid1(VALU_DEP_2)
	v_cmp_eq_u32_e32 vcc_lo, 0, v17
	v_cndmask_b32_e32 v17, v19, v14, vcc_lo
; %bb.1534:                             ;   in Loop: Header=BB4_1527 Depth=3
	s_or_b32 exec_lo, exec_lo, s14
	s_delay_alu instid0(VALU_DEP_1)
	v_lshrrev_b32_e32 v14, 16, v17
	flat_store_b16 v[8:9], v14 th:TH_STORE_NT
	s_wait_xcnt 0x0
	v_add_nc_u64_e32 v[8:9], v[8:9], v[100:101]
	scratch_store_b16 off, v14, s33 offset:140
.LBB4_1535:                             ;   in Loop: Header=BB4_1527 Depth=3
	s_wait_xcnt 0x0
	s_or_b32 exec_lo, exec_lo, s13
	v_sub_nc_u32_e32 v14, v15, v77
	v_add_nc_u64_e32 v[12:13], v[12:13], v[84:85]
	v_add_nc_u64_e32 v[10:11], v[10:11], v[84:85]
	s_delay_alu instid0(VALU_DEP_3)
	v_cmp_lt_i32_e64 s92, 1, v14
	s_and_saveexec_b32 s93, s92
	s_cbranch_execz .LBB4_1538
; %bb.1536:                             ;   in Loop: Header=BB4_1527 Depth=3
	s_add_co_i32 s13, s33, 0x8c
	s_mov_b64 s[40:41], 0
	s_mov_b32 s94, s13
	s_mov_b32 s95, -1
.LBB4_1537:                             ;   Parent Loop BB4_47 Depth=1
                                        ;     Parent Loop BB4_820 Depth=2
                                        ;       Parent Loop BB4_1527 Depth=3
                                        ; =>      This Inner Loop Header: Depth=4
	s_cmp_eq_u32 s40, 1
	s_cselect_b32 vcc_lo, -1, 0
	s_cmp_eq_u32 s40, 0
	v_dual_cndmask_b32 v23, v13, v11 :: v_dual_cndmask_b32 v22, v12, v10
	s_cselect_b32 s13, -1, 0
	s_and_b32 s14, exec_lo, s95
	s_mov_b64 s[40:41], 1
	s_mov_b32 s95, 0
	flat_load_u16 v15, v[22:23] th:TH_LOAD_NT
	s_wait_xcnt 0x0
	v_add_nc_u64_e32 v[22:23], 64, v[22:23]
	s_delay_alu instid0(VALU_DEP_1)
	v_dual_cndmask_b32 v13, v13, v23, s13 :: v_dual_cndmask_b32 v12, v12, v22, s13
	v_dual_cndmask_b32 v11, v11, v23 :: v_dual_cndmask_b32 v10, v10, v22
	s_add_co_i32 s13, s33, 0x8e
	s_mov_b32 vcc_lo, s14
	s_wait_loadcnt_dscnt 0x0
	scratch_store_b16 off, v15, s94
	s_wait_xcnt 0x0
	s_mov_b32 s94, s13
	s_cbranch_vccnz .LBB4_1537
.LBB4_1538:                             ;   in Loop: Header=BB4_1527 Depth=3
	s_or_b32 exec_lo, exec_lo, s93
	s_clause 0x1
	scratch_load_u16 v15, off, s33 offset:144
	scratch_load_u16 v17, off, s33 offset:176
	s_wait_loadcnt 0x0
	v_dual_lshlrev_b32 v15, 16, v15 :: v_dual_lshlrev_b32 v17, 16, v17
	s_delay_alu instid0(VALU_DEP_1) | instskip(NEXT) | instid1(VALU_DEP_1)
	v_mul_f32_e32 v17, v17, v15
	v_and_b32_e32 v15, 0x7f800000, v17
	s_delay_alu instid0(VALU_DEP_1) | instskip(SKIP_2) | instid1(SALU_CYCLE_1)
	v_cmp_ne_u32_e32 vcc_lo, 0x7f800000, v15
                                        ; implicit-def: $vgpr15
	s_wait_xcnt 0x0
	s_and_saveexec_b32 s13, vcc_lo
	s_xor_b32 s13, exec_lo, s13
; %bb.1539:                             ;   in Loop: Header=BB4_1527 Depth=3
	v_bfe_u32 v15, v17, 16, 1
	s_delay_alu instid0(VALU_DEP_1)
	v_add3_u32 v15, v17, v15, 0x7fff
                                        ; implicit-def: $vgpr17
; %bb.1540:                             ;   in Loop: Header=BB4_1527 Depth=3
	s_and_not1_saveexec_b32 s13, s13
	s_cbranch_execz .LBB4_1526
; %bb.1541:                             ;   in Loop: Header=BB4_1527 Depth=3
	v_and_b32_e32 v15, 0xffff, v17
	v_or_b32_e32 v19, 0x10000, v17
	s_delay_alu instid0(VALU_DEP_2) | instskip(NEXT) | instid1(VALU_DEP_2)
	v_cmp_eq_u32_e32 vcc_lo, 0, v15
	v_cndmask_b32_e32 v15, v19, v17, vcc_lo
	s_branch .LBB4_1526
.LBB4_1542:                             ;   in Loop: Header=BB4_820 Depth=2
	s_or_b32 exec_lo, exec_lo, s90
	s_delay_alu instid0(SALU_CYCLE_1)
	s_and_b32 exec_lo, exec_lo, s91
	s_cbranch_execz .LBB4_1548
; %bb.1543:                             ;   in Loop: Header=BB4_820 Depth=2
	s_clause 0x1
	scratch_load_u16 v10, off, s33 offset:140
	scratch_load_u16 v11, off, s33 offset:142
	s_wait_loadcnt 0x0
	v_dual_lshlrev_b32 v10, 16, v10 :: v_dual_lshlrev_b32 v11, 16, v11
	s_delay_alu instid0(VALU_DEP_1) | instskip(NEXT) | instid1(VALU_DEP_1)
	v_mul_f32_e32 v10, v11, v10
	v_and_b32_e32 v11, 0x7f800000, v10
	s_delay_alu instid0(VALU_DEP_1) | instskip(SKIP_2) | instid1(SALU_CYCLE_1)
	v_cmp_ne_u32_e32 vcc_lo, 0x7f800000, v11
                                        ; implicit-def: $vgpr11
	s_wait_xcnt 0x0
	s_and_saveexec_b32 s13, vcc_lo
	s_xor_b32 s13, exec_lo, s13
; %bb.1544:                             ;   in Loop: Header=BB4_820 Depth=2
	v_bfe_u32 v11, v10, 16, 1
	s_delay_alu instid0(VALU_DEP_1)
	v_add3_u32 v11, v10, v11, 0x7fff
                                        ; implicit-def: $vgpr10
; %bb.1545:                             ;   in Loop: Header=BB4_820 Depth=2
	s_and_not1_saveexec_b32 s13, s13
; %bb.1546:                             ;   in Loop: Header=BB4_820 Depth=2
	v_and_b32_e32 v11, 0xffff, v10
	v_or_b32_e32 v12, 0x10000, v10
	s_delay_alu instid0(VALU_DEP_2) | instskip(NEXT) | instid1(VALU_DEP_2)
	v_cmp_eq_u32_e32 vcc_lo, 0, v11
	v_cndmask_b32_e32 v11, v12, v10, vcc_lo
; %bb.1547:                             ;   in Loop: Header=BB4_820 Depth=2
	s_or_b32 exec_lo, exec_lo, s13
	flat_store_d16_hi_b16 v[8:9], v11 th:TH_STORE_NT
.LBB4_1548:                             ;   in Loop: Header=BB4_820 Depth=2
	s_wait_xcnt 0x0
	s_or_b32 exec_lo, exec_lo, s15
	v_cmp_lt_i32_e64 s13, 0, v2
	s_and_saveexec_b32 s14, s2
	s_cbranch_execz .LBB4_1567
.LBB4_1549:                             ;   in Loop: Header=BB4_820 Depth=2
	s_and_saveexec_b32 s15, s3
	s_delay_alu instid0(SALU_CYCLE_1)
	s_xor_b32 s15, exec_lo, s15
	s_cbranch_execz .LBB4_1564
; %bb.1550:                             ;   in Loop: Header=BB4_820 Depth=2
	s_and_saveexec_b32 s40, s6
	s_cbranch_execz .LBB4_1563
; %bb.1551:                             ;   in Loop: Header=BB4_820 Depth=2
	s_mov_b32 s90, exec_lo
	s_mov_b32 s41, exec_lo
	v_mbcnt_lo_u32_b32 v2, s90, 0
	global_wb scope:SCOPE_DEV
	s_wait_storecnt 0x0
	s_wait_loadcnt_dscnt 0x0
	global_inv scope:SCOPE_DEV
	v_cmpx_eq_u32_e32 0, v2
	s_cbranch_execz .LBB4_1553
; %bb.1552:                             ;   in Loop: Header=BB4_820 Depth=2
	s_bcnt1_i32_b32 s90, s90
	s_delay_alu instid0(SALU_CYCLE_1)
	v_mov_b32_e32 v2, s90
	s_wait_loadcnt 0x0
	ds_add_u64 v0, v[2:3]
	s_trap 2
.LBB4_1553:                             ;   in Loop: Header=BB4_820 Depth=2
	s_or_b32 exec_lo, exec_lo, s41
	s_trap 2
	ds_load_b64 v[8:9], v0
	s_wait_dscnt 0x0
	v_add_nc_u64_e32 v[48:49], v[48:49], v[52:53]
	s_mov_b32 s41, exec_lo
	s_delay_alu instid0(VALU_DEP_1)
	v_cmpx_lt_u64_e64 v[8:9], v[48:49]
	s_cbranch_execz .LBB4_1562
; %bb.1554:                             ;   in Loop: Header=BB4_820 Depth=2
	s_mov_b32 s90, 0
	s_mov_b32 s93, 0
                                        ; implicit-def: $sgpr91
                                        ; implicit-def: $sgpr92
	s_branch .LBB4_1556
.LBB4_1555:                             ;   in Loop: Header=BB4_1556 Depth=3
	s_or_b32 exec_lo, exec_lo, s95
	s_delay_alu instid0(SALU_CYCLE_1) | instskip(NEXT) | instid1(SALU_CYCLE_1)
	s_and_b32 s94, exec_lo, vcc_lo
	s_or_b32 s90, s94, s90
	s_and_not1_b32 s91, s91, exec_lo
	s_and_b32 s94, s92, exec_lo
	s_delay_alu instid0(SALU_CYCLE_1)
	s_or_b32 s91, s91, s94
	s_and_not1_b32 exec_lo, exec_lo, s90
	s_cbranch_execz .LBB4_1560
.LBB4_1556:                             ;   Parent Loop BB4_47 Depth=1
                                        ;     Parent Loop BB4_820 Depth=2
                                        ; =>    This Inner Loop Header: Depth=3
	s_add_co_i32 s93, s93, 1
	s_delay_alu instid0(SALU_CYCLE_1) | instskip(SKIP_1) | instid1(SALU_CYCLE_1)
	s_cmp_lg_u32 s93, 0x2710
	s_cselect_b32 s94, -1, 0
	s_and_b32 vcc_lo, exec_lo, s94
	s_cbranch_vccz .LBB4_1558
; %bb.1557:                             ;   in Loop: Header=BB4_1556 Depth=3
	s_mov_b32 vcc_lo, -1
	s_or_b32 s92, s92, exec_lo
	s_and_saveexec_b32 s95, s94
	s_cbranch_execz .LBB4_1555
	s_branch .LBB4_1559
.LBB4_1558:                             ;   in Loop: Header=BB4_1556 Depth=3
	s_trap 2
	ds_load_b64 v[8:9], v0
	s_and_not1_b32 s94, s94, exec_lo
	s_mov_b32 s93, 0
	s_wait_loadcnt_dscnt 0x0
	flat_load_b32 v2, v[8:9] scope:SCOPE_SYS
	s_wait_loadcnt_dscnt 0x0
	global_inv scope:SCOPE_SYS
	v_cmp_eq_u32_e32 vcc_lo, 0, v2
	s_and_b32 s95, vcc_lo, exec_lo
	s_delay_alu instid0(SALU_CYCLE_1)
	s_or_b32 s94, s94, s95
	s_mov_b32 vcc_lo, -1
	s_or_b32 s92, s92, exec_lo
	s_and_saveexec_b32 s95, s94
	s_cbranch_execz .LBB4_1555
.LBB4_1559:                             ;   in Loop: Header=BB4_1556 Depth=3
	s_sleep 1
	s_trap 2
	ds_load_b64 v[8:9], v0
	s_wait_dscnt 0x0
	s_and_not1_b32 s92, s92, exec_lo
	v_cmp_ge_u64_e32 vcc_lo, v[8:9], v[48:49]
	s_or_not1_b32 vcc_lo, vcc_lo, exec_lo
	s_branch .LBB4_1555
.LBB4_1560:                             ;   in Loop: Header=BB4_820 Depth=2
	s_or_b32 exec_lo, exec_lo, s90
	s_and_saveexec_b32 s90, s91
	s_delay_alu instid0(SALU_CYCLE_1)
	s_xor_b32 s90, exec_lo, s90
	s_cbranch_execz .LBB4_1562
; %bb.1561:                             ;   in Loop: Header=BB4_820 Depth=2
	ds_store_b32 v0, v73
	s_trap 2
.LBB4_1562:                             ;   in Loop: Header=BB4_820 Depth=2
	s_or_b32 exec_lo, exec_lo, s41
	;;#ASMSTART
	s_wakeup
	;;#ASMEND
.LBB4_1563:                             ;   in Loop: Header=BB4_820 Depth=2
	s_or_b32 exec_lo, exec_lo, s40
.LBB4_1564:                             ;   in Loop: Header=BB4_820 Depth=2
	s_and_not1_saveexec_b32 s15, s15
	s_cbranch_execz .LBB4_1566
; %bb.1565:                             ;   in Loop: Header=BB4_820 Depth=2
	global_wb scope:SCOPE_DEV
	s_wait_storecnt 0x0
	s_wait_loadcnt_dscnt 0x0
	global_inv scope:SCOPE_DEV
	s_barrier_signal -1
	s_barrier_wait -1
.LBB4_1566:                             ;   in Loop: Header=BB4_820 Depth=2
	s_or_b32 exec_lo, exec_lo, s15
.LBB4_1567:                             ;   in Loop: Header=BB4_820 Depth=2
	s_delay_alu instid0(SALU_CYCLE_1) | instskip(SKIP_2) | instid1(SALU_CYCLE_1)
	s_or_b32 exec_lo, exec_lo, s14
	v_and_b32_e32 v8, 16, v30
	s_and_saveexec_b32 s14, s7
	s_xor_b32 s14, exec_lo, s14
	s_cbranch_execz .LBB4_1571
; %bb.1568:                             ;   in Loop: Header=BB4_820 Depth=2
	v_and_b32_e32 v2, 16, v30
	v_and_b32_e32 v8, 16, v30
	s_delay_alu instid0(VALU_DEP_2) | instskip(SKIP_1) | instid1(SALU_CYCLE_1)
	v_cmp_ne_u32_e32 vcc_lo, 0, v2
	s_and_b32 s15, vcc_lo, s13
	s_and_saveexec_b32 s13, s15
	s_cbranch_execz .LBB4_1570
; %bb.1569:                             ;   in Loop: Header=BB4_820 Depth=2
	v_mov_b32_e32 v8, 1
	global_wb scope:SCOPE_SYS
	s_wait_storecnt 0x0
	s_wait_loadcnt_dscnt 0x0
	global_inv scope:SCOPE_SYS
.LBB4_1570:                             ;   in Loop: Header=BB4_820 Depth=2
	s_or_b32 exec_lo, exec_lo, s13
.LBB4_1571:                             ;   in Loop: Header=BB4_820 Depth=2
	s_and_not1_saveexec_b32 s13, s14
	s_cbranch_execz .LBB4_1590
; %bb.1572:                             ;   in Loop: Header=BB4_820 Depth=2
	s_and_saveexec_b32 s14, s3
	s_delay_alu instid0(SALU_CYCLE_1)
	s_xor_b32 s14, exec_lo, s14
	s_cbranch_execz .LBB4_1587
; %bb.1573:                             ;   in Loop: Header=BB4_820 Depth=2
	s_and_saveexec_b32 s15, s6
	s_cbranch_execz .LBB4_1586
; %bb.1574:                             ;   in Loop: Header=BB4_820 Depth=2
	s_mov_b32 s41, exec_lo
	s_mov_b32 s40, exec_lo
	v_mbcnt_lo_u32_b32 v2, s41, 0
	;;#ASMSTART
	s_waitcnt lgkmcnt(0) vmcnt(0)
	;;#ASMEND
	s_delay_alu instid0(VALU_DEP_1)
	v_cmpx_eq_u32_e32 0, v2
	s_cbranch_execz .LBB4_1576
; %bb.1575:                             ;   in Loop: Header=BB4_820 Depth=2
	s_bcnt1_i32_b32 s41, s41
	s_delay_alu instid0(SALU_CYCLE_1)
	v_mov_b32_e32 v2, s41
	s_wait_storecnt 0x0
	s_wait_loadcnt_dscnt 0x0
	ds_add_u64 v0, v[2:3]
	s_trap 2
.LBB4_1576:                             ;   in Loop: Header=BB4_820 Depth=2
	s_or_b32 exec_lo, exec_lo, s40
	s_trap 2
	ds_load_b64 v[10:11], v0
	s_wait_dscnt 0x0
	v_add_nc_u64_e32 v[48:49], v[48:49], v[52:53]
	s_mov_b32 s40, exec_lo
	s_delay_alu instid0(VALU_DEP_1)
	v_cmpx_lt_u64_e64 v[10:11], v[48:49]
	s_cbranch_execz .LBB4_1585
; %bb.1577:                             ;   in Loop: Header=BB4_820 Depth=2
	s_mov_b32 s41, 0
	s_mov_b32 s92, 0
                                        ; implicit-def: $sgpr90
                                        ; implicit-def: $sgpr91
	s_branch .LBB4_1579
.LBB4_1578:                             ;   in Loop: Header=BB4_1579 Depth=3
	s_or_b32 exec_lo, exec_lo, s94
	s_delay_alu instid0(SALU_CYCLE_1) | instskip(NEXT) | instid1(SALU_CYCLE_1)
	s_and_b32 s93, exec_lo, s95
	s_or_b32 s41, s93, s41
	s_and_not1_b32 s90, s90, exec_lo
	s_and_b32 s93, s91, exec_lo
	s_delay_alu instid0(SALU_CYCLE_1)
	s_or_b32 s90, s90, s93
	s_and_not1_b32 exec_lo, exec_lo, s41
	s_cbranch_execz .LBB4_1583
.LBB4_1579:                             ;   Parent Loop BB4_47 Depth=1
                                        ;     Parent Loop BB4_820 Depth=2
                                        ; =>    This Inner Loop Header: Depth=3
	s_add_co_i32 s92, s92, 1
	s_delay_alu instid0(SALU_CYCLE_1) | instskip(SKIP_1) | instid1(SALU_CYCLE_1)
	s_cmp_lg_u32 s92, 0x2710
	s_cselect_b32 s93, -1, 0
	s_and_b32 vcc_lo, exec_lo, s93
	s_cbranch_vccz .LBB4_1581
; %bb.1580:                             ;   in Loop: Header=BB4_1579 Depth=3
	s_mov_b32 s95, -1
	s_or_b32 s91, s91, exec_lo
	s_and_saveexec_b32 s94, s93
	s_cbranch_execz .LBB4_1578
	s_branch .LBB4_1582
.LBB4_1581:                             ;   in Loop: Header=BB4_1579 Depth=3
	s_trap 2
	ds_load_b64 v[10:11], v0
	s_and_not1_b32 s93, s93, exec_lo
	s_mov_b32 s92, 0
	s_wait_storecnt 0x0
	s_wait_loadcnt_dscnt 0x0
	flat_load_b32 v2, v[10:11] scope:SCOPE_SYS
	s_wait_loadcnt_dscnt 0x0
	global_inv scope:SCOPE_SYS
	v_cmp_eq_u32_e32 vcc_lo, 0, v2
	s_and_b32 s94, vcc_lo, exec_lo
	s_delay_alu instid0(SALU_CYCLE_1)
	s_or_b32 s93, s93, s94
	s_mov_b32 s95, -1
	s_or_b32 s91, s91, exec_lo
	s_and_saveexec_b32 s94, s93
	s_cbranch_execz .LBB4_1578
.LBB4_1582:                             ;   in Loop: Header=BB4_1579 Depth=3
	s_sleep 1
	s_trap 2
	ds_load_b64 v[10:11], v0
	s_wait_dscnt 0x0
	s_and_not1_b32 s91, s91, exec_lo
	v_cmp_ge_u64_e32 vcc_lo, v[10:11], v[48:49]
	s_or_not1_b32 s95, vcc_lo, exec_lo
	s_branch .LBB4_1578
.LBB4_1583:                             ;   in Loop: Header=BB4_820 Depth=2
	s_or_b32 exec_lo, exec_lo, s41
	s_and_saveexec_b32 s41, s90
	s_delay_alu instid0(SALU_CYCLE_1)
	s_xor_b32 s41, exec_lo, s41
	s_cbranch_execz .LBB4_1585
; %bb.1584:                             ;   in Loop: Header=BB4_820 Depth=2
	ds_store_b32 v0, v73
	s_trap 2
.LBB4_1585:                             ;   in Loop: Header=BB4_820 Depth=2
	s_or_b32 exec_lo, exec_lo, s40
	;;#ASMSTART
	s_wakeup
	;;#ASMEND
.LBB4_1586:                             ;   in Loop: Header=BB4_820 Depth=2
	s_or_b32 exec_lo, exec_lo, s15
.LBB4_1587:                             ;   in Loop: Header=BB4_820 Depth=2
	s_and_not1_saveexec_b32 s14, s14
	s_cbranch_execz .LBB4_1589
; %bb.1588:                             ;   in Loop: Header=BB4_820 Depth=2
	;;#ASMSTART
	s_waitcnt lgkmcnt(0) vmcnt(0)
	;;#ASMEND
	s_barrier_signal -1
	s_barrier_wait -1
.LBB4_1589:                             ;   in Loop: Header=BB4_820 Depth=2
	s_or_b32 exec_lo, exec_lo, s14
.LBB4_1590:                             ;   in Loop: Header=BB4_820 Depth=2
	s_delay_alu instid0(SALU_CYCLE_1) | instskip(SKIP_2) | instid1(SALU_CYCLE_1)
	s_or_b32 exec_lo, exec_lo, s13
	v_cmp_ne_u32_e32 vcc_lo, 0, v8
	s_xor_b32 s13, s4, -1
	s_and_b32 s14, vcc_lo, s13
	s_delay_alu instid0(SALU_CYCLE_1)
	s_and_saveexec_b32 s13, s14
	s_cbranch_execz .LBB4_1592
; %bb.1591:                             ;   in Loop: Header=BB4_820 Depth=2
	global_wb scope:SCOPE_SYS
	s_wait_storecnt 0x0
	s_wait_loadcnt_dscnt 0x0
	flat_store_b32 v[38:39], v73 scope:SCOPE_SYS
.LBB4_1592:                             ;   in Loop: Header=BB4_820 Depth=2
	s_wait_xcnt 0x0
	s_or_b32 exec_lo, exec_lo, s13
	v_and_b32_e32 v2, 48, v30
	s_mov_b32 s13, exec_lo
	s_delay_alu instid0(VALU_DEP_1)
	v_cmpx_ne_u32_e32 0, v2
	s_cbranch_execz .LBB4_819
; %bb.1593:                             ;   in Loop: Header=BB4_820 Depth=2
	v_add_nc_u64_e32 v[114:115], 2, v[114:115]
	global_wb scope:SCOPE_SYS
	s_wait_storecnt 0x0
	s_wait_loadcnt_dscnt 0x0
	flat_store_b64 v[32:33], v[114:115] scope:SCOPE_SYS
	s_branch .LBB4_819
.LBB4_1594:                             ;   in Loop: Header=BB4_47 Depth=1
	s_or_b32 exec_lo, exec_lo, s27
.LBB4_1595:                             ;   in Loop: Header=BB4_47 Depth=1
	s_delay_alu instid0(SALU_CYCLE_1) | instskip(NEXT) | instid1(SALU_CYCLE_1)
	s_or_b32 exec_lo, exec_lo, s18
	s_mov_b32 s14, exec_lo
	v_cmpx_gt_i32_e32 2, v2
	s_cbranch_execz .LBB4_1671
; %bb.1596:                             ;   in Loop: Header=BB4_47 Depth=1
	v_cmp_eq_u32_e64 s18, 0, v2
	s_mov_b32 s15, 0
	s_branch .LBB4_1598
.LBB4_1597:                             ;   in Loop: Header=BB4_1598 Depth=2
	s_wait_xcnt 0x0
	s_or_b32 exec_lo, exec_lo, s13
	v_add_nc_u32_e32 v18, v16, v18
	s_mov_b32 s18, 0
	s_and_not1_b32 exec_lo, exec_lo, s15
	s_cbranch_execz .LBB4_1670
.LBB4_1598:                             ;   Parent Loop BB4_47 Depth=1
                                        ; =>  This Loop Header: Depth=2
                                        ;       Child Loop BB4_1604 Depth 3
                                        ;       Child Loop BB4_1632 Depth 3
	;; [unrolled: 1-line block ×3, first 2 shown]
	s_delay_alu instid0(VALU_DEP_1) | instskip(SKIP_2) | instid1(VALU_DEP_2)
	v_sub_nc_u32_e32 v2, v88, v18
	v_and_b32_e32 v8, 12, v30
	s_mov_b32 s27, exec_lo
	v_min_i32_e32 v16, v16, v2
	s_delay_alu instid0(VALU_DEP_2)
	v_cmpx_ne_u32_e32 0, v8
	s_cbranch_execz .LBB4_1624
; %bb.1599:                             ;   in Loop: Header=BB4_1598 Depth=2
	v_and_b32_e32 v2, 8, v30
	v_add_nc_u64_e32 v[8:9], 2, v[114:115]
	s_mov_b32 s40, exec_lo
	s_wait_loadcnt_dscnt 0x1
	s_delay_alu instid0(VALU_DEP_2) | instskip(NEXT) | instid1(VALU_DEP_1)
	v_add_nc_u64_e32 v[10:11], v[50:51], v[2:3]
	v_cmpx_lt_u64_e64 v[10:11], v[8:9]
	s_cbranch_execz .LBB4_1611
; %bb.1600:                             ;   in Loop: Header=BB4_1598 Depth=2
	v_and_b32_e32 v10, 64, v30
	s_mov_b32 s41, 0
	s_mov_b32 s91, 0
                                        ; implicit-def: $sgpr88
                                        ; implicit-def: $sgpr89
                                        ; implicit-def: $sgpr90
	s_delay_alu instid0(VALU_DEP_1)
	v_cmp_eq_u32_e32 vcc_lo, 0, v10
	s_branch .LBB4_1604
.LBB4_1601:                             ;   in Loop: Header=BB4_1604 Depth=3
	s_wait_loadcnt_dscnt 0x0
	v_add_nc_u64_e32 v[12:13], v[50:51], v[2:3]
	s_or_b32 s94, s94, exec_lo
	s_delay_alu instid0(VALU_DEP_1)
	v_cmp_ge_u64_e64 s13, v[12:13], v[8:9]
	s_or_not1_b32 s93, s13, exec_lo
.LBB4_1602:                             ;   in Loop: Header=BB4_1604 Depth=3
	s_or_b32 exec_lo, exec_lo, vcc_hi
	s_delay_alu instid0(SALU_CYCLE_1)
	s_and_not1_b32 s13, s90, exec_lo
	s_and_b32 s90, s94, exec_lo
	s_and_not1_b32 s89, s89, exec_lo
	s_and_b32 s93, s93, exec_lo
	s_or_b32 s90, s13, s90
	s_or_b32 s89, s89, s93
.LBB4_1603:                             ;   in Loop: Header=BB4_1604 Depth=3
	s_or_b32 exec_lo, exec_lo, s92
	s_delay_alu instid0(SALU_CYCLE_1) | instskip(NEXT) | instid1(SALU_CYCLE_1)
	s_and_b32 s13, exec_lo, s89
	s_or_b32 s41, s13, s41
	s_and_not1_b32 s13, s88, exec_lo
	s_and_b32 s88, s90, exec_lo
	s_delay_alu instid0(SALU_CYCLE_1)
	s_or_b32 s88, s13, s88
	s_and_not1_b32 exec_lo, exec_lo, s41
	s_cbranch_execz .LBB4_1608
.LBB4_1604:                             ;   Parent Loop BB4_47 Depth=1
                                        ;     Parent Loop BB4_1598 Depth=2
                                        ; =>    This Inner Loop Header: Depth=3
	s_sleep 1
	s_wait_loadcnt_dscnt 0x0
	flat_load_b64 v[50:51], v[32:33] scope:SCOPE_SYS
	s_or_b32 s90, s90, exec_lo
	s_or_b32 s89, s89, exec_lo
                                        ; implicit-def: $vgpr10
	s_wait_xcnt 0x0
	s_and_saveexec_b32 s92, vcc_lo
	s_cbranch_execz .LBB4_1603
; %bb.1605:                             ;   in Loop: Header=BB4_1604 Depth=3
	s_cmp_lt_i32 s91, 0x270f
	s_mov_b32 s93, -1
	s_cselect_b32 s95, -1, 0
	s_cmp_gt_i32 s91, 0x270e
	s_cbranch_scc0 .LBB4_1607
; %bb.1606:                             ;   in Loop: Header=BB4_1604 Depth=3
	s_trap 2
	ds_load_b64 v[10:11], v0
	s_and_not1_b32 s91, s95, exec_lo
	s_mov_b32 s94, 0
	s_wait_storecnt 0x0
	s_wait_loadcnt_dscnt 0x0
	flat_load_b32 v10, v[10:11] scope:SCOPE_SYS
	s_wait_loadcnt_dscnt 0x0
	global_inv scope:SCOPE_SYS
	v_cmp_eq_u32_e64 s13, 0, v10
	s_and_b32 s13, s13, exec_lo
	s_delay_alu instid0(SALU_CYCLE_1)
	s_or_b32 s95, s91, s13
	s_mov_b32 s91, 0
	s_and_saveexec_b32 vcc_hi, s95
	s_cbranch_execz .LBB4_1602
	s_branch .LBB4_1601
.LBB4_1607:                             ;   in Loop: Header=BB4_1604 Depth=3
	s_add_co_i32 s91, s91, 1
	s_mov_b32 s94, -1
                                        ; implicit-def: $vgpr10
	s_and_saveexec_b32 vcc_hi, s95
	s_cbranch_execz .LBB4_1602
	s_branch .LBB4_1601
.LBB4_1608:                             ;   in Loop: Header=BB4_1598 Depth=2
	s_or_b32 exec_lo, exec_lo, s41
	s_xor_b32 s13, s88, -1
	s_delay_alu instid0(SALU_CYCLE_1) | instskip(NEXT) | instid1(SALU_CYCLE_1)
	s_and_saveexec_b32 s41, s13
	s_xor_b32 s13, exec_lo, s41
	s_cbranch_execz .LBB4_1610
; %bb.1609:                             ;   in Loop: Header=BB4_1598 Depth=2
	v_or_b32_e32 v30, 64, v30
	s_wait_storecnt 0x0
	s_wait_loadcnt_dscnt 0x0
	ds_store_b32 v0, v10
	s_trap 2
.LBB4_1610:                             ;   in Loop: Header=BB4_1598 Depth=2
	s_or_b32 exec_lo, exec_lo, s13
.LBB4_1611:                             ;   in Loop: Header=BB4_1598 Depth=2
	s_delay_alu instid0(SALU_CYCLE_1) | instskip(SKIP_2) | instid1(VALU_DEP_1)
	s_or_b32 exec_lo, exec_lo, s40
	v_and_b32_e32 v10, 0x108, v30
	;;#ASMSTART
	s_wakeup
	;;#ASMEND
	v_cmp_ne_u32_e32 vcc_lo, 0x108, v10
                                        ; implicit-def: $vgpr10_vgpr11
	s_and_saveexec_b32 s13, vcc_lo
	s_delay_alu instid0(SALU_CYCLE_1)
	s_xor_b32 s13, exec_lo, s13
; %bb.1612:                             ;   in Loop: Header=BB4_1598 Depth=2
	v_dual_mov_b32 v11, v3 :: v_dual_bitop2_b32 v10, 7, v114 bitop3:0x40
                                        ; implicit-def: $vgpr114_vgpr115
; %bb.1613:                             ;   in Loop: Header=BB4_1598 Depth=2
	s_and_not1_saveexec_b32 s13, s13
	s_cbranch_execz .LBB4_1615
; %bb.1614:                             ;   in Loop: Header=BB4_1598 Depth=2
	v_dual_ashrrev_i32 v17, 31, v16 :: v_dual_bitop2_b32 v10, 7, v114 bitop3:0x40
	v_mov_b32_e32 v11, v3
	s_delay_alu instid0(VALU_DEP_2) | instskip(NEXT) | instid1(VALU_DEP_3)
	v_mad_nc_u64_u32 v[12:13], v10, 24, v[6:7]
	v_lshlrev_b64_e32 v[14:15], 1, v[16:17]
	flat_store_b64 v[12:13], v[14:15] offset:8
.LBB4_1615:                             ;   in Loop: Header=BB4_1598 Depth=2
	s_wait_xcnt 0x0
	s_or_b32 exec_lo, exec_lo, s13
	v_and_b32_e32 v12, 0x100, v30
	s_mov_b32 s13, -1
	s_delay_alu instid0(VALU_DEP_1)
	v_cmp_ne_u32_e32 vcc_lo, 0, v12
                                        ; implicit-def: $vgpr12_vgpr13
	s_and_saveexec_b32 s40, vcc_lo
	s_cbranch_execz .LBB4_1619
; %bb.1616:                             ;   in Loop: Header=BB4_1598 Depth=2
	v_mad_nc_u64_u32 v[14:15], v10, 24, v[6:7]
	s_delay_alu instid0(VALU_DEP_1)
	v_mad_u32 v15, v11, 24, v15
	flat_load_b32 v12, v[14:15]
	s_wait_loadcnt_dscnt 0x0
	v_cmp_eq_u32_e64 s13, 1, v12
	v_cmp_ne_u32_e32 vcc_lo, 1, v12
                                        ; implicit-def: $vgpr12_vgpr13
	s_wait_xcnt 0x0
	s_and_saveexec_b32 s41, s13
	s_cbranch_execz .LBB4_1618
; %bb.1617:                             ;   in Loop: Header=BB4_1598 Depth=2
	flat_load_b32 v12, v[14:15] offset:4 scope:SCOPE_SYS
	s_wait_loadcnt_dscnt 0x0
	v_ashrrev_i32_e32 v13, 31, v12
	s_delay_alu instid0(VALU_DEP_1)
	v_lshrrev_b64 v[12:13], 1, v[12:13]
.LBB4_1618:                             ;   in Loop: Header=BB4_1598 Depth=2
	s_wait_xcnt 0x0
	s_or_b32 exec_lo, exec_lo, s41
	s_delay_alu instid0(SALU_CYCLE_1)
	s_or_not1_b32 s13, vcc_lo, exec_lo
.LBB4_1619:                             ;   in Loop: Header=BB4_1598 Depth=2
	s_or_b32 exec_lo, exec_lo, s40
	s_and_saveexec_b32 s40, s13
; %bb.1620:                             ;   in Loop: Header=BB4_1598 Depth=2
	v_mul_u64_e32 v[12:13], v[10:11], v[34:35]
; %bb.1621:                             ;   in Loop: Header=BB4_1598 Depth=2
	s_or_b32 exec_lo, exec_lo, s40
	v_cmp_eq_u32_e32 vcc_lo, 0, v2
	v_and_b32_e32 v14, 0x2000, v30
	s_delay_alu instid0(VALU_DEP_3) | instskip(SKIP_2) | instid1(VALU_DEP_1)
	v_lshl_add_u64 v[10:11], v[12:13], 1, v[36:37]
	s_mov_b32 s13, exec_lo
	v_cndmask_b32_e32 v2, 0xd0, v74, vcc_lo
	v_add_nc_u32_e32 v2, v0, v2
	ds_store_b64 v2, v[10:11] offset:584
	v_cmpx_ne_u32_e32 0, v14
	s_cbranch_execz .LBB4_1623
; %bb.1622:                             ;   in Loop: Header=BB4_1598 Depth=2
	ds_load_b64 v[10:11], v0 offset:872
	s_wait_dscnt 0x0
	v_add_nc_u64_e32 v[10:11], 1, v[10:11]
	ds_store_b64 v0, v[10:11] offset:872
.LBB4_1623:                             ;   in Loop: Header=BB4_1598 Depth=2
	s_or_b32 exec_lo, exec_lo, s13
	v_mov_b64_e32 v[114:115], v[8:9]
.LBB4_1624:                             ;   in Loop: Header=BB4_1598 Depth=2
	s_or_b32 exec_lo, exec_lo, s27
	s_xor_b32 s13, s18, -1
	s_delay_alu instid0(SALU_CYCLE_1) | instskip(NEXT) | instid1(SALU_CYCLE_1)
	s_and_b32 s13, exec_lo, s13
	s_or_b32 s15, s13, s15
	s_and_saveexec_b32 s13, s2
	s_cbranch_execz .LBB4_1643
; %bb.1625:                             ;   in Loop: Header=BB4_1598 Depth=2
	s_and_saveexec_b32 s18, s3
	s_delay_alu instid0(SALU_CYCLE_1)
	s_xor_b32 s18, exec_lo, s18
	s_cbranch_execz .LBB4_1640
; %bb.1626:                             ;   in Loop: Header=BB4_1598 Depth=2
	s_and_saveexec_b32 s27, s6
	s_cbranch_execz .LBB4_1639
; %bb.1627:                             ;   in Loop: Header=BB4_1598 Depth=2
	s_mov_b32 s41, exec_lo
	s_mov_b32 s40, exec_lo
	v_mbcnt_lo_u32_b32 v2, s41, 0
	global_wb scope:SCOPE_DEV
	s_wait_storecnt 0x0
	s_wait_loadcnt_dscnt 0x0
	global_inv scope:SCOPE_DEV
	v_cmpx_eq_u32_e32 0, v2
	s_cbranch_execz .LBB4_1629
; %bb.1628:                             ;   in Loop: Header=BB4_1598 Depth=2
	s_bcnt1_i32_b32 s41, s41
	s_delay_alu instid0(SALU_CYCLE_1)
	v_mov_b32_e32 v2, s41
	s_wait_loadcnt 0x0
	ds_add_u64 v0, v[2:3]
	s_trap 2
.LBB4_1629:                             ;   in Loop: Header=BB4_1598 Depth=2
	s_or_b32 exec_lo, exec_lo, s40
	s_trap 2
	ds_load_b64 v[8:9], v0
	s_wait_dscnt 0x0
	v_add_nc_u64_e32 v[48:49], v[48:49], v[52:53]
	s_mov_b32 s40, exec_lo
	s_delay_alu instid0(VALU_DEP_1)
	v_cmpx_lt_u64_e64 v[8:9], v[48:49]
	s_cbranch_execz .LBB4_1638
; %bb.1630:                             ;   in Loop: Header=BB4_1598 Depth=2
	s_mov_b32 s41, 0
	s_mov_b32 s90, 0
                                        ; implicit-def: $sgpr88
                                        ; implicit-def: $sgpr89
	s_branch .LBB4_1632
.LBB4_1631:                             ;   in Loop: Header=BB4_1632 Depth=3
	s_or_b32 exec_lo, exec_lo, s92
	s_delay_alu instid0(SALU_CYCLE_1) | instskip(NEXT) | instid1(SALU_CYCLE_1)
	s_and_b32 s91, exec_lo, s93
	s_or_b32 s41, s91, s41
	s_and_not1_b32 s88, s88, exec_lo
	s_and_b32 s91, s89, exec_lo
	s_delay_alu instid0(SALU_CYCLE_1)
	s_or_b32 s88, s88, s91
	s_and_not1_b32 exec_lo, exec_lo, s41
	s_cbranch_execz .LBB4_1636
.LBB4_1632:                             ;   Parent Loop BB4_47 Depth=1
                                        ;     Parent Loop BB4_1598 Depth=2
                                        ; =>    This Inner Loop Header: Depth=3
	s_add_co_i32 s90, s90, 1
	s_delay_alu instid0(SALU_CYCLE_1) | instskip(SKIP_1) | instid1(SALU_CYCLE_1)
	s_cmp_lg_u32 s90, 0x2710
	s_cselect_b32 s91, -1, 0
	s_and_b32 vcc_lo, exec_lo, s91
	s_cbranch_vccz .LBB4_1634
; %bb.1633:                             ;   in Loop: Header=BB4_1632 Depth=3
	s_mov_b32 s93, -1
	s_or_b32 s89, s89, exec_lo
	s_and_saveexec_b32 s92, s91
	s_cbranch_execz .LBB4_1631
	s_branch .LBB4_1635
.LBB4_1634:                             ;   in Loop: Header=BB4_1632 Depth=3
	s_trap 2
	ds_load_b64 v[8:9], v0
	s_and_not1_b32 s91, s91, exec_lo
	s_mov_b32 s90, 0
	s_wait_loadcnt_dscnt 0x0
	flat_load_b32 v2, v[8:9] scope:SCOPE_SYS
	s_wait_loadcnt_dscnt 0x0
	global_inv scope:SCOPE_SYS
	v_cmp_eq_u32_e32 vcc_lo, 0, v2
	s_and_b32 s92, vcc_lo, exec_lo
	s_delay_alu instid0(SALU_CYCLE_1)
	s_or_b32 s91, s91, s92
	s_mov_b32 s93, -1
	s_or_b32 s89, s89, exec_lo
	s_and_saveexec_b32 s92, s91
	s_cbranch_execz .LBB4_1631
.LBB4_1635:                             ;   in Loop: Header=BB4_1632 Depth=3
	s_sleep 1
	s_trap 2
	ds_load_b64 v[8:9], v0
	s_wait_dscnt 0x0
	s_and_not1_b32 s89, s89, exec_lo
	v_cmp_ge_u64_e32 vcc_lo, v[8:9], v[48:49]
	s_or_not1_b32 s93, vcc_lo, exec_lo
	s_branch .LBB4_1631
.LBB4_1636:                             ;   in Loop: Header=BB4_1598 Depth=2
	s_or_b32 exec_lo, exec_lo, s41
	s_and_saveexec_b32 s41, s88
	s_delay_alu instid0(SALU_CYCLE_1)
	s_xor_b32 s41, exec_lo, s41
	s_cbranch_execz .LBB4_1638
; %bb.1637:                             ;   in Loop: Header=BB4_1598 Depth=2
	ds_store_b32 v0, v73
	s_trap 2
.LBB4_1638:                             ;   in Loop: Header=BB4_1598 Depth=2
	s_or_b32 exec_lo, exec_lo, s40
	;;#ASMSTART
	s_wakeup
	;;#ASMEND
.LBB4_1639:                             ;   in Loop: Header=BB4_1598 Depth=2
	s_or_b32 exec_lo, exec_lo, s27
.LBB4_1640:                             ;   in Loop: Header=BB4_1598 Depth=2
	s_and_not1_saveexec_b32 s18, s18
	s_cbranch_execz .LBB4_1642
; %bb.1641:                             ;   in Loop: Header=BB4_1598 Depth=2
	global_wb scope:SCOPE_DEV
	s_wait_storecnt 0x0
	s_wait_loadcnt_dscnt 0x0
	global_inv scope:SCOPE_DEV
	s_barrier_signal -1
	s_barrier_wait -1
.LBB4_1642:                             ;   in Loop: Header=BB4_1598 Depth=2
	s_or_b32 exec_lo, exec_lo, s18
.LBB4_1643:                             ;   in Loop: Header=BB4_1598 Depth=2
	s_delay_alu instid0(SALU_CYCLE_1) | instskip(SKIP_2) | instid1(SALU_CYCLE_1)
	s_or_b32 exec_lo, exec_lo, s13
	v_and_b32_e32 v8, 16, v30
	s_and_saveexec_b32 s13, s7
	s_xor_b32 s18, exec_lo, s13
	s_cbranch_execz .LBB4_1647
; %bb.1644:                             ;   in Loop: Header=BB4_1598 Depth=2
	s_trap 2
	ds_load_b32 v2, v0
	v_cmp_lt_i32_e32 vcc_lo, 0, v16
	v_and_b32_e32 v8, 16, v30
	s_wait_dscnt 0x0
	v_readfirstlane_b32 s13, v2
	v_and_b32_e32 v2, 16, v30
	s_cmp_eq_u32 s13, 0
	s_delay_alu instid0(VALU_DEP_1) | instskip(SKIP_1) | instid1(SALU_CYCLE_1)
	v_cmp_ne_u32_e64 s13, 0, v2
	s_cselect_b32 s27, -1, 0
	s_and_b32 s27, vcc_lo, s27
	s_delay_alu instid0(SALU_CYCLE_1) | instskip(NEXT) | instid1(SALU_CYCLE_1)
	s_and_b32 s27, s13, s27
	s_and_saveexec_b32 s13, s27
	s_cbranch_execz .LBB4_1646
; %bb.1645:                             ;   in Loop: Header=BB4_1598 Depth=2
	v_mov_b32_e32 v8, 1
	global_wb scope:SCOPE_SYS
	s_wait_loadcnt 0x0
	s_wait_storecnt 0x0
	global_inv scope:SCOPE_SYS
.LBB4_1646:                             ;   in Loop: Header=BB4_1598 Depth=2
	s_or_b32 exec_lo, exec_lo, s13
.LBB4_1647:                             ;   in Loop: Header=BB4_1598 Depth=2
	s_and_not1_saveexec_b32 s13, s18
	s_cbranch_execz .LBB4_1666
; %bb.1648:                             ;   in Loop: Header=BB4_1598 Depth=2
	s_and_saveexec_b32 s18, s3
	s_delay_alu instid0(SALU_CYCLE_1)
	s_xor_b32 s18, exec_lo, s18
	s_cbranch_execz .LBB4_1663
; %bb.1649:                             ;   in Loop: Header=BB4_1598 Depth=2
	s_and_saveexec_b32 s27, s6
	s_cbranch_execz .LBB4_1662
; %bb.1650:                             ;   in Loop: Header=BB4_1598 Depth=2
	s_mov_b32 s41, exec_lo
	s_mov_b32 s40, exec_lo
	v_mbcnt_lo_u32_b32 v2, s41, 0
	;;#ASMSTART
	s_waitcnt lgkmcnt(0) vmcnt(0)
	;;#ASMEND
	s_delay_alu instid0(VALU_DEP_1)
	v_cmpx_eq_u32_e32 0, v2
	s_cbranch_execz .LBB4_1652
; %bb.1651:                             ;   in Loop: Header=BB4_1598 Depth=2
	s_bcnt1_i32_b32 s41, s41
	s_delay_alu instid0(SALU_CYCLE_1)
	v_mov_b32_e32 v2, s41
	s_wait_storecnt 0x0
	s_wait_loadcnt_dscnt 0x0
	ds_add_u64 v0, v[2:3]
	s_trap 2
.LBB4_1652:                             ;   in Loop: Header=BB4_1598 Depth=2
	s_or_b32 exec_lo, exec_lo, s40
	s_trap 2
	ds_load_b64 v[10:11], v0
	s_wait_dscnt 0x0
	v_add_nc_u64_e32 v[48:49], v[48:49], v[52:53]
	s_mov_b32 s40, exec_lo
	s_delay_alu instid0(VALU_DEP_1)
	v_cmpx_lt_u64_e64 v[10:11], v[48:49]
	s_cbranch_execz .LBB4_1661
; %bb.1653:                             ;   in Loop: Header=BB4_1598 Depth=2
	s_mov_b32 s41, 0
	s_mov_b32 s90, 0
                                        ; implicit-def: $sgpr88
                                        ; implicit-def: $sgpr89
	s_branch .LBB4_1655
.LBB4_1654:                             ;   in Loop: Header=BB4_1655 Depth=3
	s_or_b32 exec_lo, exec_lo, s92
	s_delay_alu instid0(SALU_CYCLE_1) | instskip(NEXT) | instid1(SALU_CYCLE_1)
	s_and_b32 s91, exec_lo, s93
	s_or_b32 s41, s91, s41
	s_and_not1_b32 s88, s88, exec_lo
	s_and_b32 s91, s89, exec_lo
	s_delay_alu instid0(SALU_CYCLE_1)
	s_or_b32 s88, s88, s91
	s_and_not1_b32 exec_lo, exec_lo, s41
	s_cbranch_execz .LBB4_1659
.LBB4_1655:                             ;   Parent Loop BB4_47 Depth=1
                                        ;     Parent Loop BB4_1598 Depth=2
                                        ; =>    This Inner Loop Header: Depth=3
	s_add_co_i32 s90, s90, 1
	s_delay_alu instid0(SALU_CYCLE_1) | instskip(SKIP_1) | instid1(SALU_CYCLE_1)
	s_cmp_lg_u32 s90, 0x2710
	s_cselect_b32 s91, -1, 0
	s_and_b32 vcc_lo, exec_lo, s91
	s_cbranch_vccz .LBB4_1657
; %bb.1656:                             ;   in Loop: Header=BB4_1655 Depth=3
	s_mov_b32 s93, -1
	s_or_b32 s89, s89, exec_lo
	s_and_saveexec_b32 s92, s91
	s_cbranch_execz .LBB4_1654
	s_branch .LBB4_1658
.LBB4_1657:                             ;   in Loop: Header=BB4_1655 Depth=3
	s_trap 2
	ds_load_b64 v[10:11], v0
	s_and_not1_b32 s91, s91, exec_lo
	s_mov_b32 s90, 0
	s_wait_storecnt 0x0
	s_wait_loadcnt_dscnt 0x0
	flat_load_b32 v2, v[10:11] scope:SCOPE_SYS
	s_wait_loadcnt_dscnt 0x0
	global_inv scope:SCOPE_SYS
	v_cmp_eq_u32_e32 vcc_lo, 0, v2
	s_and_b32 s92, vcc_lo, exec_lo
	s_delay_alu instid0(SALU_CYCLE_1)
	s_or_b32 s91, s91, s92
	s_mov_b32 s93, -1
	s_or_b32 s89, s89, exec_lo
	s_and_saveexec_b32 s92, s91
	s_cbranch_execz .LBB4_1654
.LBB4_1658:                             ;   in Loop: Header=BB4_1655 Depth=3
	s_sleep 1
	s_trap 2
	ds_load_b64 v[10:11], v0
	s_wait_dscnt 0x0
	s_and_not1_b32 s89, s89, exec_lo
	v_cmp_ge_u64_e32 vcc_lo, v[10:11], v[48:49]
	s_or_not1_b32 s93, vcc_lo, exec_lo
	s_branch .LBB4_1654
.LBB4_1659:                             ;   in Loop: Header=BB4_1598 Depth=2
	s_or_b32 exec_lo, exec_lo, s41
	s_and_saveexec_b32 s41, s88
	s_delay_alu instid0(SALU_CYCLE_1)
	s_xor_b32 s41, exec_lo, s41
	s_cbranch_execz .LBB4_1661
; %bb.1660:                             ;   in Loop: Header=BB4_1598 Depth=2
	ds_store_b32 v0, v73
	s_trap 2
.LBB4_1661:                             ;   in Loop: Header=BB4_1598 Depth=2
	s_or_b32 exec_lo, exec_lo, s40
	;;#ASMSTART
	s_wakeup
	;;#ASMEND
.LBB4_1662:                             ;   in Loop: Header=BB4_1598 Depth=2
	s_or_b32 exec_lo, exec_lo, s27
.LBB4_1663:                             ;   in Loop: Header=BB4_1598 Depth=2
	s_and_not1_saveexec_b32 s18, s18
	s_cbranch_execz .LBB4_1665
; %bb.1664:                             ;   in Loop: Header=BB4_1598 Depth=2
	;;#ASMSTART
	s_waitcnt lgkmcnt(0) vmcnt(0)
	;;#ASMEND
	s_barrier_signal -1
	s_barrier_wait -1
.LBB4_1665:                             ;   in Loop: Header=BB4_1598 Depth=2
	s_or_b32 exec_lo, exec_lo, s18
.LBB4_1666:                             ;   in Loop: Header=BB4_1598 Depth=2
	s_delay_alu instid0(SALU_CYCLE_1) | instskip(SKIP_2) | instid1(SALU_CYCLE_1)
	s_or_b32 exec_lo, exec_lo, s13
	v_cmp_ne_u32_e32 vcc_lo, 0, v8
	s_xor_b32 s13, s4, -1
	s_and_b32 s18, vcc_lo, s13
	s_delay_alu instid0(SALU_CYCLE_1)
	s_and_saveexec_b32 s13, s18
	s_cbranch_execz .LBB4_1668
; %bb.1667:                             ;   in Loop: Header=BB4_1598 Depth=2
	global_wb scope:SCOPE_SYS
	s_wait_storecnt 0x0
	s_wait_loadcnt_dscnt 0x0
	flat_store_b32 v[38:39], v73 scope:SCOPE_SYS
.LBB4_1668:                             ;   in Loop: Header=BB4_1598 Depth=2
	s_wait_xcnt 0x0
	s_or_b32 exec_lo, exec_lo, s13
	v_and_b32_e32 v2, 48, v30
	s_mov_b32 s13, exec_lo
	s_delay_alu instid0(VALU_DEP_1)
	v_cmpx_ne_u32_e32 0, v2
	s_cbranch_execz .LBB4_1597
; %bb.1669:                             ;   in Loop: Header=BB4_1598 Depth=2
	v_add_nc_u64_e32 v[114:115], 2, v[114:115]
	global_wb scope:SCOPE_SYS
	s_wait_storecnt 0x0
	s_wait_loadcnt_dscnt 0x0
	flat_store_b64 v[32:33], v[114:115] scope:SCOPE_SYS
	s_branch .LBB4_1597
.LBB4_1670:                             ;   in Loop: Header=BB4_47 Depth=1
	s_or_b32 exec_lo, exec_lo, s15
.LBB4_1671:                             ;   in Loop: Header=BB4_47 Depth=1
	s_delay_alu instid0(SALU_CYCLE_1) | instskip(NEXT) | instid1(SALU_CYCLE_1)
	s_or_b32 exec_lo, exec_lo, s14
	s_and_not1_b32 vcc_lo, exec_lo, s46
	s_cbranch_vccnz .LBB4_2001
; %bb.1672:                             ;   in Loop: Header=BB4_47 Depth=1
	s_mov_b32 s18, 1
.LBB4_1673:                             ;   Parent Loop BB4_47 Depth=1
                                        ; =>  This Loop Header: Depth=2
                                        ;       Child Loop BB4_1676 Depth 3
                                        ;         Child Loop BB4_1684 Depth 4
                                        ;         Child Loop BB4_1712 Depth 4
	;; [unrolled: 1-line block ×4, first 2 shown]
                                        ;           Child Loop BB4_1756 Depth 5
                                        ;           Child Loop BB4_1761 Depth 5
                                        ;         Child Loop BB4_1774 Depth 4
                                        ;         Child Loop BB4_1779 Depth 4
                                        ;           Child Loop BB4_1781 Depth 5
                                        ;           Child Loop BB4_1786 Depth 5
                                        ;         Child Loop BB4_1792 Depth 4
                                        ;         Child Loop BB4_1800 Depth 4
                                        ;         Child Loop BB4_1810 Depth 4
                                        ;           Child Loop BB4_1812 Depth 5
                                        ;           Child Loop BB4_1817 Depth 5
                                        ;         Child Loop BB4_1821 Depth 4
                                        ;         Child Loop BB4_1833 Depth 4
	;; [unrolled: 1-line block ×7, first 2 shown]
                                        ;       Child Loop BB4_1926 Depth 3
                                        ;         Child Loop BB4_1932 Depth 4
                                        ;         Child Loop BB4_1960 Depth 4
	;; [unrolled: 1-line block ×3, first 2 shown]
	s_delay_alu instid0(SALU_CYCLE_1)
	s_sub_co_i32 s13, s44, s18
	s_mov_b32 s88, 0
	s_cmp_ge_i32 s13, s16
	s_wait_dscnt 0x0
	v_mov_b32_e32 v42, 0
	s_cselect_b32 s14, s16, 0
	s_delay_alu instid0(SALU_CYCLE_1) | instskip(NEXT) | instid1(SALU_CYCLE_1)
	s_sub_co_i32 s14, s13, s14
	s_ashr_i32 s15, s14, 31
	s_delay_alu instid0(SALU_CYCLE_1) | instskip(NEXT) | instid1(VALU_DEP_1)
	v_mul_u64_e32 v[8:9], s[14:15], v[112:113]
	v_sub_nc_u64_e32 v[10:11], v[116:117], v[8:9]
	s_delay_alu instid0(VALU_DEP_1) | instskip(NEXT) | instid1(VALU_DEP_1)
	v_min_i64 v[10:11], v[112:113], v[10:11]
	v_max_i32_e32 v88, 0, v10
	v_cmp_lt_i32_e32 vcc_lo, 0, v10
	s_delay_alu instid0(VALU_DEP_2) | instskip(SKIP_1) | instid1(VALU_DEP_1)
	v_add_nc_u32_e32 v2, 31, v88
	s_and_b32 s13, s77, vcc_lo
	v_lshrrev_b32_e32 v2, 1, v2
	s_delay_alu instid0(VALU_DEP_1) | instskip(NEXT) | instid1(VALU_DEP_1)
	v_and_b32_e32 v11, 0x3ffffff0, v2
	v_dual_mov_b32 v2, 0 :: v_dual_max_i32 v40, s45, v11
	s_and_saveexec_b32 s27, s13
	s_cbranch_execz .LBB4_1923
; %bb.1674:                             ;   in Loop: Header=BB4_1673 Depth=2
	v_add_nc_u64_e32 v[8:9], v[8:9], v[118:119]
	v_mov_b32_e32 v42, 0
	s_mov_b32 s90, 1
	s_mov_b32 s89, -1
	s_delay_alu instid0(VALU_DEP_2)
	v_lshlrev_b64_e32 v[44:45], 1, v[8:9]
	s_branch .LBB4_1676
.LBB4_1675:                             ;   in Loop: Header=BB4_1676 Depth=3
	s_wait_xcnt 0x0
	s_or_b32 exec_lo, exec_lo, s13
	v_dual_add_nc_u32 v42, v40, v42 :: v_dual_mov_b32 v2, s90
	s_xor_b32 s13, s89, -1
	s_mov_b32 s89, 0
	s_mov_b32 s90, 2
	s_delay_alu instid0(VALU_DEP_1) | instskip(SKIP_1) | instid1(SALU_CYCLE_1)
	v_cmp_ge_i32_e32 vcc_lo, v42, v88
	s_or_b32 s13, s13, vcc_lo
	s_and_b32 s13, exec_lo, s13
	s_delay_alu instid0(SALU_CYCLE_1) | instskip(NEXT) | instid1(SALU_CYCLE_1)
	s_or_b32 s88, s13, s88
	s_and_not1_b32 exec_lo, exec_lo, s88
	s_cbranch_execz .LBB4_1922
.LBB4_1676:                             ;   Parent Loop BB4_47 Depth=1
                                        ;     Parent Loop BB4_1673 Depth=2
                                        ; =>    This Loop Header: Depth=3
                                        ;         Child Loop BB4_1684 Depth 4
                                        ;         Child Loop BB4_1712 Depth 4
	;; [unrolled: 1-line block ×4, first 2 shown]
                                        ;           Child Loop BB4_1756 Depth 5
                                        ;           Child Loop BB4_1761 Depth 5
                                        ;         Child Loop BB4_1774 Depth 4
                                        ;         Child Loop BB4_1779 Depth 4
                                        ;           Child Loop BB4_1781 Depth 5
                                        ;           Child Loop BB4_1786 Depth 5
                                        ;         Child Loop BB4_1792 Depth 4
                                        ;         Child Loop BB4_1800 Depth 4
                                        ;         Child Loop BB4_1810 Depth 4
                                        ;           Child Loop BB4_1812 Depth 5
                                        ;           Child Loop BB4_1817 Depth 5
                                        ;         Child Loop BB4_1821 Depth 4
                                        ;         Child Loop BB4_1833 Depth 4
	;; [unrolled: 1-line block ×7, first 2 shown]
	s_and_saveexec_b32 s13, s0
	s_cbranch_execz .LBB4_1678
; %bb.1677:                             ;   in Loop: Header=BB4_1676 Depth=3
	s_trap 2
	ds_load_b128 v[8:11], v0
	s_wait_dscnt 0x0
	v_cmp_ne_u64_e32 vcc_lo, 0, v[10:11]
	v_ashrrev_i32_e32 v43, 31, v42
	v_add_nc_u64_e32 v[14:15], v[10:11], v[44:45]
	v_add_nc_u64_e32 v[8:9], v[8:9], v[44:45]
	s_delay_alu instid0(VALU_DEP_3) | instskip(NEXT) | instid1(VALU_DEP_1)
	v_lshlrev_b64_e32 v[12:13], 1, v[42:43]
	v_add_nc_u64_e32 v[14:15], v[14:15], v[12:13]
	s_delay_alu instid0(VALU_DEP_3) | instskip(NEXT) | instid1(VALU_DEP_2)
	v_add_nc_u64_e32 v[8:9], v[8:9], v[12:13]
	v_dual_cndmask_b32 v11, 0, v15 :: v_dual_cndmask_b32 v10, 0, v14
	ds_store_b64 v0, v[8:9]
	ds_store_b64 v0, v[10:11]
.LBB4_1678:                             ;   in Loop: Header=BB4_1676 Depth=3
	s_or_b32 exec_lo, exec_lo, s13
	v_sub_nc_u32_e32 v2, v88, v42
	v_and_b32_e32 v8, 12, v30
	s_mov_b32 s14, exec_lo
	s_delay_alu instid0(VALU_DEP_2) | instskip(NEXT) | instid1(VALU_DEP_2)
	v_min_i32_e32 v40, v40, v2
	v_cmpx_ne_u32_e32 0, v8
	s_cbranch_execz .LBB4_1704
; %bb.1679:                             ;   in Loop: Header=BB4_1676 Depth=3
	v_and_b32_e32 v2, 8, v30
	v_add_nc_u64_e32 v[8:9], 2, v[114:115]
	s_mov_b32 s15, exec_lo
	s_wait_loadcnt 0x0
	s_delay_alu instid0(VALU_DEP_2) | instskip(NEXT) | instid1(VALU_DEP_1)
	v_add_nc_u64_e32 v[10:11], v[50:51], v[2:3]
	v_cmpx_lt_u64_e64 v[10:11], v[8:9]
	s_cbranch_execz .LBB4_1691
; %bb.1680:                             ;   in Loop: Header=BB4_1676 Depth=3
	v_and_b32_e32 v10, 64, v30
	s_mov_b32 s40, 0
	s_mov_b32 s93, 0
                                        ; implicit-def: $sgpr41
                                        ; implicit-def: $sgpr91
                                        ; implicit-def: $sgpr92
	s_delay_alu instid0(VALU_DEP_1)
	v_cmp_eq_u32_e32 vcc_lo, 0, v10
	s_branch .LBB4_1684
.LBB4_1681:                             ;   in Loop: Header=BB4_1684 Depth=4
	s_wait_loadcnt_dscnt 0x0
	v_add_nc_u64_e32 v[12:13], v[50:51], v[2:3]
	s_or_b32 vcc_hi, vcc_hi, exec_lo
	s_delay_alu instid0(VALU_DEP_1)
	v_cmp_ge_u64_e64 s13, v[12:13], v[8:9]
	s_or_not1_b32 s95, s13, exec_lo
.LBB4_1682:                             ;   in Loop: Header=BB4_1684 Depth=4
	s_or_b32 exec_lo, exec_lo, s31
	s_delay_alu instid0(SALU_CYCLE_1)
	s_and_not1_b32 s13, s92, exec_lo
	s_and_b32 s92, vcc_hi, exec_lo
	s_and_not1_b32 s91, s91, exec_lo
	s_and_b32 s95, s95, exec_lo
	s_or_b32 s92, s13, s92
	s_or_b32 s91, s91, s95
.LBB4_1683:                             ;   in Loop: Header=BB4_1684 Depth=4
	s_or_b32 exec_lo, exec_lo, s94
	s_delay_alu instid0(SALU_CYCLE_1) | instskip(NEXT) | instid1(SALU_CYCLE_1)
	s_and_b32 s13, exec_lo, s91
	s_or_b32 s40, s13, s40
	s_and_not1_b32 s13, s41, exec_lo
	s_and_b32 s41, s92, exec_lo
	s_delay_alu instid0(SALU_CYCLE_1)
	s_or_b32 s41, s13, s41
	s_and_not1_b32 exec_lo, exec_lo, s40
	s_cbranch_execz .LBB4_1688
.LBB4_1684:                             ;   Parent Loop BB4_47 Depth=1
                                        ;     Parent Loop BB4_1673 Depth=2
                                        ;       Parent Loop BB4_1676 Depth=3
                                        ; =>      This Inner Loop Header: Depth=4
	s_sleep 1
	s_wait_loadcnt_dscnt 0x0
	flat_load_b64 v[50:51], v[32:33] scope:SCOPE_SYS
	s_or_b32 s92, s92, exec_lo
	s_or_b32 s91, s91, exec_lo
                                        ; implicit-def: $vgpr10
	s_wait_xcnt 0x0
	s_and_saveexec_b32 s94, vcc_lo
	s_cbranch_execz .LBB4_1683
; %bb.1685:                             ;   in Loop: Header=BB4_1684 Depth=4
	s_cmp_lt_i32 s93, 0x270f
	s_mov_b32 s95, -1
	s_cselect_b32 s30, -1, 0
	s_cmp_gt_i32 s93, 0x270e
	s_cbranch_scc0 .LBB4_1687
; %bb.1686:                             ;   in Loop: Header=BB4_1684 Depth=4
	s_trap 2
	ds_load_b64 v[10:11], v0
	s_and_not1_b32 s93, s30, exec_lo
	s_mov_b32 vcc_hi, 0
	s_wait_storecnt 0x0
	s_wait_loadcnt_dscnt 0x0
	flat_load_b32 v10, v[10:11] scope:SCOPE_SYS
	s_wait_loadcnt_dscnt 0x0
	global_inv scope:SCOPE_SYS
	v_cmp_eq_u32_e64 s13, 0, v10
	s_and_b32 s13, s13, exec_lo
	s_delay_alu instid0(SALU_CYCLE_1)
	s_or_b32 s30, s93, s13
	s_mov_b32 s93, 0
	s_and_saveexec_b32 s31, s30
	s_cbranch_execz .LBB4_1682
	s_branch .LBB4_1681
.LBB4_1687:                             ;   in Loop: Header=BB4_1684 Depth=4
	s_add_co_i32 s93, s93, 1
	s_mov_b32 vcc_hi, -1
                                        ; implicit-def: $vgpr10
	s_and_saveexec_b32 s31, s30
	s_cbranch_execz .LBB4_1682
	s_branch .LBB4_1681
.LBB4_1688:                             ;   in Loop: Header=BB4_1676 Depth=3
	s_or_b32 exec_lo, exec_lo, s40
	s_xor_b32 s13, s41, -1
	s_delay_alu instid0(SALU_CYCLE_1) | instskip(NEXT) | instid1(SALU_CYCLE_1)
	s_and_saveexec_b32 s40, s13
	s_xor_b32 s13, exec_lo, s40
	s_cbranch_execz .LBB4_1690
; %bb.1689:                             ;   in Loop: Header=BB4_1676 Depth=3
	v_or_b32_e32 v30, 64, v30
	s_wait_storecnt 0x0
	s_wait_loadcnt_dscnt 0x0
	ds_store_b32 v0, v10
	s_trap 2
.LBB4_1690:                             ;   in Loop: Header=BB4_1676 Depth=3
	s_or_b32 exec_lo, exec_lo, s13
.LBB4_1691:                             ;   in Loop: Header=BB4_1676 Depth=3
	s_delay_alu instid0(SALU_CYCLE_1) | instskip(SKIP_2) | instid1(VALU_DEP_1)
	s_or_b32 exec_lo, exec_lo, s15
	v_and_b32_e32 v10, 0x108, v30
	;;#ASMSTART
	s_wakeup
	;;#ASMEND
	v_cmp_ne_u32_e32 vcc_lo, 0x108, v10
                                        ; implicit-def: $vgpr10_vgpr11
	s_and_saveexec_b32 s13, vcc_lo
	s_delay_alu instid0(SALU_CYCLE_1)
	s_xor_b32 s13, exec_lo, s13
; %bb.1692:                             ;   in Loop: Header=BB4_1676 Depth=3
	v_dual_mov_b32 v11, v3 :: v_dual_bitop2_b32 v10, 7, v114 bitop3:0x40
                                        ; implicit-def: $vgpr114_vgpr115
; %bb.1693:                             ;   in Loop: Header=BB4_1676 Depth=3
	s_and_not1_saveexec_b32 s13, s13
	s_cbranch_execz .LBB4_1695
; %bb.1694:                             ;   in Loop: Header=BB4_1676 Depth=3
	v_dual_ashrrev_i32 v41, 31, v40 :: v_dual_bitop2_b32 v10, 7, v114 bitop3:0x40
	v_mov_b32_e32 v11, v3
	s_delay_alu instid0(VALU_DEP_2) | instskip(NEXT) | instid1(VALU_DEP_3)
	v_mad_nc_u64_u32 v[12:13], v10, 24, v[6:7]
	v_lshlrev_b64_e32 v[14:15], 1, v[40:41]
	flat_store_b64 v[12:13], v[14:15] offset:8
.LBB4_1695:                             ;   in Loop: Header=BB4_1676 Depth=3
	s_wait_xcnt 0x0
	s_or_b32 exec_lo, exec_lo, s13
	v_and_b32_e32 v12, 0x100, v30
	s_mov_b32 s13, -1
	s_delay_alu instid0(VALU_DEP_1)
	v_cmp_ne_u32_e32 vcc_lo, 0, v12
                                        ; implicit-def: $vgpr12_vgpr13
	s_and_saveexec_b32 s15, vcc_lo
	s_cbranch_execz .LBB4_1699
; %bb.1696:                             ;   in Loop: Header=BB4_1676 Depth=3
	v_mad_nc_u64_u32 v[14:15], v10, 24, v[6:7]
	s_delay_alu instid0(VALU_DEP_1)
	v_mad_u32 v15, v11, 24, v15
	flat_load_b32 v12, v[14:15]
	s_wait_loadcnt_dscnt 0x0
	v_cmp_eq_u32_e64 s13, 1, v12
	v_cmp_ne_u32_e32 vcc_lo, 1, v12
                                        ; implicit-def: $vgpr12_vgpr13
	s_wait_xcnt 0x0
	s_and_saveexec_b32 s40, s13
	s_cbranch_execz .LBB4_1698
; %bb.1697:                             ;   in Loop: Header=BB4_1676 Depth=3
	flat_load_b32 v12, v[14:15] offset:4 scope:SCOPE_SYS
	s_wait_loadcnt_dscnt 0x0
	v_ashrrev_i32_e32 v13, 31, v12
	s_delay_alu instid0(VALU_DEP_1)
	v_lshrrev_b64 v[12:13], 1, v[12:13]
.LBB4_1698:                             ;   in Loop: Header=BB4_1676 Depth=3
	s_wait_xcnt 0x0
	s_or_b32 exec_lo, exec_lo, s40
	s_delay_alu instid0(SALU_CYCLE_1)
	s_or_not1_b32 s13, vcc_lo, exec_lo
.LBB4_1699:                             ;   in Loop: Header=BB4_1676 Depth=3
	s_or_b32 exec_lo, exec_lo, s15
	s_and_saveexec_b32 s15, s13
; %bb.1700:                             ;   in Loop: Header=BB4_1676 Depth=3
	v_mul_u64_e32 v[12:13], v[10:11], v[34:35]
; %bb.1701:                             ;   in Loop: Header=BB4_1676 Depth=3
	s_or_b32 exec_lo, exec_lo, s15
	v_cmp_eq_u32_e32 vcc_lo, 0, v2
	v_and_b32_e32 v14, 0x2000, v30
	s_delay_alu instid0(VALU_DEP_3) | instskip(SKIP_2) | instid1(VALU_DEP_1)
	v_lshl_add_u64 v[10:11], v[12:13], 1, v[36:37]
	s_mov_b32 s13, exec_lo
	v_cndmask_b32_e32 v2, 0xd0, v75, vcc_lo
	v_add_nc_u32_e32 v2, v0, v2
	ds_store_b64 v2, v[10:11] offset:584
	v_cmpx_ne_u32_e32 0, v14
	s_cbranch_execz .LBB4_1703
; %bb.1702:                             ;   in Loop: Header=BB4_1676 Depth=3
	ds_load_b64 v[10:11], v0 offset:872
	s_wait_dscnt 0x0
	v_add_nc_u64_e32 v[10:11], 1, v[10:11]
	ds_store_b64 v0, v[10:11] offset:872
.LBB4_1703:                             ;   in Loop: Header=BB4_1676 Depth=3
	s_or_b32 exec_lo, exec_lo, s13
	v_mov_b64_e32 v[114:115], v[8:9]
.LBB4_1704:                             ;   in Loop: Header=BB4_1676 Depth=3
	s_or_b32 exec_lo, exec_lo, s14
	s_and_saveexec_b32 s13, s2
	s_cbranch_execz .LBB4_1723
; %bb.1705:                             ;   in Loop: Header=BB4_1676 Depth=3
	s_and_saveexec_b32 s14, s3
	s_delay_alu instid0(SALU_CYCLE_1)
	s_xor_b32 s14, exec_lo, s14
	s_cbranch_execz .LBB4_1720
; %bb.1706:                             ;   in Loop: Header=BB4_1676 Depth=3
	s_and_saveexec_b32 s15, s6
	s_cbranch_execz .LBB4_1719
; %bb.1707:                             ;   in Loop: Header=BB4_1676 Depth=3
	s_mov_b32 s41, exec_lo
	s_mov_b32 s40, exec_lo
	v_mbcnt_lo_u32_b32 v2, s41, 0
	global_wb scope:SCOPE_DEV
	s_wait_storecnt 0x0
	s_wait_loadcnt_dscnt 0x0
	global_inv scope:SCOPE_DEV
	v_cmpx_eq_u32_e32 0, v2
	s_cbranch_execz .LBB4_1709
; %bb.1708:                             ;   in Loop: Header=BB4_1676 Depth=3
	s_bcnt1_i32_b32 s41, s41
	s_delay_alu instid0(SALU_CYCLE_1)
	v_mov_b32_e32 v2, s41
	s_wait_loadcnt 0x0
	ds_add_u64 v0, v[2:3]
	s_trap 2
.LBB4_1709:                             ;   in Loop: Header=BB4_1676 Depth=3
	s_or_b32 exec_lo, exec_lo, s40
	s_trap 2
	ds_load_b64 v[8:9], v0
	s_wait_dscnt 0x0
	v_add_nc_u64_e32 v[48:49], v[48:49], v[52:53]
	s_mov_b32 s40, exec_lo
	s_delay_alu instid0(VALU_DEP_1)
	v_cmpx_lt_u64_e64 v[8:9], v[48:49]
	s_cbranch_execz .LBB4_1718
; %bb.1710:                             ;   in Loop: Header=BB4_1676 Depth=3
	s_mov_b32 s41, 0
	s_mov_b32 s93, 0
                                        ; implicit-def: $sgpr91
                                        ; implicit-def: $sgpr92
	s_branch .LBB4_1712
.LBB4_1711:                             ;   in Loop: Header=BB4_1712 Depth=4
	s_or_b32 exec_lo, exec_lo, s95
	s_delay_alu instid0(SALU_CYCLE_1) | instskip(NEXT) | instid1(SALU_CYCLE_1)
	s_and_b32 s94, exec_lo, vcc_lo
	s_or_b32 s41, s94, s41
	s_and_not1_b32 s91, s91, exec_lo
	s_and_b32 s94, s92, exec_lo
	s_delay_alu instid0(SALU_CYCLE_1)
	s_or_b32 s91, s91, s94
	s_and_not1_b32 exec_lo, exec_lo, s41
	s_cbranch_execz .LBB4_1716
.LBB4_1712:                             ;   Parent Loop BB4_47 Depth=1
                                        ;     Parent Loop BB4_1673 Depth=2
                                        ;       Parent Loop BB4_1676 Depth=3
                                        ; =>      This Inner Loop Header: Depth=4
	s_add_co_i32 s93, s93, 1
	s_delay_alu instid0(SALU_CYCLE_1) | instskip(SKIP_1) | instid1(SALU_CYCLE_1)
	s_cmp_lg_u32 s93, 0x2710
	s_cselect_b32 s94, -1, 0
	s_and_b32 vcc_lo, exec_lo, s94
	s_cbranch_vccz .LBB4_1714
; %bb.1713:                             ;   in Loop: Header=BB4_1712 Depth=4
	s_mov_b32 vcc_lo, -1
	s_or_b32 s92, s92, exec_lo
	s_and_saveexec_b32 s95, s94
	s_cbranch_execz .LBB4_1711
	s_branch .LBB4_1715
.LBB4_1714:                             ;   in Loop: Header=BB4_1712 Depth=4
	s_trap 2
	ds_load_b64 v[8:9], v0
	s_and_not1_b32 s94, s94, exec_lo
	s_mov_b32 s93, 0
	s_wait_loadcnt_dscnt 0x0
	flat_load_b32 v2, v[8:9] scope:SCOPE_SYS
	s_wait_loadcnt_dscnt 0x0
	global_inv scope:SCOPE_SYS
	v_cmp_eq_u32_e32 vcc_lo, 0, v2
	s_and_b32 s95, vcc_lo, exec_lo
	s_delay_alu instid0(SALU_CYCLE_1)
	s_or_b32 s94, s94, s95
	s_mov_b32 vcc_lo, -1
	s_or_b32 s92, s92, exec_lo
	s_wait_xcnt 0x0
	s_and_saveexec_b32 s95, s94
	s_cbranch_execz .LBB4_1711
.LBB4_1715:                             ;   in Loop: Header=BB4_1712 Depth=4
	s_sleep 1
	s_trap 2
	ds_load_b64 v[8:9], v0
	s_wait_dscnt 0x0
	s_and_not1_b32 s92, s92, exec_lo
	v_cmp_ge_u64_e32 vcc_lo, v[8:9], v[48:49]
	s_or_not1_b32 vcc_lo, vcc_lo, exec_lo
	s_branch .LBB4_1711
.LBB4_1716:                             ;   in Loop: Header=BB4_1676 Depth=3
	s_or_b32 exec_lo, exec_lo, s41
	s_and_saveexec_b32 s41, s91
	s_delay_alu instid0(SALU_CYCLE_1)
	s_xor_b32 s41, exec_lo, s41
	s_cbranch_execz .LBB4_1718
; %bb.1717:                             ;   in Loop: Header=BB4_1676 Depth=3
	ds_store_b32 v0, v73
	s_trap 2
.LBB4_1718:                             ;   in Loop: Header=BB4_1676 Depth=3
	s_or_b32 exec_lo, exec_lo, s40
	;;#ASMSTART
	s_wakeup
	;;#ASMEND
.LBB4_1719:                             ;   in Loop: Header=BB4_1676 Depth=3
	s_or_b32 exec_lo, exec_lo, s15
.LBB4_1720:                             ;   in Loop: Header=BB4_1676 Depth=3
	s_and_not1_saveexec_b32 s14, s14
	s_cbranch_execz .LBB4_1722
; %bb.1721:                             ;   in Loop: Header=BB4_1676 Depth=3
	global_wb scope:SCOPE_DEV
	s_wait_storecnt 0x0
	s_wait_loadcnt_dscnt 0x0
	global_inv scope:SCOPE_DEV
	s_barrier_signal -1
	s_barrier_wait -1
.LBB4_1722:                             ;   in Loop: Header=BB4_1676 Depth=3
	s_or_b32 exec_lo, exec_lo, s14
.LBB4_1723:                             ;   in Loop: Header=BB4_1676 Depth=3
	s_delay_alu instid0(SALU_CYCLE_1) | instskip(SKIP_4) | instid1(VALU_DEP_1)
	s_or_b32 exec_lo, exec_lo, s13
	s_trap 2
	ds_load_b32 v8, v0
	v_and_b32_e32 v2, 0x4000, v30
	s_xor_b32 s13, s1, -1
	v_cmp_ne_u32_e32 vcc_lo, 0, v2
	s_and_b32 s14, s13, vcc_lo
	s_delay_alu instid0(SALU_CYCLE_1)
	s_and_saveexec_b32 s13, s14
	s_cbranch_execz .LBB4_1742
; %bb.1724:                             ;   in Loop: Header=BB4_1676 Depth=3
	s_and_saveexec_b32 s14, s3
	s_delay_alu instid0(SALU_CYCLE_1)
	s_xor_b32 s14, exec_lo, s14
	s_cbranch_execz .LBB4_1739
; %bb.1725:                             ;   in Loop: Header=BB4_1676 Depth=3
	s_and_saveexec_b32 s15, s6
	s_cbranch_execz .LBB4_1738
; %bb.1726:                             ;   in Loop: Header=BB4_1676 Depth=3
	s_mov_b32 s41, exec_lo
	s_mov_b32 s40, exec_lo
	v_mbcnt_lo_u32_b32 v2, s41, 0
	global_wb scope:SCOPE_DEV
	s_wait_storecnt 0x0
	s_wait_loadcnt_dscnt 0x0
	global_inv scope:SCOPE_DEV
	v_cmpx_eq_u32_e32 0, v2
	s_cbranch_execz .LBB4_1728
; %bb.1727:                             ;   in Loop: Header=BB4_1676 Depth=3
	s_bcnt1_i32_b32 s41, s41
	s_delay_alu instid0(SALU_CYCLE_1)
	v_mov_b32_e32 v2, s41
	s_wait_loadcnt 0x0
	ds_add_u64 v0, v[2:3]
	s_trap 2
.LBB4_1728:                             ;   in Loop: Header=BB4_1676 Depth=3
	s_or_b32 exec_lo, exec_lo, s40
	s_trap 2
	ds_load_b64 v[10:11], v0
	s_wait_dscnt 0x0
	v_add_nc_u64_e32 v[48:49], v[48:49], v[52:53]
	s_mov_b32 s40, exec_lo
	s_delay_alu instid0(VALU_DEP_1)
	v_cmpx_lt_u64_e64 v[10:11], v[48:49]
	s_cbranch_execz .LBB4_1737
; %bb.1729:                             ;   in Loop: Header=BB4_1676 Depth=3
	s_mov_b32 s41, 0
	s_mov_b32 s93, 0
                                        ; implicit-def: $sgpr91
                                        ; implicit-def: $sgpr92
	s_branch .LBB4_1731
.LBB4_1730:                             ;   in Loop: Header=BB4_1731 Depth=4
	s_or_b32 exec_lo, exec_lo, s95
	s_delay_alu instid0(SALU_CYCLE_1) | instskip(NEXT) | instid1(SALU_CYCLE_1)
	s_and_b32 s94, exec_lo, vcc_lo
	s_or_b32 s41, s94, s41
	s_and_not1_b32 s91, s91, exec_lo
	s_and_b32 s94, s92, exec_lo
	s_delay_alu instid0(SALU_CYCLE_1)
	s_or_b32 s91, s91, s94
	s_and_not1_b32 exec_lo, exec_lo, s41
	s_cbranch_execz .LBB4_1735
.LBB4_1731:                             ;   Parent Loop BB4_47 Depth=1
                                        ;     Parent Loop BB4_1673 Depth=2
                                        ;       Parent Loop BB4_1676 Depth=3
                                        ; =>      This Inner Loop Header: Depth=4
	s_add_co_i32 s93, s93, 1
	s_delay_alu instid0(SALU_CYCLE_1) | instskip(SKIP_1) | instid1(SALU_CYCLE_1)
	s_cmp_lg_u32 s93, 0x2710
	s_cselect_b32 s94, -1, 0
	s_and_b32 vcc_lo, exec_lo, s94
	s_cbranch_vccz .LBB4_1733
; %bb.1732:                             ;   in Loop: Header=BB4_1731 Depth=4
	s_mov_b32 vcc_lo, -1
	s_or_b32 s92, s92, exec_lo
	s_and_saveexec_b32 s95, s94
	s_cbranch_execz .LBB4_1730
	s_branch .LBB4_1734
.LBB4_1733:                             ;   in Loop: Header=BB4_1731 Depth=4
	s_trap 2
	ds_load_b64 v[10:11], v0
	s_and_not1_b32 s94, s94, exec_lo
	s_mov_b32 s93, 0
	s_wait_loadcnt_dscnt 0x0
	flat_load_b32 v2, v[10:11] scope:SCOPE_SYS
	s_wait_loadcnt_dscnt 0x0
	global_inv scope:SCOPE_SYS
	v_cmp_eq_u32_e32 vcc_lo, 0, v2
	s_and_b32 s95, vcc_lo, exec_lo
	s_delay_alu instid0(SALU_CYCLE_1)
	s_or_b32 s94, s94, s95
	s_mov_b32 vcc_lo, -1
	s_or_b32 s92, s92, exec_lo
	s_wait_xcnt 0x0
	s_and_saveexec_b32 s95, s94
	s_cbranch_execz .LBB4_1730
.LBB4_1734:                             ;   in Loop: Header=BB4_1731 Depth=4
	s_sleep 1
	s_trap 2
	ds_load_b64 v[10:11], v0
	s_wait_dscnt 0x0
	s_and_not1_b32 s92, s92, exec_lo
	v_cmp_ge_u64_e32 vcc_lo, v[10:11], v[48:49]
	s_or_not1_b32 vcc_lo, vcc_lo, exec_lo
	s_branch .LBB4_1730
.LBB4_1735:                             ;   in Loop: Header=BB4_1676 Depth=3
	s_or_b32 exec_lo, exec_lo, s41
	s_and_saveexec_b32 s41, s91
	s_delay_alu instid0(SALU_CYCLE_1)
	s_xor_b32 s41, exec_lo, s41
	s_cbranch_execz .LBB4_1737
; %bb.1736:                             ;   in Loop: Header=BB4_1676 Depth=3
	ds_store_b32 v0, v73
	s_trap 2
.LBB4_1737:                             ;   in Loop: Header=BB4_1676 Depth=3
	s_or_b32 exec_lo, exec_lo, s40
	;;#ASMSTART
	s_wakeup
	;;#ASMEND
.LBB4_1738:                             ;   in Loop: Header=BB4_1676 Depth=3
	s_or_b32 exec_lo, exec_lo, s15
.LBB4_1739:                             ;   in Loop: Header=BB4_1676 Depth=3
	s_and_not1_saveexec_b32 s14, s14
	s_cbranch_execz .LBB4_1741
; %bb.1740:                             ;   in Loop: Header=BB4_1676 Depth=3
	global_wb scope:SCOPE_DEV
	s_wait_storecnt 0x0
	s_wait_loadcnt_dscnt 0x0
	global_inv scope:SCOPE_DEV
	s_barrier_signal -1
	s_barrier_wait -1
.LBB4_1741:                             ;   in Loop: Header=BB4_1676 Depth=3
	s_or_b32 exec_lo, exec_lo, s14
.LBB4_1742:                             ;   in Loop: Header=BB4_1676 Depth=3
	s_delay_alu instid0(SALU_CYCLE_1)
	s_or_b32 exec_lo, exec_lo, s13
	s_trap 2
	ds_load_b64 v[46:47], v0
	s_wait_dscnt 0x0
	v_cmp_eq_u64_e32 vcc_lo, 0, v[46:47]
	s_cbranch_vccnz .LBB4_1764
; %bb.1743:                             ;   in Loop: Header=BB4_1676 Depth=3
	s_trap 2
	ds_load_b64 v[56:57], v0
	s_wait_dscnt 0x0
	v_cmp_eq_u64_e32 vcc_lo, 0, v[56:57]
	s_cbranch_vccnz .LBB4_1764
; %bb.1744:                             ;   in Loop: Header=BB4_1676 Depth=3
	s_trap 2
	ds_load_b64 v[16:17], v0
	v_cmp_eq_u32_e32 vcc_lo, 0, v8
	s_mov_b32 s13, -1
	v_cndmask_b32_e32 v2, 0, v40, vcc_lo
	s_delay_alu instid0(VALU_DEP_1)
	v_lshlrev_b32_e32 v41, 1, v2
	s_wait_dscnt 0x0
	v_cmp_ne_u64_e32 vcc_lo, 0, v[16:17]
	s_cbranch_vccz .LBB4_1823
; %bb.1745:                             ;   in Loop: Header=BB4_1676 Depth=3
	s_and_saveexec_b32 s14, s11
	s_cbranch_execz .LBB4_1747
; %bb.1746:                             ;   in Loop: Header=BB4_1676 Depth=3
	ds_load_b32 v8, v0 offset:720
	s_wait_dscnt 0x0
	v_and_b32_e32 v8, 15, v8
	s_delay_alu instid0(VALU_DEP_1)
	v_cmp_eq_u32_e32 vcc_lo, 0, v8
	s_or_not1_b32 s13, vcc_lo, exec_lo
.LBB4_1747:                             ;   in Loop: Header=BB4_1676 Depth=3
	s_or_b32 exec_lo, exec_lo, s14
	s_and_saveexec_b32 s14, s12
	s_cbranch_execz .LBB4_1749
; %bb.1748:                             ;   in Loop: Header=BB4_1676 Depth=3
	ds_load_b32 v8, v0 offset:784
	s_wait_dscnt 0x0
	v_and_b32_e32 v8, 15, v8
	s_delay_alu instid0(VALU_DEP_1) | instskip(SKIP_3) | instid1(SALU_CYCLE_1)
	v_cmp_eq_u32_e32 vcc_lo, 0, v8
	s_and_b32 s15, s13, vcc_lo
	s_and_not1_b32 s13, s13, exec_lo
	s_and_b32 s15, s15, exec_lo
	s_or_b32 s13, s13, s15
.LBB4_1749:                             ;   in Loop: Header=BB4_1676 Depth=3
	s_or_b32 exec_lo, exec_lo, s14
	s_xor_b32 s13, s13, -1
	s_delay_alu instid0(SALU_CYCLE_1) | instskip(SKIP_1) | instid1(VALU_DEP_1)
	v_cndmask_b32_e64 v8, 0, 1, s13
	s_mov_b32 s13, -1
	v_cmp_ne_u32_e32 vcc_lo, 0, v8
	s_cbranch_vccz .LBB4_1769
; %bb.1750:                             ;   in Loop: Header=BB4_1676 Depth=3
	s_mov_b32 s91, -1
	v_mov_b32_e32 v19, 0
	s_cbranch_execnz .LBB4_1770
.LBB4_1751:                             ;   in Loop: Header=BB4_1676 Depth=3
	v_ashrrev_i32_e32 v8, 31, v41
	v_add_nc_u64_e32 v[18:19], v[56:57], v[64:65]
	v_add_nc_u64_e32 v[20:21], v[16:17], v[64:65]
	v_sub_nc_u32_e32 v43, v41, v64
	s_mov_b32 s14, 0
	v_lshrrev_b32_e32 v8, 23, v8
	s_mov_b32 s92, exec_lo
	s_delay_alu instid0(VALU_DEP_1) | instskip(NEXT) | instid1(VALU_DEP_1)
	v_add_nc_u32_e32 v8, v41, v8
	v_and_b32_e32 v58, 0xfffffe00, v8
	s_delay_alu instid0(VALU_DEP_1) | instskip(NEXT) | instid1(VALU_DEP_1)
	v_dual_ashrrev_i32 v8, 9, v8 :: v_dual_sub_nc_u32 v59, v41, v58
	v_cmp_lt_i32_e64 s13, 15, v59
	s_delay_alu instid0(VALU_DEP_1)
	v_add_co_ci_u32_e64 v60, null, v8, v79, s13
                                        ; implicit-def: $vgpr8_vgpr9
	v_cmpx_lt_i32_e32 15, v43
	s_cbranch_execz .LBB4_1772
; %bb.1752:                             ;   in Loop: Header=BB4_1676 Depth=3
	v_add_nc_u64_e32 v[22:23], v[46:47], v[64:65]
	s_mov_b32 s95, 0
	s_mov_b32 s93, 0
                                        ; implicit-def: $sgpr94
                                        ; implicit-def: $vgpr8_vgpr9
	s_branch .LBB4_1754
.LBB4_1753:                             ;   in Loop: Header=BB4_1754 Depth=4
	s_or_b32 exec_lo, exec_lo, s14
	s_delay_alu instid0(VALU_DEP_2) | instskip(SKIP_3) | instid1(SALU_CYCLE_1)
	v_cmp_gt_i32_e32 vcc_lo, 16, v43
	s_or_b32 s93, vcc_lo, s93
	s_and_not1_b32 s14, s94, exec_lo
	s_and_b32 s15, s95, exec_lo
	s_or_b32 s94, s14, s15
	s_and_not1_b32 exec_lo, exec_lo, s93
	s_cbranch_execz .LBB4_1771
.LBB4_1754:                             ;   Parent Loop BB4_47 Depth=1
                                        ;     Parent Loop BB4_1673 Depth=2
                                        ;       Parent Loop BB4_1676 Depth=3
                                        ; =>      This Loop Header: Depth=4
                                        ;           Child Loop BB4_1756 Depth 5
                                        ;           Child Loop BB4_1761 Depth 5
	global_load_b128 v[12:15], v[22:23], off th:TH_LOAD_NT
	s_wait_xcnt 0x0
	s_and_saveexec_b32 vcc_hi, s95
	s_cbranch_execz .LBB4_1758
; %bb.1755:                             ;   in Loop: Header=BB4_1754 Depth=4
	s_mov_b64 s[40:41], 0
	s_mov_b32 s95, -1
.LBB4_1756:                             ;   Parent Loop BB4_47 Depth=1
                                        ;     Parent Loop BB4_1673 Depth=2
                                        ;       Parent Loop BB4_1676 Depth=3
                                        ;         Parent Loop BB4_1754 Depth=4
                                        ; =>        This Inner Loop Header: Depth=5
	s_cmp_eq_u32 s40, 1
	s_cselect_b32 vcc_lo, -1, 0
	s_cmp_eq_u32 s40, 0
	s_wait_xcnt 0x0
	v_dual_cndmask_b32 v63, v19, v21 :: v_dual_cndmask_b32 v62, v18, v20
	s_cselect_b32 s14, -1, 0
	s_and_b32 s15, exec_lo, s95
	s_mov_b64 s[40:41], 1
	s_mov_b32 s95, 0
	v_add_nc_u64_e32 v[90:91], 0x200, v[62:63]
	global_store_b128 v[62:63], v[8:11], off th:TH_STORE_NT
	v_dual_cndmask_b32 v21, v21, v91 :: v_dual_cndmask_b32 v20, v20, v90
	v_dual_cndmask_b32 v19, v19, v91, s14 :: v_dual_cndmask_b32 v18, v18, v90, s14
	s_mov_b32 vcc_lo, s15
	s_cbranch_vccnz .LBB4_1756
; %bb.1757:                             ;   in Loop: Header=BB4_1754 Depth=4
	s_delay_alu instid0(VALU_DEP_1)
	v_add_nc_u64_e32 v[18:19], v[18:19], v[82:83]
	v_add_nc_u64_e32 v[20:21], v[20:21], v[82:83]
.LBB4_1758:                             ;   in Loop: Header=BB4_1754 Depth=4
	s_wait_xcnt 0x0
	s_or_b32 exec_lo, exec_lo, vcc_hi
	v_sub_nc_u32_e32 v43, v43, v76
	v_add_nc_u64_e32 v[22:23], v[98:99], v[22:23]
	s_delay_alu instid0(VALU_DEP_2)
	v_cmp_lt_i32_e64 s95, 15, v43
	s_and_saveexec_b32 s14, s95
	s_cbranch_execz .LBB4_1760
; %bb.1759:                             ;   in Loop: Header=BB4_1754 Depth=4
	global_load_b128 v[8:11], v[22:23], off th:TH_LOAD_NT
	s_wait_xcnt 0x0
	v_add_nc_u64_e32 v[22:23], 0x200, v[22:23]
.LBB4_1760:                             ;   in Loop: Header=BB4_1754 Depth=4
	s_or_b32 exec_lo, exec_lo, s14
	s_mov_b64 s[40:41], 0
	s_mov_b32 vcc_hi, -1
.LBB4_1761:                             ;   Parent Loop BB4_47 Depth=1
                                        ;     Parent Loop BB4_1673 Depth=2
                                        ;       Parent Loop BB4_1676 Depth=3
                                        ;         Parent Loop BB4_1754 Depth=4
                                        ; =>        This Inner Loop Header: Depth=5
	s_cmp_eq_u32 s40, 1
	s_cselect_b32 vcc_lo, -1, 0
	s_cmp_eq_u32 s40, 0
	s_wait_xcnt 0x0
	v_dual_cndmask_b32 v63, v19, v21 :: v_dual_cndmask_b32 v62, v18, v20
	s_cselect_b32 s14, -1, 0
	s_and_b32 s15, exec_lo, vcc_hi
	s_mov_b64 s[40:41], 1
	s_mov_b32 vcc_hi, 0
	v_add_nc_u64_e32 v[90:91], 0x200, v[62:63]
	s_wait_loadcnt 0x0
	global_store_b128 v[62:63], v[12:15], off th:TH_STORE_NT
	v_dual_cndmask_b32 v21, v21, v91 :: v_dual_cndmask_b32 v20, v20, v90
	v_dual_cndmask_b32 v19, v19, v91, s14 :: v_dual_cndmask_b32 v18, v18, v90, s14
	s_mov_b32 vcc_lo, s15
	s_cbranch_vccnz .LBB4_1761
; %bb.1762:                             ;   in Loop: Header=BB4_1754 Depth=4
	v_sub_nc_u32_e32 v60, v60, v52
	s_wait_xcnt 0x0
	s_and_saveexec_b32 s14, s95
	s_cbranch_execz .LBB4_1753
; %bb.1763:                             ;   in Loop: Header=BB4_1754 Depth=4
	v_add_nc_u64_e32 v[18:19], v[18:19], v[82:83]
	v_add_nc_u64_e32 v[20:21], v[20:21], v[82:83]
	;; [unrolled: 1-line block ×3, first 2 shown]
	v_sub_nc_u32_e32 v43, v43, v76
	v_sub_nc_u32_e32 v60, v60, v52
	s_branch .LBB4_1753
.LBB4_1764:                             ;   in Loop: Header=BB4_1676 Depth=3
	s_mov_b32 s13, 0
	s_and_saveexec_b32 s14, s2
	s_cbranch_execnz .LBB4_1881
.LBB4_1765:                             ;   in Loop: Header=BB4_1676 Depth=3
	s_or_b32 exec_lo, exec_lo, s14
                                        ; implicit-def: $vgpr2
	s_and_saveexec_b32 s14, s7
	s_delay_alu instid0(SALU_CYCLE_1)
	s_xor_b32 s14, exec_lo, s14
	s_cbranch_execz .LBB4_1899
.LBB4_1766:                             ;   in Loop: Header=BB4_1676 Depth=3
	v_and_b32_e32 v2, 16, v30
	s_delay_alu instid0(VALU_DEP_1) | instskip(SKIP_2) | instid1(SALU_CYCLE_1)
	v_cmp_ne_u32_e32 vcc_lo, 0, v2
	v_and_b32_e32 v2, 16, v30
	s_and_b32 s15, vcc_lo, s13
	s_and_saveexec_b32 s13, s15
	s_cbranch_execz .LBB4_1768
; %bb.1767:                             ;   in Loop: Header=BB4_1676 Depth=3
	v_mov_b32_e32 v2, 1
	global_wb scope:SCOPE_SYS
	s_wait_storecnt 0x0
	s_wait_loadcnt_dscnt 0x0
	global_inv scope:SCOPE_SYS
.LBB4_1768:                             ;   in Loop: Header=BB4_1676 Depth=3
	s_or_b32 exec_lo, exec_lo, s13
	s_and_not1_saveexec_b32 s13, s14
	s_cbranch_execz .LBB4_1918
	s_branch .LBB4_1900
.LBB4_1769:                             ;   in Loop: Header=BB4_1676 Depth=3
	s_mov_b32 s91, 0
	v_mov_b32_e32 v19, 0
	s_and_not1_b32 vcc_lo, exec_lo, s13
	s_cbranch_vccz .LBB4_1751
.LBB4_1770:                             ;   in Loop: Header=BB4_1676 Depth=3
	v_dual_mov_b32 v18, v41 :: v_dual_mov_b32 v20, v0
	v_mov_b32_e32 v8, v78
	s_and_saveexec_b32 s15, s91
	s_cbranch_execnz .LBB4_1797
	s_branch .LBB4_1822
.LBB4_1771:                             ;   in Loop: Header=BB4_1676 Depth=3
	s_or_b32 exec_lo, exec_lo, s93
	s_delay_alu instid0(SALU_CYCLE_1)
	s_and_b32 s14, s94, exec_lo
.LBB4_1772:                             ;   in Loop: Header=BB4_1676 Depth=3
	s_or_b32 exec_lo, exec_lo, s92
	s_and_saveexec_b32 s92, s14
	s_cbranch_execz .LBB4_1775
; %bb.1773:                             ;   in Loop: Header=BB4_1676 Depth=3
	s_mov_b64 s[40:41], 0
	s_mov_b32 s93, -1
.LBB4_1774:                             ;   Parent Loop BB4_47 Depth=1
                                        ;     Parent Loop BB4_1673 Depth=2
                                        ;       Parent Loop BB4_1676 Depth=3
                                        ; =>      This Inner Loop Header: Depth=4
	s_cmp_eq_u32 s40, 1
	s_cselect_b32 vcc_lo, -1, 0
	s_cmp_eq_u32 s40, 0
	s_wait_xcnt 0x0
	v_dual_cndmask_b32 v13, v19, v21 :: v_dual_cndmask_b32 v12, v18, v20
	s_cselect_b32 s14, -1, 0
	s_and_b32 s15, exec_lo, s93
	s_mov_b64 s[40:41], 1
	s_mov_b32 s93, 0
	v_add_nc_u64_e32 v[14:15], 0x200, v[12:13]
	global_store_b128 v[12:13], v[8:11], off th:TH_STORE_NT
	v_dual_cndmask_b32 v21, v21, v15 :: v_dual_cndmask_b32 v20, v20, v14
	v_dual_cndmask_b32 v19, v19, v15, s14 :: v_dual_cndmask_b32 v18, v18, v14, s14
	s_mov_b32 vcc_lo, s15
	s_cbranch_vccnz .LBB4_1774
.LBB4_1775:                             ;   in Loop: Header=BB4_1676 Depth=3
	s_wait_xcnt 0x0
	s_or_b32 exec_lo, exec_lo, s92
	v_and_b32_e32 v9, 14, v41
	s_mov_b32 s92, exec_lo
                                        ; implicit-def: $vgpr18
                                        ; implicit-def: $vgpr19
                                        ; implicit-def: $vgpr20
                                        ; implicit-def: $vgpr8
	s_delay_alu instid0(VALU_DEP_1) | instskip(NEXT) | instid1(VALU_DEP_1)
	v_cndmask_b32_e64 v43, v59, v9, s13
	v_cmpx_ne_u32_e32 0, v43
	s_cbranch_execz .LBB4_1796
; %bb.1776:                             ;   in Loop: Header=BB4_1676 Depth=3
	v_cmp_lt_i32_e32 vcc_lo, 0, v60
	s_mov_b32 s14, 0
	s_mov_b32 s93, exec_lo
	v_dual_ashrrev_i32 v12, 31, v43 :: v_dual_sub_nc_u32 v9, v59, v9
	s_delay_alu instid0(VALU_DEP_1) | instskip(NEXT) | instid1(VALU_DEP_1)
	v_dual_cndmask_b32 v8, 0, v52, vcc_lo :: v_dual_cndmask_b32 v9, 0, v9, s13
	v_dual_sub_nc_u32 v8, v8, v60 :: v_dual_add_nc_u32 v58, v9, v58
	s_delay_alu instid0(VALU_DEP_1) | instskip(NEXT) | instid1(VALU_DEP_1)
	v_lshl_add_u32 v8, v8, 5, v0
	v_ashrrev_i32_e32 v10, 31, v8
	s_delay_alu instid0(VALU_DEP_1) | instskip(NEXT) | instid1(VALU_DEP_1)
	v_lshrrev_b32_e32 v10, 27, v10
	v_add_nc_u32_e32 v10, v8, v10
	s_delay_alu instid0(VALU_DEP_1) | instskip(NEXT) | instid1(VALU_DEP_1)
	v_and_b32_e32 v11, 0xffffffe0, v10
	v_dual_sub_nc_u32 v59, v8, v11 :: v_dual_lshrrev_b32 v8, 23, v12
	s_delay_alu instid0(VALU_DEP_1) | instskip(NEXT) | instid1(VALU_DEP_2)
	v_dual_ashrrev_i32 v12, 5, v10 :: v_dual_lshlrev_b32 v10, 4, v59
	v_add_nc_u32_e32 v8, v43, v8
	s_delay_alu instid0(VALU_DEP_2) | instskip(NEXT) | instid1(VALU_DEP_2)
	v_lshl_add_u32 v9, v12, 9, v10
	v_and_b32_e32 v60, 0xfffffe00, v8
	s_delay_alu instid0(VALU_DEP_1) | instskip(NEXT) | instid1(VALU_DEP_1)
	v_dual_add_nc_u32 v10, v9, v58 :: v_dual_sub_nc_u32 v61, v43, v60
	v_dual_ashrrev_i32 v8, 9, v8 :: v_dual_ashrrev_i32 v11, 31, v10
	s_delay_alu instid0(VALU_DEP_2) | instskip(NEXT) | instid1(VALU_DEP_2)
	v_cmp_lt_i32_e64 s13, 15, v61
	v_add_nc_u64_e32 v[18:19], v[10:11], v[56:57]
	s_delay_alu instid0(VALU_DEP_2) | instskip(SKIP_1) | instid1(VALU_DEP_2)
	v_add_co_ci_u32_e64 v8, null, 0, v8, s13
	v_add_nc_u64_e32 v[20:21], v[10:11], v[16:17]
	v_dual_sub_nc_u32 v63, v43, v9 :: v_dual_sub_nc_u32 v62, v8, v12
                                        ; implicit-def: $vgpr8_vgpr9
	s_delay_alu instid0(VALU_DEP_1)
	v_cmpx_lt_i32_e32 15, v63
	s_cbranch_execz .LBB4_1790
; %bb.1777:                             ;   in Loop: Header=BB4_1676 Depth=3
	v_add_nc_u64_e32 v[22:23], v[10:11], v[46:47]
	s_mov_b32 vcc_hi, 0
	s_mov_b32 s94, 0
                                        ; implicit-def: $sgpr95
                                        ; implicit-def: $vgpr8_vgpr9
	s_branch .LBB4_1779
.LBB4_1778:                             ;   in Loop: Header=BB4_1779 Depth=4
	s_or_b32 exec_lo, exec_lo, s14
	s_delay_alu instid0(VALU_DEP_2) | instskip(SKIP_3) | instid1(SALU_CYCLE_1)
	v_cmp_gt_i32_e32 vcc_lo, 16, v63
	s_or_b32 s94, vcc_lo, s94
	s_and_not1_b32 s14, s95, exec_lo
	s_and_b32 s15, vcc_hi, exec_lo
	s_or_b32 s95, s14, s15
	s_and_not1_b32 exec_lo, exec_lo, s94
	s_cbranch_execz .LBB4_1789
.LBB4_1779:                             ;   Parent Loop BB4_47 Depth=1
                                        ;     Parent Loop BB4_1673 Depth=2
                                        ;       Parent Loop BB4_1676 Depth=3
                                        ; =>      This Loop Header: Depth=4
                                        ;           Child Loop BB4_1781 Depth 5
                                        ;           Child Loop BB4_1786 Depth 5
	global_load_b128 v[12:15], v[22:23], off th:TH_LOAD_NT
	s_wait_xcnt 0x0
	s_and_saveexec_b32 s30, vcc_hi
	s_cbranch_execz .LBB4_1783
; %bb.1780:                             ;   in Loop: Header=BB4_1779 Depth=4
	s_mov_b64 s[40:41], 0
	s_mov_b32 vcc_hi, -1
.LBB4_1781:                             ;   Parent Loop BB4_47 Depth=1
                                        ;     Parent Loop BB4_1673 Depth=2
                                        ;       Parent Loop BB4_1676 Depth=3
                                        ;         Parent Loop BB4_1779 Depth=4
                                        ; =>        This Inner Loop Header: Depth=5
	s_cmp_eq_u32 s40, 1
	s_cselect_b32 vcc_lo, -1, 0
	s_cmp_eq_u32 s40, 0
	s_wait_xcnt 0x0
	v_dual_cndmask_b32 v91, v19, v21 :: v_dual_cndmask_b32 v90, v18, v20
	s_cselect_b32 s14, -1, 0
	s_and_b32 s15, exec_lo, vcc_hi
	s_mov_b64 s[40:41], 1
	s_mov_b32 vcc_hi, 0
	v_add_nc_u64_e32 v[92:93], 0x200, v[90:91]
	global_store_b128 v[90:91], v[8:11], off th:TH_STORE_NT
	v_dual_cndmask_b32 v21, v21, v93 :: v_dual_cndmask_b32 v20, v20, v92
	v_dual_cndmask_b32 v19, v19, v93, s14 :: v_dual_cndmask_b32 v18, v18, v92, s14
	s_mov_b32 vcc_lo, s15
	s_cbranch_vccnz .LBB4_1781
; %bb.1782:                             ;   in Loop: Header=BB4_1779 Depth=4
	s_delay_alu instid0(VALU_DEP_1)
	v_add_nc_u64_e32 v[18:19], v[18:19], v[82:83]
	v_add_nc_u64_e32 v[20:21], v[20:21], v[82:83]
.LBB4_1783:                             ;   in Loop: Header=BB4_1779 Depth=4
	s_wait_xcnt 0x0
	s_or_b32 exec_lo, exec_lo, s30
	v_sub_nc_u32_e32 v63, v63, v76
	v_add_nc_u64_e32 v[22:23], v[98:99], v[22:23]
	s_delay_alu instid0(VALU_DEP_2)
	v_cmp_lt_i32_e64 vcc_hi, 15, v63
	s_and_saveexec_b32 s14, vcc_hi
	s_cbranch_execz .LBB4_1785
; %bb.1784:                             ;   in Loop: Header=BB4_1779 Depth=4
	global_load_b128 v[8:11], v[22:23], off th:TH_LOAD_NT
	s_wait_xcnt 0x0
	v_add_nc_u64_e32 v[22:23], 0x200, v[22:23]
.LBB4_1785:                             ;   in Loop: Header=BB4_1779 Depth=4
	s_or_b32 exec_lo, exec_lo, s14
	s_mov_b64 s[40:41], 0
	s_mov_b32 s30, -1
.LBB4_1786:                             ;   Parent Loop BB4_47 Depth=1
                                        ;     Parent Loop BB4_1673 Depth=2
                                        ;       Parent Loop BB4_1676 Depth=3
                                        ;         Parent Loop BB4_1779 Depth=4
                                        ; =>        This Inner Loop Header: Depth=5
	s_cmp_eq_u32 s40, 1
	s_cselect_b32 vcc_lo, -1, 0
	s_cmp_eq_u32 s40, 0
	s_wait_xcnt 0x0
	v_dual_cndmask_b32 v91, v19, v21 :: v_dual_cndmask_b32 v90, v18, v20
	s_cselect_b32 s14, -1, 0
	s_and_b32 s15, exec_lo, s30
	s_mov_b64 s[40:41], 1
	s_mov_b32 s30, 0
	v_add_nc_u64_e32 v[92:93], 0x200, v[90:91]
	s_wait_loadcnt 0x0
	global_store_b128 v[90:91], v[12:15], off th:TH_STORE_NT
	v_dual_cndmask_b32 v21, v21, v93 :: v_dual_cndmask_b32 v20, v20, v92
	v_dual_cndmask_b32 v19, v19, v93, s14 :: v_dual_cndmask_b32 v18, v18, v92, s14
	s_mov_b32 vcc_lo, s15
	s_cbranch_vccnz .LBB4_1786
; %bb.1787:                             ;   in Loop: Header=BB4_1779 Depth=4
	v_sub_nc_u32_e32 v62, v62, v52
	s_wait_xcnt 0x0
	s_and_saveexec_b32 s14, vcc_hi
	s_cbranch_execz .LBB4_1778
; %bb.1788:                             ;   in Loop: Header=BB4_1779 Depth=4
	v_add_nc_u64_e32 v[18:19], v[18:19], v[82:83]
	v_add_nc_u64_e32 v[20:21], v[20:21], v[82:83]
	;; [unrolled: 1-line block ×3, first 2 shown]
	v_sub_nc_u32_e32 v63, v63, v76
	v_sub_nc_u32_e32 v62, v62, v52
	s_branch .LBB4_1778
.LBB4_1789:                             ;   in Loop: Header=BB4_1676 Depth=3
	s_or_b32 exec_lo, exec_lo, s94
	s_delay_alu instid0(SALU_CYCLE_1)
	s_and_b32 s14, s95, exec_lo
.LBB4_1790:                             ;   in Loop: Header=BB4_1676 Depth=3
	s_or_b32 exec_lo, exec_lo, s93
	s_and_saveexec_b32 s93, s14
	s_cbranch_execz .LBB4_1793
; %bb.1791:                             ;   in Loop: Header=BB4_1676 Depth=3
	s_mov_b64 s[40:41], 0
	s_mov_b32 s94, -1
.LBB4_1792:                             ;   Parent Loop BB4_47 Depth=1
                                        ;     Parent Loop BB4_1673 Depth=2
                                        ;       Parent Loop BB4_1676 Depth=3
                                        ; =>      This Inner Loop Header: Depth=4
	s_cmp_eq_u32 s40, 1
	s_cselect_b32 vcc_lo, -1, 0
	s_cmp_eq_u32 s40, 0
	s_wait_xcnt 0x0
	v_dual_cndmask_b32 v13, v19, v21 :: v_dual_cndmask_b32 v12, v18, v20
	s_cselect_b32 s14, -1, 0
	s_and_b32 s15, exec_lo, s94
	s_mov_b64 s[40:41], 1
	s_mov_b32 s94, 0
	v_add_nc_u64_e32 v[14:15], 0x200, v[12:13]
	global_store_b128 v[12:13], v[8:11], off th:TH_STORE_NT
	v_dual_cndmask_b32 v21, v21, v15 :: v_dual_cndmask_b32 v20, v20, v14
	v_dual_cndmask_b32 v19, v19, v15, s14 :: v_dual_cndmask_b32 v18, v18, v14, s14
	s_mov_b32 vcc_lo, s15
	s_cbranch_vccnz .LBB4_1792
.LBB4_1793:                             ;   in Loop: Header=BB4_1676 Depth=3
	s_wait_xcnt 0x0
	s_or_b32 exec_lo, exec_lo, s93
	v_and_b32_e32 v9, 14, v43
	s_mov_b32 s15, s91
	s_mov_b32 s14, exec_lo
                                        ; implicit-def: $vgpr19
                                        ; implicit-def: $vgpr20
                                        ; implicit-def: $vgpr8
	s_delay_alu instid0(VALU_DEP_1) | instskip(NEXT) | instid1(VALU_DEP_1)
	v_cndmask_b32_e64 v18, v61, v9, s13
	v_cmpx_ne_u32_e32 0, v18
	s_cbranch_execz .LBB4_1795
; %bb.1794:                             ;   in Loop: Header=BB4_1676 Depth=3
	v_cmp_lt_i32_e32 vcc_lo, 0, v62
	s_or_b32 s15, s91, exec_lo
	v_dual_cndmask_b32 v8, 0, v52 :: v_dual_sub_nc_u32 v9, v61, v9
	s_delay_alu instid0(VALU_DEP_1) | instskip(NEXT) | instid1(VALU_DEP_1)
	v_dual_cndmask_b32 v9, 0, v9, s13 :: v_dual_sub_nc_u32 v8, v8, v62
	v_add3_u32 v19, v60, v58, v9
	s_delay_alu instid0(VALU_DEP_2) | instskip(NEXT) | instid1(VALU_DEP_1)
	v_lshl_add_u32 v10, v8, 5, v59
	v_ashrrev_i32_e32 v8, 31, v10
	s_delay_alu instid0(VALU_DEP_1) | instskip(NEXT) | instid1(VALU_DEP_1)
	v_lshrrev_b32_e32 v8, 27, v8
	v_add_nc_u32_e32 v8, v10, v8
	s_delay_alu instid0(VALU_DEP_1) | instskip(NEXT) | instid1(VALU_DEP_1)
	v_and_b32_e32 v11, 0xffffffe0, v8
	v_dual_ashrrev_i32 v8, 5, v8 :: v_dual_sub_nc_u32 v20, v10, v11
.LBB4_1795:                             ;   in Loop: Header=BB4_1676 Depth=3
	s_or_b32 exec_lo, exec_lo, s14
	s_delay_alu instid0(SALU_CYCLE_1) | instskip(SKIP_1) | instid1(SALU_CYCLE_1)
	s_and_not1_b32 s13, s91, exec_lo
	s_and_b32 s14, s15, exec_lo
	s_or_b32 s91, s13, s14
.LBB4_1796:                             ;   in Loop: Header=BB4_1676 Depth=3
	s_or_b32 exec_lo, exec_lo, s92
	s_and_saveexec_b32 s15, s91
	s_cbranch_execz .LBB4_1822
.LBB4_1797:                             ;   in Loop: Header=BB4_1676 Depth=3
	s_delay_alu instid0(VALU_DEP_1) | instskip(SKIP_2) | instid1(VALU_DEP_1)
	v_dual_ashrrev_i32 v9, 31, v18 :: v_dual_lshlrev_b32 v10, 8, v8
	s_mov_b32 s14, 0
	s_mov_b32 s13, exec_lo
                                        ; implicit-def: $vgpr22
                                        ; implicit-def: $vgpr23
                                        ; implicit-def: $vgpr43
                                        ; implicit-def: $vgpr58
	v_dual_lshlrev_b32 v11, 1, v20 :: v_dual_lshrrev_b32 v9, 24, v9
	s_delay_alu instid0(VALU_DEP_1) | instskip(NEXT) | instid1(VALU_DEP_1)
	v_add3_u32 v12, v19, v11, v10
	v_dual_add_nc_u32 v9, v18, v9 :: v_dual_ashrrev_i32 v13, 31, v12
	s_delay_alu instid0(VALU_DEP_1) | instskip(NEXT) | instid1(VALU_DEP_2)
	v_ashrrev_i32_e32 v21, 8, v9
	v_add_nc_u64_e32 v[10:11], v[56:57], v[12:13]
	s_delay_alu instid0(VALU_DEP_2) | instskip(SKIP_1) | instid1(VALU_DEP_2)
	v_sub_nc_u32_e32 v59, v21, v8
	v_add_nc_u64_e32 v[8:9], v[16:17], v[12:13]
	v_cmpx_lt_i32_e32 0, v59
	s_cbranch_execz .LBB4_1805
; %bb.1798:                             ;   in Loop: Header=BB4_1676 Depth=3
	v_add_nc_u64_e32 v[12:13], v[12:13], v[46:47]
	s_mov_b32 s41, 0
                                        ; implicit-def: $sgpr40
                                        ; implicit-def: $vgpr22
                                        ; implicit-def: $vgpr23
                                        ; implicit-def: $vgpr43
                                        ; implicit-def: $vgpr58
	s_branch .LBB4_1800
.LBB4_1799:                             ;   in Loop: Header=BB4_1800 Depth=4
	s_or_b32 exec_lo, exec_lo, s91
	v_add_nc_u64_e32 v[90:91], 0x100, v[10:11]
	v_add_nc_u64_e32 v[92:93], 0x100, v[8:9]
	s_wait_loadcnt_dscnt 0x303
	flat_store_b16 v[10:11], v60 th:TH_STORE_NT
	s_wait_loadcnt_dscnt 0x203
	flat_store_b16 v[10:11], v61 offset:64 th:TH_STORE_NT
	s_wait_loadcnt_dscnt 0x103
	flat_store_b16 v[10:11], v62 offset:128 th:TH_STORE_NT
	;; [unrolled: 2-line block ×3, first 2 shown]
	v_add_nc_u64_e32 v[12:13], v[12:13], v[14:15]
	s_clause 0x3
	flat_store_b16 v[8:9], v60 th:TH_STORE_NT
	flat_store_b16 v[8:9], v61 offset:64 th:TH_STORE_NT
	flat_store_b16 v[8:9], v62 offset:128 th:TH_STORE_NT
	;; [unrolled: 1-line block ×3, first 2 shown]
	s_wait_xcnt 0x4
	v_add_nc_u64_e32 v[10:11], v[90:91], v[80:81]
	v_sub_nc_u32_e32 v59, v59, v89
	v_add_nc_u64_e32 v[94:95], v[92:93], v[80:81]
	s_delay_alu instid0(VALU_DEP_3) | instskip(NEXT) | instid1(VALU_DEP_3)
	v_cndmask_b32_e64 v10, v90, v10, s41
	v_cmp_gt_i32_e32 vcc_lo, 1, v59
	s_wait_xcnt 0x0
	s_delay_alu instid0(VALU_DEP_3) | instskip(NEXT) | instid1(VALU_DEP_4)
	v_dual_cndmask_b32 v11, v91, v11, s41 :: v_dual_cndmask_b32 v8, v92, v94, s41
	v_cndmask_b32_e64 v9, v93, v95, s41
	s_or_b32 s14, vcc_lo, s14
	s_and_not1_b32 s40, s40, exec_lo
	s_and_b32 s91, s41, exec_lo
	s_delay_alu instid0(SALU_CYCLE_1)
	s_or_b32 s40, s40, s91
	s_and_not1_b32 exec_lo, exec_lo, s14
	s_cbranch_execz .LBB4_1804
.LBB4_1800:                             ;   Parent Loop BB4_47 Depth=1
                                        ;     Parent Loop BB4_1673 Depth=2
                                        ;       Parent Loop BB4_1676 Depth=3
                                        ; =>      This Inner Loop Header: Depth=4
	s_clause 0x3
	flat_load_u16 v60, v[12:13] th:TH_LOAD_NT
	flat_load_u16 v61, v[12:13] offset:64 th:TH_LOAD_NT
	flat_load_u16 v62, v[12:13] offset:128 th:TH_LOAD_NT
	;; [unrolled: 1-line block ×3, first 2 shown]
	s_wait_xcnt 0x0
	s_and_saveexec_b32 s91, s41
	s_cbranch_execz .LBB4_1802
; %bb.1801:                             ;   in Loop: Header=BB4_1800 Depth=4
	s_clause 0x3
	flat_store_b16 v[10:11], v22 th:TH_STORE_NT
	flat_store_b16 v[10:11], v23 offset:64 th:TH_STORE_NT
	flat_store_b16 v[10:11], v43 offset:128 th:TH_STORE_NT
	;; [unrolled: 1-line block ×3, first 2 shown]
	s_clause 0x3
	flat_store_b16 v[8:9], v22 th:TH_STORE_NT
	flat_store_b16 v[8:9], v23 offset:64 th:TH_STORE_NT
	flat_store_b16 v[8:9], v43 offset:128 th:TH_STORE_NT
	;; [unrolled: 1-line block ×3, first 2 shown]
	s_wait_xcnt 0x4
	v_add_nc_u64_e32 v[10:11], v[10:11], v[96:97]
	s_wait_xcnt 0x0
	v_add_nc_u64_e32 v[8:9], v[8:9], v[96:97]
.LBB4_1802:                             ;   in Loop: Header=BB4_1800 Depth=4
	s_or_b32 exec_lo, exec_lo, s91
	v_dual_sub_nc_u32 v59, v59, v52 :: v_dual_mov_b32 v89, 0
	v_add_nc_u64_e32 v[12:13], v[12:13], v[96:97]
	v_mov_b64_e32 v[14:15], 0
	s_delay_alu instid0(VALU_DEP_3)
	v_cmp_lt_i32_e64 s41, 0, v59
	s_and_saveexec_b32 s91, s41
	s_cbranch_execz .LBB4_1799
; %bb.1803:                             ;   in Loop: Header=BB4_1800 Depth=4
	s_clause 0x3
	flat_load_u16 v22, v[12:13] th:TH_LOAD_NT
	flat_load_u16 v23, v[12:13] offset:64 th:TH_LOAD_NT
	flat_load_u16 v43, v[12:13] offset:128 th:TH_LOAD_NT
	flat_load_u16 v58, v[12:13] offset:192 th:TH_LOAD_NT
	s_wait_xcnt 0x0
	v_add_nc_u64_e32 v[12:13], 0x100, v[12:13]
	v_mov_b64_e32 v[14:15], v[80:81]
	v_mov_b32_e32 v89, v52
	s_branch .LBB4_1799
.LBB4_1804:                             ;   in Loop: Header=BB4_1676 Depth=3
	s_or_b32 exec_lo, exec_lo, s14
	s_delay_alu instid0(SALU_CYCLE_1)
	s_and_b32 s14, s40, exec_lo
.LBB4_1805:                             ;   in Loop: Header=BB4_1676 Depth=3
	s_or_b32 exec_lo, exec_lo, s13
	s_and_saveexec_b32 s13, s14
	s_cbranch_execz .LBB4_1807
; %bb.1806:                             ;   in Loop: Header=BB4_1676 Depth=3
	s_clause 0x3
	flat_store_b16 v[10:11], v22 th:TH_STORE_NT
	flat_store_b16 v[10:11], v23 offset:64 th:TH_STORE_NT
	flat_store_b16 v[10:11], v43 offset:128 th:TH_STORE_NT
	flat_store_b16 v[10:11], v58 offset:192 th:TH_STORE_NT
	s_clause 0x3
	flat_store_b16 v[8:9], v22 th:TH_STORE_NT
	flat_store_b16 v[8:9], v23 offset:64 th:TH_STORE_NT
	flat_store_b16 v[8:9], v43 offset:128 th:TH_STORE_NT
	;; [unrolled: 1-line block ×3, first 2 shown]
.LBB4_1807:                             ;   in Loop: Header=BB4_1676 Depth=3
	s_wait_xcnt 0x0
	s_or_b32 exec_lo, exec_lo, s13
	v_lshlrev_b32_e32 v8, 8, v21
	s_delay_alu instid0(VALU_DEP_1)
	v_cmp_ne_u32_e32 vcc_lo, v18, v8
	s_and_b32 exec_lo, exec_lo, vcc_lo
	s_cbranch_execz .LBB4_1822
; %bb.1808:                             ;   in Loop: Header=BB4_1676 Depth=3
	v_lshlrev_b32_e32 v9, 5, v59
	s_delay_alu instid0(VALU_DEP_1) | instskip(NEXT) | instid1(VALU_DEP_1)
	v_sub_nc_u32_e32 v9, v20, v9
	v_ashrrev_i32_e32 v10, 31, v9
	s_delay_alu instid0(VALU_DEP_1) | instskip(NEXT) | instid1(VALU_DEP_1)
	v_lshrrev_b32_e32 v10, 27, v10
	v_add_nc_u32_e32 v10, v9, v10
	s_delay_alu instid0(VALU_DEP_1) | instskip(NEXT) | instid1(VALU_DEP_1)
	v_and_b32_e32 v11, 0x7fffffe0, v10
	v_dual_lshlrev_b32 v10, 1, v10 :: v_dual_sub_nc_u32 v9, v9, v11
	s_delay_alu instid0(VALU_DEP_1) | instskip(NEXT) | instid1(VALU_DEP_2)
	v_and_b32_e32 v10, 0xffffffc0, v10
	v_lshlrev_b32_e32 v9, 1, v9
	s_delay_alu instid0(VALU_DEP_1) | instskip(NEXT) | instid1(VALU_DEP_1)
	v_add3_u32 v8, v10, v9, v8
	v_sub_nc_u32_e32 v20, v18, v8
	s_delay_alu instid0(VALU_DEP_1)
	v_cmp_lt_i32_e32 vcc_lo, 1, v20
	s_and_b32 exec_lo, exec_lo, vcc_lo
	s_cbranch_execz .LBB4_1822
; %bb.1809:                             ;   in Loop: Header=BB4_1676 Depth=3
	v_add_nc_u32_e32 v12, v8, v19
	s_mov_b32 s93, 0
	s_mov_b32 s91, 0
                                        ; implicit-def: $sgpr92
                                        ; implicit-def: $vgpr18
	s_delay_alu instid0(VALU_DEP_1) | instskip(NEXT) | instid1(VALU_DEP_1)
	v_ashrrev_i32_e32 v13, 31, v12
	v_add_nc_u64_e32 v[8:9], v[56:57], v[12:13]
	v_add_nc_u64_e32 v[10:11], v[16:17], v[12:13]
	;; [unrolled: 1-line block ×3, first 2 shown]
.LBB4_1810:                             ;   Parent Loop BB4_47 Depth=1
                                        ;     Parent Loop BB4_1673 Depth=2
                                        ;       Parent Loop BB4_1676 Depth=3
                                        ; =>      This Loop Header: Depth=4
                                        ;           Child Loop BB4_1812 Depth 5
                                        ;           Child Loop BB4_1817 Depth 5
	flat_load_u16 v14, v[12:13] th:TH_LOAD_NT
	s_wait_xcnt 0x0
	s_and_saveexec_b32 s94, s93
	s_cbranch_execz .LBB4_1814
; %bb.1811:                             ;   in Loop: Header=BB4_1810 Depth=4
	s_mov_b64 s[40:41], 0
	s_mov_b32 s93, -1
.LBB4_1812:                             ;   Parent Loop BB4_47 Depth=1
                                        ;     Parent Loop BB4_1673 Depth=2
                                        ;       Parent Loop BB4_1676 Depth=3
                                        ;         Parent Loop BB4_1810 Depth=4
                                        ; =>        This Inner Loop Header: Depth=5
	s_cmp_eq_u32 s40, 1
	s_cselect_b32 vcc_lo, -1, 0
	s_cmp_eq_u32 s40, 0
	s_wait_xcnt 0x0
	v_dual_cndmask_b32 v17, v9, v11 :: v_dual_cndmask_b32 v16, v8, v10
	s_cselect_b32 s13, -1, 0
	s_and_b32 s14, exec_lo, s93
	s_mov_b64 s[40:41], 1
	s_mov_b32 s93, 0
	v_add_nc_u64_e32 v[22:23], 64, v[16:17]
	flat_store_b16 v[16:17], v18 th:TH_STORE_NT
	v_dual_cndmask_b32 v11, v11, v23 :: v_dual_cndmask_b32 v10, v10, v22
	v_dual_cndmask_b32 v9, v9, v23, s13 :: v_dual_cndmask_b32 v8, v8, v22, s13
	s_mov_b32 vcc_lo, s14
	s_cbranch_vccnz .LBB4_1812
; %bb.1813:                             ;   in Loop: Header=BB4_1810 Depth=4
	s_delay_alu instid0(VALU_DEP_1)
	v_add_nc_u64_e32 v[8:9], v[8:9], v[84:85]
	v_add_nc_u64_e32 v[10:11], v[10:11], v[84:85]
.LBB4_1814:                             ;   in Loop: Header=BB4_1810 Depth=4
	s_wait_xcnt 0x0
	s_or_b32 exec_lo, exec_lo, s94
	v_sub_nc_u32_e32 v16, v20, v77
	v_add_nc_u64_e32 v[12:13], v[100:101], v[12:13]
	s_delay_alu instid0(VALU_DEP_2)
	v_cmp_lt_i32_e64 s93, 1, v16
	s_and_saveexec_b32 s13, s93
	s_cbranch_execz .LBB4_1816
; %bb.1815:                             ;   in Loop: Header=BB4_1810 Depth=4
	flat_load_u16 v18, v[12:13] th:TH_LOAD_NT
	s_wait_xcnt 0x0
	v_add_nc_u64_e32 v[12:13], 64, v[12:13]
.LBB4_1816:                             ;   in Loop: Header=BB4_1810 Depth=4
	s_or_b32 exec_lo, exec_lo, s13
	s_mov_b64 s[40:41], 0
	s_mov_b32 s94, -1
.LBB4_1817:                             ;   Parent Loop BB4_47 Depth=1
                                        ;     Parent Loop BB4_1673 Depth=2
                                        ;       Parent Loop BB4_1676 Depth=3
                                        ;         Parent Loop BB4_1810 Depth=4
                                        ; =>        This Inner Loop Header: Depth=5
	s_cmp_eq_u32 s40, 1
	s_cselect_b32 vcc_lo, -1, 0
	s_cmp_eq_u32 s40, 0
	s_wait_xcnt 0x0
	v_dual_cndmask_b32 v21, v9, v11 :: v_dual_cndmask_b32 v20, v8, v10
	s_cselect_b32 s13, -1, 0
	s_and_b32 s14, exec_lo, s94
	s_mov_b64 s[40:41], 1
	s_mov_b32 s94, 0
	v_add_nc_u64_e32 v[22:23], 64, v[20:21]
	s_wait_loadcnt_dscnt 0x0
	flat_store_b16 v[20:21], v14 th:TH_STORE_NT
	v_dual_cndmask_b32 v11, v11, v23 :: v_dual_cndmask_b32 v10, v10, v22
	v_dual_cndmask_b32 v9, v9, v23, s13 :: v_dual_cndmask_b32 v8, v8, v22, s13
	s_mov_b32 vcc_lo, s14
	s_cbranch_vccnz .LBB4_1817
; %bb.1818:                             ;   in Loop: Header=BB4_1810 Depth=4
	v_dual_cndmask_b32 v17, 0, v77, s93 :: v_dual_cndmask_b32 v22, 0, v84, s93
	s_wait_xcnt 0x0
	v_add_nc_u64_e32 v[14:15], v[10:11], v[84:85]
	v_cndmask_b32_e64 v23, 0, v85, s93
	s_delay_alu instid0(VALU_DEP_3) | instskip(SKIP_1) | instid1(VALU_DEP_4)
	v_sub_nc_u32_e32 v20, v16, v17
	v_add_nc_u64_e32 v[16:17], v[8:9], v[84:85]
	v_cndmask_b32_e64 v10, v10, v14, s93
	s_delay_alu instid0(VALU_DEP_3)
	v_cmp_gt_i32_e32 vcc_lo, 2, v20
	v_cndmask_b32_e64 v11, v11, v15, s93
	v_add_nc_u64_e32 v[12:13], v[12:13], v[22:23]
	v_dual_cndmask_b32 v9, v9, v17, s93 :: v_dual_cndmask_b32 v8, v8, v16, s93
	s_or_b32 s91, vcc_lo, s91
	s_and_not1_b32 s13, s92, exec_lo
	s_and_b32 s14, s93, exec_lo
	s_delay_alu instid0(SALU_CYCLE_1)
	s_or_b32 s92, s13, s14
	s_and_not1_b32 exec_lo, exec_lo, s91
	s_cbranch_execnz .LBB4_1810
; %bb.1819:                             ;   in Loop: Header=BB4_1676 Depth=3
	s_or_b32 exec_lo, exec_lo, s91
	s_delay_alu instid0(SALU_CYCLE_1)
	s_and_b32 exec_lo, exec_lo, s92
	s_cbranch_execz .LBB4_1822
; %bb.1820:                             ;   in Loop: Header=BB4_1676 Depth=3
	s_mov_b64 s[40:41], 0
	s_mov_b32 s91, -1
.LBB4_1821:                             ;   Parent Loop BB4_47 Depth=1
                                        ;     Parent Loop BB4_1673 Depth=2
                                        ;       Parent Loop BB4_1676 Depth=3
                                        ; =>      This Inner Loop Header: Depth=4
	s_cmp_eq_u32 s40, 1
	s_cselect_b32 vcc_lo, -1, 0
	s_cmp_eq_u32 s40, 0
	s_wait_xcnt 0x0
	v_dual_cndmask_b32 v9, v17, v15 :: v_dual_cndmask_b32 v8, v16, v14
	s_cselect_b32 s13, -1, 0
	s_and_b32 s14, exec_lo, s91
	s_mov_b64 s[40:41], 1
	s_mov_b32 s91, 0
	v_add_nc_u64_e32 v[10:11], 64, v[8:9]
	flat_store_b16 v[8:9], v18 th:TH_STORE_NT
	v_dual_cndmask_b32 v17, v17, v11, s13 :: v_dual_cndmask_b32 v16, v16, v10, s13
	v_dual_cndmask_b32 v15, v15, v11 :: v_dual_cndmask_b32 v14, v14, v10
	s_mov_b32 vcc_lo, s14
	s_cbranch_vccnz .LBB4_1821
.LBB4_1822:                             ;   in Loop: Header=BB4_1676 Depth=3
	s_wait_xcnt 0x0
	s_or_b32 exec_lo, exec_lo, s15
	s_mov_b32 s13, 0
.LBB4_1823:                             ;   in Loop: Header=BB4_1676 Depth=3
	s_delay_alu instid0(SALU_CYCLE_1)
	s_and_b32 vcc_lo, exec_lo, s13
	s_cbranch_vccz .LBB4_1837
; %bb.1824:                             ;   in Loop: Header=BB4_1676 Depth=3
	s_mov_b32 s13, -1
	s_and_saveexec_b32 s14, s11
	s_cbranch_execz .LBB4_1826
; %bb.1825:                             ;   in Loop: Header=BB4_1676 Depth=3
	ds_load_b32 v8, v0 offset:720
	s_wait_dscnt 0x0
	v_and_b32_e32 v8, 15, v8
	s_delay_alu instid0(VALU_DEP_1)
	v_cmp_eq_u32_e32 vcc_lo, 0, v8
	s_or_not1_b32 s13, vcc_lo, exec_lo
.LBB4_1826:                             ;   in Loop: Header=BB4_1676 Depth=3
	s_or_b32 exec_lo, exec_lo, s14
	s_and_saveexec_b32 s14, s10
	s_cbranch_execz .LBB4_1828
; %bb.1827:                             ;   in Loop: Header=BB4_1676 Depth=3
	ds_load_b32 v8, v0 offset:784
	s_wait_dscnt 0x0
	v_and_b32_e32 v8, 15, v8
	s_delay_alu instid0(VALU_DEP_1) | instskip(SKIP_3) | instid1(SALU_CYCLE_1)
	v_cmp_eq_u32_e32 vcc_lo, 0, v8
	s_and_b32 s15, s13, vcc_lo
	s_and_not1_b32 s13, s13, exec_lo
	s_and_b32 s15, s15, exec_lo
	s_or_b32 s13, s13, s15
.LBB4_1828:                             ;   in Loop: Header=BB4_1676 Depth=3
	s_or_b32 exec_lo, exec_lo, s14
	s_xor_b32 s13, s13, -1
	s_delay_alu instid0(SALU_CYCLE_1) | instskip(SKIP_1) | instid1(VALU_DEP_1)
	v_cndmask_b32_e64 v8, 0, 1, s13
	s_mov_b32 s13, -1
	v_cmp_ne_u32_e32 vcc_lo, 0, v8
	s_cbranch_vccz .LBB4_1838
; %bb.1829:                             ;   in Loop: Header=BB4_1676 Depth=3
	s_mov_b32 s14, -1
	v_mov_b32_e32 v14, 0
	s_cbranch_execnz .LBB4_1839
.LBB4_1830:                             ;   in Loop: Header=BB4_1676 Depth=3
	v_ashrrev_i32_e32 v8, 31, v41
	v_add_nc_u64_e32 v[58:59], v[56:57], v[102:103]
	s_mov_b32 s15, 0
	s_mov_b32 s13, exec_lo
                                        ; implicit-def: $vgpr12_vgpr13
	s_delay_alu instid0(VALU_DEP_2) | instskip(NEXT) | instid1(VALU_DEP_1)
	v_lshrrev_b32_e32 v8, 22, v8
	v_add_nc_u32_e32 v8, v41, v8
	s_delay_alu instid0(VALU_DEP_1) | instskip(NEXT) | instid1(VALU_DEP_1)
	v_ashrrev_i32_e32 v43, 10, v8
                                        ; implicit-def: $vgpr8_vgpr9
	v_sub_nc_u32_e32 v89, v43, v78
	s_delay_alu instid0(VALU_DEP_1)
	v_cmpx_lt_i32_e32 0, v89
	s_cbranch_execz .LBB4_1841
; %bb.1831:                             ;   in Loop: Header=BB4_1676 Depth=3
	v_add_nc_u64_e32 v[60:61], v[46:47], v[102:103]
	s_mov_b32 s41, 0
                                        ; implicit-def: $sgpr40
                                        ; implicit-def: $vgpr8_vgpr9
                                        ; implicit-def: $vgpr12_vgpr13
	s_branch .LBB4_1833
.LBB4_1832:                             ;   in Loop: Header=BB4_1833 Depth=4
	s_or_b32 exec_lo, exec_lo, s91
	s_delay_alu instid0(VALU_DEP_1) | instskip(NEXT) | instid1(VALU_DEP_3)
	v_sub_nc_u32_e32 v89, v89, v90
	v_add_nc_u64_e32 v[90:91], v[58:59], v[62:63]
	s_wait_loadcnt 0x1
	global_store_b128 v[58:59], v[16:19], off th:TH_STORE_NT
	s_wait_loadcnt 0x0
	global_store_b128 v[58:59], v[20:23], off offset:512 th:TH_STORE_NT
	v_add_nc_u64_e32 v[60:61], v[60:61], v[62:63]
	v_cmp_gt_i32_e32 vcc_lo, 1, v89
	s_wait_xcnt 0x0
	v_add_nc_u64_e32 v[58:59], 0x400, v[90:91]
	s_or_b32 s15, vcc_lo, s15
	s_and_not1_b32 s40, s40, exec_lo
	s_and_b32 s91, s41, exec_lo
	s_delay_alu instid0(SALU_CYCLE_1)
	s_or_b32 s40, s40, s91
	s_and_not1_b32 exec_lo, exec_lo, s15
	s_cbranch_execz .LBB4_1840
.LBB4_1833:                             ;   Parent Loop BB4_47 Depth=1
                                        ;     Parent Loop BB4_1673 Depth=2
                                        ;       Parent Loop BB4_1676 Depth=3
                                        ; =>      This Inner Loop Header: Depth=4
	s_clause 0x1
	global_load_b128 v[16:19], v[60:61], off th:TH_LOAD_NT
	global_load_b128 v[20:23], v[60:61], off offset:512 th:TH_LOAD_NT
	s_wait_xcnt 0x0
	s_and_saveexec_b32 s91, s41
	s_cbranch_execz .LBB4_1835
; %bb.1834:                             ;   in Loop: Header=BB4_1833 Depth=4
	v_add_nc_u64_e32 v[62:63], v[58:59], v[86:87]
	s_clause 0x1
	global_store_b128 v[58:59], v[8:11], off th:TH_STORE_NT
	global_store_b128 v[58:59], v[12:15], off offset:512 th:TH_STORE_NT
	s_wait_xcnt 0x0
	v_mov_b64_e32 v[58:59], v[62:63]
.LBB4_1835:                             ;   in Loop: Header=BB4_1833 Depth=4
	s_or_b32 exec_lo, exec_lo, s91
	v_dual_mov_b32 v90, 0 :: v_dual_sub_nc_u32 v89, v89, v52
	v_add_nc_u64_e32 v[60:61], v[60:61], v[86:87]
	v_mov_b64_e32 v[62:63], 0
	s_delay_alu instid0(VALU_DEP_3)
	v_cmp_lt_i32_e64 s41, 0, v89
	s_and_saveexec_b32 s91, s41
	s_cbranch_execz .LBB4_1832
; %bb.1836:                             ;   in Loop: Header=BB4_1833 Depth=4
	s_clause 0x1
	global_load_b128 v[8:11], v[60:61], off th:TH_LOAD_NT
	global_load_b128 v[12:15], v[60:61], off offset:512 th:TH_LOAD_NT
	s_wait_xcnt 0x0
	v_add_nc_u64_e32 v[60:61], 0x400, v[60:61]
	v_mov_b64_e32 v[62:63], v[70:71]
	v_mov_b32_e32 v90, v52
	s_branch .LBB4_1832
.LBB4_1837:                             ;   in Loop: Header=BB4_1676 Depth=3
	v_cmp_lt_i32_e64 s13, 0, v2
	s_and_saveexec_b32 s14, s2
	s_cbranch_execnz .LBB4_1881
	s_branch .LBB4_1765
.LBB4_1838:                             ;   in Loop: Header=BB4_1676 Depth=3
	s_mov_b32 s14, 0
	v_mov_b32_e32 v14, 0
	s_and_not1_b32 vcc_lo, exec_lo, s13
	s_cbranch_vccz .LBB4_1830
.LBB4_1839:                             ;   in Loop: Header=BB4_1676 Depth=3
	v_dual_mov_b32 v15, v0 :: v_dual_mov_b32 v8, v78
	s_and_saveexec_b32 s13, s14
	s_cbranch_execnz .LBB4_1860
	s_branch .LBB4_1880
.LBB4_1840:                             ;   in Loop: Header=BB4_1676 Depth=3
	s_or_b32 exec_lo, exec_lo, s15
	s_delay_alu instid0(SALU_CYCLE_1)
	s_and_b32 s15, s40, exec_lo
.LBB4_1841:                             ;   in Loop: Header=BB4_1676 Depth=3
	s_or_b32 exec_lo, exec_lo, s13
	s_and_saveexec_b32 s13, s15
	s_cbranch_execz .LBB4_1843
; %bb.1842:                             ;   in Loop: Header=BB4_1676 Depth=3
	s_clause 0x1
	global_store_b128 v[58:59], v[8:11], off th:TH_STORE_NT
	global_store_b128 v[58:59], v[12:15], off offset:512 th:TH_STORE_NT
.LBB4_1843:                             ;   in Loop: Header=BB4_1676 Depth=3
	s_wait_xcnt 0x0
	s_or_b32 exec_lo, exec_lo, s13
	v_lshlrev_b32_e32 v20, 10, v43
	s_mov_b32 s15, exec_lo
                                        ; implicit-def: $vgpr14
                                        ; implicit-def: $vgpr15
                                        ; implicit-def: $vgpr8
	s_delay_alu instid0(VALU_DEP_1)
	v_cmpx_ne_u32_e64 v41, v20
	s_cbranch_execz .LBB4_1859
; %bb.1844:                             ;   in Loop: Header=BB4_1676 Depth=3
	v_dual_lshlrev_b32 v8, 5, v89 :: v_dual_sub_nc_u32 v12, v41, v20
	s_mov_b32 s41, 0
	s_mov_b32 s40, exec_lo
	s_delay_alu instid0(VALU_DEP_1) | instskip(NEXT) | instid1(VALU_DEP_2)
	v_sub_nc_u32_e32 v8, v0, v8
	v_ashrrev_i32_e32 v11, 31, v12
	s_delay_alu instid0(VALU_DEP_2) | instskip(NEXT) | instid1(VALU_DEP_1)
	v_ashrrev_i32_e32 v9, 31, v8
	v_lshrrev_b32_e32 v9, 27, v9
	s_delay_alu instid0(VALU_DEP_1) | instskip(NEXT) | instid1(VALU_DEP_1)
	v_add_nc_u32_e32 v9, v8, v9
	v_and_b32_e32 v10, 0xffffffe0, v9
	s_delay_alu instid0(VALU_DEP_1) | instskip(NEXT) | instid1(VALU_DEP_1)
	v_dual_ashrrev_i32 v9, 5, v9 :: v_dual_sub_nc_u32 v22, v8, v10
	v_dual_lshrrev_b32 v8, 23, v11 :: v_dual_lshlrev_b32 v10, 4, v22
	s_delay_alu instid0(VALU_DEP_1) | instskip(NEXT) | instid1(VALU_DEP_2)
	v_add_nc_u32_e32 v8, v12, v8
	v_lshl_add_u32 v13, v9, 9, v10
	s_delay_alu instid0(VALU_DEP_2) | instskip(NEXT) | instid1(VALU_DEP_1)
	v_and_b32_e32 v21, 0xfffffe00, v8
	v_dual_add_nc_u32 v10, v13, v20 :: v_dual_sub_nc_u32 v23, v12, v21
	v_dual_ashrrev_i32 v8, 9, v8 :: v_dual_sub_nc_u32 v58, v12, v13
	s_delay_alu instid0(VALU_DEP_2) | instskip(NEXT) | instid1(VALU_DEP_3)
	v_ashrrev_i32_e32 v11, 31, v10
	v_cmp_lt_i32_e32 vcc_lo, 15, v23
	s_delay_alu instid0(VALU_DEP_2) | instskip(NEXT) | instid1(VALU_DEP_4)
	v_add_nc_u64_e32 v[16:17], v[10:11], v[56:57]
	v_add_co_ci_u32_e64 v8, null, 0, v8, vcc_lo
	s_delay_alu instid0(VALU_DEP_1)
	v_sub_nc_u32_e32 v43, v8, v9
                                        ; implicit-def: $vgpr8_vgpr9
	v_cmpx_lt_i32_e32 15, v58
	s_cbranch_execz .LBB4_1854
; %bb.1845:                             ;   in Loop: Header=BB4_1676 Depth=3
	v_add_nc_u64_e32 v[18:19], v[10:11], v[46:47]
	s_mov_b32 s92, 0
                                        ; implicit-def: $sgpr91
                                        ; implicit-def: $vgpr8_vgpr9
	s_branch .LBB4_1847
.LBB4_1846:                             ;   in Loop: Header=BB4_1847 Depth=4
	s_or_b32 exec_lo, exec_lo, s13
	s_delay_alu instid0(VALU_DEP_1) | instskip(SKIP_3) | instid1(SALU_CYCLE_1)
	v_cmp_gt_i32_e64 s13, 16, v58
	s_or_b32 s41, s13, s41
	s_and_not1_b32 s13, s91, exec_lo
	s_and_b32 s91, s92, exec_lo
	s_or_b32 s91, s13, s91
	s_and_not1_b32 exec_lo, exec_lo, s41
	s_cbranch_execz .LBB4_1853
.LBB4_1847:                             ;   Parent Loop BB4_47 Depth=1
                                        ;     Parent Loop BB4_1673 Depth=2
                                        ;       Parent Loop BB4_1676 Depth=3
                                        ; =>      This Inner Loop Header: Depth=4
	global_load_b128 v[12:15], v[18:19], off th:TH_LOAD_NT
	s_wait_xcnt 0x0
	s_and_saveexec_b32 s13, s92
	s_cbranch_execz .LBB4_1849
; %bb.1848:                             ;   in Loop: Header=BB4_1847 Depth=4
	v_add_nc_u64_e32 v[60:61], v[16:17], v[98:99]
	global_store_b128 v[16:17], v[8:11], off th:TH_STORE_NT
	s_wait_xcnt 0x0
	v_mov_b64_e32 v[16:17], v[60:61]
.LBB4_1849:                             ;   in Loop: Header=BB4_1847 Depth=4
	s_or_b32 exec_lo, exec_lo, s13
	v_sub_nc_u32_e32 v58, v58, v76
	v_add_nc_u64_e32 v[18:19], v[18:19], v[98:99]
	s_delay_alu instid0(VALU_DEP_2)
	v_cmp_lt_i32_e64 s92, 15, v58
	s_and_saveexec_b32 s13, s92
	s_cbranch_execz .LBB4_1851
; %bb.1850:                             ;   in Loop: Header=BB4_1847 Depth=4
	global_load_b128 v[8:11], v[18:19], off th:TH_LOAD_NT
	s_wait_xcnt 0x0
	v_add_nc_u64_e32 v[18:19], 0x200, v[18:19]
.LBB4_1851:                             ;   in Loop: Header=BB4_1847 Depth=4
	s_or_b32 exec_lo, exec_lo, s13
	s_wait_loadcnt 0x0
	global_store_b128 v[16:17], v[12:15], off th:TH_STORE_NT
	s_wait_xcnt 0x0
	v_add_nc_u64_e32 v[16:17], 0x200, v[16:17]
	v_sub_nc_u32_e32 v43, v43, v52
	s_and_saveexec_b32 s13, s92
	s_cbranch_execz .LBB4_1846
; %bb.1852:                             ;   in Loop: Header=BB4_1847 Depth=4
	v_add_nc_u64_e32 v[18:19], v[18:19], v[82:83]
	s_delay_alu instid0(VALU_DEP_3)
	v_add_nc_u64_e32 v[16:17], v[16:17], v[82:83]
	v_sub_nc_u32_e32 v43, v43, v52
	v_sub_nc_u32_e32 v58, v58, v76
	s_branch .LBB4_1846
.LBB4_1853:                             ;   in Loop: Header=BB4_1676 Depth=3
	s_or_b32 exec_lo, exec_lo, s41
	s_delay_alu instid0(SALU_CYCLE_1)
	s_and_b32 s41, s91, exec_lo
.LBB4_1854:                             ;   in Loop: Header=BB4_1676 Depth=3
	s_or_b32 exec_lo, exec_lo, s40
	s_and_saveexec_b32 s13, s41
	s_cbranch_execz .LBB4_1856
; %bb.1855:                             ;   in Loop: Header=BB4_1676 Depth=3
	global_store_b128 v[16:17], v[8:11], off th:TH_STORE_NT
.LBB4_1856:                             ;   in Loop: Header=BB4_1676 Depth=3
	s_wait_xcnt 0x0
	s_or_b32 exec_lo, exec_lo, s13
	v_and_b32_e32 v9, 14, v41
	s_mov_b32 s41, s14
	s_mov_b32 s40, exec_lo
                                        ; implicit-def: $vgpr14
                                        ; implicit-def: $vgpr15
                                        ; implicit-def: $vgpr8
	s_delay_alu instid0(VALU_DEP_1) | instskip(NEXT) | instid1(VALU_DEP_1)
	v_cndmask_b32_e32 v41, v23, v9, vcc_lo
	v_cmpx_ne_u32_e32 0, v41
	s_cbranch_execz .LBB4_1858
; %bb.1857:                             ;   in Loop: Header=BB4_1676 Depth=3
	v_cmp_lt_i32_e64 s13, 0, v43
	s_or_b32 s41, s14, exec_lo
	v_dual_sub_nc_u32 v9, v23, v9 :: v_dual_cndmask_b32 v8, 0, v52, s13
	s_delay_alu instid0(VALU_DEP_1) | instskip(NEXT) | instid1(VALU_DEP_1)
	v_dual_cndmask_b32 v9, 0, v9 :: v_dual_sub_nc_u32 v8, v8, v43
	v_add3_u32 v14, v21, v20, v9
	s_delay_alu instid0(VALU_DEP_2) | instskip(NEXT) | instid1(VALU_DEP_1)
	v_lshl_add_u32 v10, v8, 5, v22
	v_ashrrev_i32_e32 v8, 31, v10
	s_delay_alu instid0(VALU_DEP_1) | instskip(NEXT) | instid1(VALU_DEP_1)
	v_lshrrev_b32_e32 v8, 27, v8
	v_add_nc_u32_e32 v8, v10, v8
	s_delay_alu instid0(VALU_DEP_1) | instskip(NEXT) | instid1(VALU_DEP_1)
	v_and_b32_e32 v11, 0xffffffe0, v8
	v_dual_ashrrev_i32 v8, 5, v8 :: v_dual_sub_nc_u32 v15, v10, v11
.LBB4_1858:                             ;   in Loop: Header=BB4_1676 Depth=3
	s_or_b32 exec_lo, exec_lo, s40
	s_delay_alu instid0(SALU_CYCLE_1) | instskip(SKIP_1) | instid1(SALU_CYCLE_1)
	s_and_not1_b32 s13, s14, exec_lo
	s_and_b32 s14, s41, exec_lo
	s_or_b32 s14, s13, s14
.LBB4_1859:                             ;   in Loop: Header=BB4_1676 Depth=3
	s_or_b32 exec_lo, exec_lo, s15
	s_and_saveexec_b32 s13, s14
	s_cbranch_execz .LBB4_1880
.LBB4_1860:                             ;   in Loop: Header=BB4_1676 Depth=3
	s_delay_alu instid0(VALU_DEP_1) | instskip(SKIP_2) | instid1(VALU_DEP_1)
	v_dual_ashrrev_i32 v9, 31, v41 :: v_dual_lshlrev_b32 v10, 8, v8
	s_mov_b32 s15, 0
	s_mov_b32 s14, exec_lo
                                        ; implicit-def: $vgpr17
                                        ; implicit-def: $vgpr18
                                        ; implicit-def: $vgpr19
                                        ; implicit-def: $vgpr20
	v_dual_lshlrev_b32 v11, 1, v15 :: v_dual_lshrrev_b32 v9, 24, v9
	s_delay_alu instid0(VALU_DEP_1) | instskip(NEXT) | instid1(VALU_DEP_1)
	v_add3_u32 v10, v14, v11, v10
	v_dual_add_nc_u32 v9, v41, v9 :: v_dual_ashrrev_i32 v11, 31, v10
	s_delay_alu instid0(VALU_DEP_1) | instskip(NEXT) | instid1(VALU_DEP_1)
	v_ashrrev_i32_e32 v16, 8, v9
	v_sub_nc_u32_e32 v21, v16, v8
	s_delay_alu instid0(VALU_DEP_3) | instskip(NEXT) | instid1(VALU_DEP_2)
	v_add_nc_u64_e32 v[8:9], v[56:57], v[10:11]
	v_cmpx_lt_i32_e32 0, v21
	s_cbranch_execz .LBB4_1868
; %bb.1861:                             ;   in Loop: Header=BB4_1676 Depth=3
	v_add_nc_u64_e32 v[10:11], v[10:11], v[46:47]
	s_mov_b32 s41, 0
                                        ; implicit-def: $sgpr40
                                        ; implicit-def: $vgpr17
                                        ; implicit-def: $vgpr18
                                        ; implicit-def: $vgpr19
                                        ; implicit-def: $vgpr20
	s_branch .LBB4_1863
.LBB4_1862:                             ;   in Loop: Header=BB4_1863 Depth=4
	s_or_b32 exec_lo, exec_lo, s91
	s_delay_alu instid0(VALU_DEP_1) | instskip(NEXT) | instid1(VALU_DEP_3)
	v_sub_nc_u32_e32 v21, v21, v59
	v_add_nc_u64_e32 v[60:61], v[8:9], v[12:13]
	s_wait_loadcnt_dscnt 0x303
	flat_store_b16 v[8:9], v22 th:TH_STORE_NT
	s_wait_loadcnt_dscnt 0x203
	flat_store_b16 v[8:9], v23 offset:64 th:TH_STORE_NT
	s_wait_loadcnt_dscnt 0x103
	flat_store_b16 v[8:9], v43 offset:128 th:TH_STORE_NT
	;; [unrolled: 2-line block ×3, first 2 shown]
	v_add_nc_u64_e32 v[10:11], v[10:11], v[12:13]
	v_cmp_gt_i32_e32 vcc_lo, 1, v21
	s_wait_xcnt 0x0
	v_add_nc_u64_e32 v[8:9], 0x100, v[60:61]
	s_or_b32 s15, vcc_lo, s15
	s_and_not1_b32 s40, s40, exec_lo
	s_and_b32 s91, s41, exec_lo
	s_delay_alu instid0(SALU_CYCLE_1)
	s_or_b32 s40, s40, s91
	s_and_not1_b32 exec_lo, exec_lo, s15
	s_cbranch_execz .LBB4_1867
.LBB4_1863:                             ;   Parent Loop BB4_47 Depth=1
                                        ;     Parent Loop BB4_1673 Depth=2
                                        ;       Parent Loop BB4_1676 Depth=3
                                        ; =>      This Inner Loop Header: Depth=4
	s_clause 0x3
	flat_load_u16 v22, v[10:11] th:TH_LOAD_NT
	flat_load_u16 v23, v[10:11] offset:64 th:TH_LOAD_NT
	flat_load_u16 v43, v[10:11] offset:128 th:TH_LOAD_NT
	;; [unrolled: 1-line block ×3, first 2 shown]
	s_wait_xcnt 0x0
	s_and_saveexec_b32 s91, s41
	s_cbranch_execz .LBB4_1865
; %bb.1864:                             ;   in Loop: Header=BB4_1863 Depth=4
	s_clause 0x3
	flat_store_b16 v[8:9], v17 th:TH_STORE_NT
	flat_store_b16 v[8:9], v18 offset:64 th:TH_STORE_NT
	flat_store_b16 v[8:9], v19 offset:128 th:TH_STORE_NT
	;; [unrolled: 1-line block ×3, first 2 shown]
	s_wait_xcnt 0x0
	v_add_nc_u64_e32 v[8:9], v[8:9], v[96:97]
.LBB4_1865:                             ;   in Loop: Header=BB4_1863 Depth=4
	s_or_b32 exec_lo, exec_lo, s91
	v_dual_sub_nc_u32 v21, v21, v52 :: v_dual_mov_b32 v59, 0
	v_add_nc_u64_e32 v[10:11], v[10:11], v[96:97]
	v_mov_b64_e32 v[12:13], 0
	s_delay_alu instid0(VALU_DEP_3)
	v_cmp_lt_i32_e64 s41, 0, v21
	s_and_saveexec_b32 s91, s41
	s_cbranch_execz .LBB4_1862
; %bb.1866:                             ;   in Loop: Header=BB4_1863 Depth=4
	s_clause 0x3
	flat_load_u16 v17, v[10:11] th:TH_LOAD_NT
	flat_load_u16 v18, v[10:11] offset:64 th:TH_LOAD_NT
	flat_load_u16 v19, v[10:11] offset:128 th:TH_LOAD_NT
	;; [unrolled: 1-line block ×3, first 2 shown]
	s_wait_xcnt 0x0
	v_add_nc_u64_e32 v[10:11], 0x100, v[10:11]
	v_mov_b64_e32 v[12:13], v[80:81]
	v_mov_b32_e32 v59, v52
	s_branch .LBB4_1862
.LBB4_1867:                             ;   in Loop: Header=BB4_1676 Depth=3
	s_or_b32 exec_lo, exec_lo, s15
	s_delay_alu instid0(SALU_CYCLE_1)
	s_and_b32 s15, s40, exec_lo
.LBB4_1868:                             ;   in Loop: Header=BB4_1676 Depth=3
	s_or_b32 exec_lo, exec_lo, s14
	s_and_saveexec_b32 s14, s15
	s_cbranch_execz .LBB4_1870
; %bb.1869:                             ;   in Loop: Header=BB4_1676 Depth=3
	s_clause 0x3
	flat_store_b16 v[8:9], v17 th:TH_STORE_NT
	flat_store_b16 v[8:9], v18 offset:64 th:TH_STORE_NT
	flat_store_b16 v[8:9], v19 offset:128 th:TH_STORE_NT
	;; [unrolled: 1-line block ×3, first 2 shown]
.LBB4_1870:                             ;   in Loop: Header=BB4_1676 Depth=3
	s_wait_xcnt 0x0
	s_or_b32 exec_lo, exec_lo, s14
	v_lshlrev_b32_e32 v8, 8, v16
	s_delay_alu instid0(VALU_DEP_1)
	v_cmp_ne_u32_e32 vcc_lo, v41, v8
	s_and_b32 exec_lo, exec_lo, vcc_lo
	s_cbranch_execz .LBB4_1880
; %bb.1871:                             ;   in Loop: Header=BB4_1676 Depth=3
	v_lshlrev_b32_e32 v9, 5, v21
	s_delay_alu instid0(VALU_DEP_1) | instskip(NEXT) | instid1(VALU_DEP_1)
	v_sub_nc_u32_e32 v9, v15, v9
	v_ashrrev_i32_e32 v10, 31, v9
	s_delay_alu instid0(VALU_DEP_1) | instskip(NEXT) | instid1(VALU_DEP_1)
	v_lshrrev_b32_e32 v10, 27, v10
	v_add_nc_u32_e32 v10, v9, v10
	s_delay_alu instid0(VALU_DEP_1) | instskip(NEXT) | instid1(VALU_DEP_1)
	v_and_b32_e32 v11, 0x7fffffe0, v10
	v_dual_lshlrev_b32 v10, 1, v10 :: v_dual_sub_nc_u32 v9, v9, v11
	s_delay_alu instid0(VALU_DEP_1) | instskip(NEXT) | instid1(VALU_DEP_2)
	v_and_b32_e32 v10, 0xffffffc0, v10
	v_lshlrev_b32_e32 v9, 1, v9
	s_delay_alu instid0(VALU_DEP_1) | instskip(NEXT) | instid1(VALU_DEP_1)
	v_add3_u32 v8, v10, v9, v8
	v_sub_nc_u32_e32 v15, v41, v8
	s_delay_alu instid0(VALU_DEP_1)
	v_cmp_lt_i32_e32 vcc_lo, 1, v15
	s_and_b32 exec_lo, exec_lo, vcc_lo
	s_cbranch_execz .LBB4_1880
; %bb.1872:                             ;   in Loop: Header=BB4_1676 Depth=3
	v_add_nc_u32_e32 v10, v8, v14
	s_mov_b32 s40, 0
	s_mov_b32 s14, 0
                                        ; implicit-def: $sgpr15
                                        ; implicit-def: $vgpr14
	s_delay_alu instid0(VALU_DEP_1) | instskip(NEXT) | instid1(VALU_DEP_1)
	v_ashrrev_i32_e32 v11, 31, v10
	v_add_nc_u64_e32 v[8:9], v[56:57], v[10:11]
	v_add_nc_u64_e32 v[10:11], v[10:11], v[46:47]
	s_branch .LBB4_1874
.LBB4_1873:                             ;   in Loop: Header=BB4_1874 Depth=4
	s_or_b32 exec_lo, exec_lo, s41
	s_delay_alu instid0(VALU_DEP_1) | instskip(NEXT) | instid1(VALU_DEP_3)
	v_sub_nc_u32_e32 v15, v15, v17
	v_add_nc_u64_e32 v[18:19], v[8:9], v[12:13]
	s_wait_loadcnt_dscnt 0x0
	flat_store_b16 v[8:9], v16 th:TH_STORE_NT
	v_add_nc_u64_e32 v[10:11], v[10:11], v[12:13]
	v_cmp_gt_i32_e32 vcc_lo, 2, v15
	s_wait_xcnt 0x0
	v_add_nc_u64_e32 v[8:9], 64, v[18:19]
	s_or_b32 s14, vcc_lo, s14
	s_and_not1_b32 s15, s15, exec_lo
	s_and_b32 s41, s40, exec_lo
	s_delay_alu instid0(SALU_CYCLE_1)
	s_or_b32 s15, s15, s41
	s_and_not1_b32 exec_lo, exec_lo, s14
	s_cbranch_execz .LBB4_1878
.LBB4_1874:                             ;   Parent Loop BB4_47 Depth=1
                                        ;     Parent Loop BB4_1673 Depth=2
                                        ;       Parent Loop BB4_1676 Depth=3
                                        ; =>      This Inner Loop Header: Depth=4
	flat_load_u16 v16, v[10:11] th:TH_LOAD_NT
	s_wait_xcnt 0x0
	s_and_saveexec_b32 s41, s40
	s_cbranch_execz .LBB4_1876
; %bb.1875:                             ;   in Loop: Header=BB4_1874 Depth=4
	v_add_nc_u64_e32 v[12:13], v[8:9], v[100:101]
	flat_store_b16 v[8:9], v14 th:TH_STORE_NT
	s_wait_xcnt 0x0
	v_mov_b64_e32 v[8:9], v[12:13]
.LBB4_1876:                             ;   in Loop: Header=BB4_1874 Depth=4
	s_or_b32 exec_lo, exec_lo, s41
	v_dual_sub_nc_u32 v15, v15, v77 :: v_dual_mov_b32 v17, 0
	v_add_nc_u64_e32 v[10:11], v[10:11], v[100:101]
	v_mov_b64_e32 v[12:13], 0
	s_delay_alu instid0(VALU_DEP_3)
	v_cmp_lt_i32_e64 s40, 1, v15
	s_and_saveexec_b32 s41, s40
	s_cbranch_execz .LBB4_1873
; %bb.1877:                             ;   in Loop: Header=BB4_1874 Depth=4
	flat_load_u16 v14, v[10:11] th:TH_LOAD_NT
	s_wait_xcnt 0x0
	v_add_nc_u64_e32 v[10:11], 64, v[10:11]
	v_mov_b64_e32 v[12:13], v[84:85]
	v_mov_b32_e32 v17, v77
	s_branch .LBB4_1873
.LBB4_1878:                             ;   in Loop: Header=BB4_1676 Depth=3
	s_or_b32 exec_lo, exec_lo, s14
	s_delay_alu instid0(SALU_CYCLE_1)
	s_and_b32 exec_lo, exec_lo, s15
	s_cbranch_execz .LBB4_1880
; %bb.1879:                             ;   in Loop: Header=BB4_1676 Depth=3
	flat_store_b16 v[8:9], v14 th:TH_STORE_NT
.LBB4_1880:                             ;   in Loop: Header=BB4_1676 Depth=3
	s_wait_xcnt 0x0
	s_or_b32 exec_lo, exec_lo, s13
	v_cmp_lt_i32_e64 s13, 0, v2
	s_and_saveexec_b32 s14, s2
	s_cbranch_execz .LBB4_1765
.LBB4_1881:                             ;   in Loop: Header=BB4_1676 Depth=3
	s_and_saveexec_b32 s15, s3
	s_delay_alu instid0(SALU_CYCLE_1)
	s_xor_b32 s15, exec_lo, s15
	s_cbranch_execz .LBB4_1896
; %bb.1882:                             ;   in Loop: Header=BB4_1676 Depth=3
	s_and_saveexec_b32 s40, s6
	s_cbranch_execz .LBB4_1895
; %bb.1883:                             ;   in Loop: Header=BB4_1676 Depth=3
	s_mov_b32 s91, exec_lo
	s_mov_b32 s41, exec_lo
	v_mbcnt_lo_u32_b32 v2, s91, 0
	global_wb scope:SCOPE_DEV
	s_wait_storecnt 0x0
	s_wait_loadcnt_dscnt 0x0
	global_inv scope:SCOPE_DEV
	v_cmpx_eq_u32_e32 0, v2
	s_cbranch_execz .LBB4_1885
; %bb.1884:                             ;   in Loop: Header=BB4_1676 Depth=3
	s_bcnt1_i32_b32 s91, s91
	s_delay_alu instid0(SALU_CYCLE_1)
	v_mov_b32_e32 v2, s91
	s_wait_loadcnt 0x0
	ds_add_u64 v0, v[2:3]
	s_trap 2
.LBB4_1885:                             ;   in Loop: Header=BB4_1676 Depth=3
	s_or_b32 exec_lo, exec_lo, s41
	s_trap 2
	ds_load_b64 v[8:9], v0
	s_wait_dscnt 0x0
	v_add_nc_u64_e32 v[48:49], v[48:49], v[52:53]
	s_mov_b32 s41, exec_lo
	s_delay_alu instid0(VALU_DEP_1)
	v_cmpx_lt_u64_e64 v[8:9], v[48:49]
	s_cbranch_execz .LBB4_1894
; %bb.1886:                             ;   in Loop: Header=BB4_1676 Depth=3
	s_mov_b32 s91, 0
	s_mov_b32 s94, 0
                                        ; implicit-def: $sgpr92
                                        ; implicit-def: $sgpr93
	s_branch .LBB4_1888
.LBB4_1887:                             ;   in Loop: Header=BB4_1888 Depth=4
	s_or_b32 exec_lo, exec_lo, vcc_hi
	s_delay_alu instid0(SALU_CYCLE_1) | instskip(NEXT) | instid1(SALU_CYCLE_1)
	s_and_b32 s95, exec_lo, vcc_lo
	s_or_b32 s91, s95, s91
	s_and_not1_b32 s92, s92, exec_lo
	s_and_b32 s95, s93, exec_lo
	s_delay_alu instid0(SALU_CYCLE_1)
	s_or_b32 s92, s92, s95
	s_and_not1_b32 exec_lo, exec_lo, s91
	s_cbranch_execz .LBB4_1892
.LBB4_1888:                             ;   Parent Loop BB4_47 Depth=1
                                        ;     Parent Loop BB4_1673 Depth=2
                                        ;       Parent Loop BB4_1676 Depth=3
                                        ; =>      This Inner Loop Header: Depth=4
	s_add_co_i32 s94, s94, 1
	s_delay_alu instid0(SALU_CYCLE_1) | instskip(SKIP_1) | instid1(SALU_CYCLE_1)
	s_cmp_lg_u32 s94, 0x2710
	s_cselect_b32 s95, -1, 0
	s_and_b32 vcc_lo, exec_lo, s95
	s_cbranch_vccz .LBB4_1890
; %bb.1889:                             ;   in Loop: Header=BB4_1888 Depth=4
	s_mov_b32 vcc_lo, -1
	s_or_b32 s93, s93, exec_lo
	s_and_saveexec_b32 vcc_hi, s95
	s_cbranch_execz .LBB4_1887
	s_branch .LBB4_1891
.LBB4_1890:                             ;   in Loop: Header=BB4_1888 Depth=4
	s_trap 2
	ds_load_b64 v[8:9], v0
	s_and_not1_b32 s95, s95, exec_lo
	s_mov_b32 s94, 0
	s_wait_loadcnt_dscnt 0x0
	flat_load_b32 v2, v[8:9] scope:SCOPE_SYS
	s_wait_loadcnt_dscnt 0x0
	global_inv scope:SCOPE_SYS
	v_cmp_eq_u32_e32 vcc_lo, 0, v2
	s_and_b32 vcc_lo, vcc_lo, exec_lo
	s_delay_alu instid0(SALU_CYCLE_1)
	s_or_b32 s95, s95, vcc_lo
	s_mov_b32 vcc_lo, -1
	s_or_b32 s93, s93, exec_lo
	s_and_saveexec_b32 vcc_hi, s95
	s_cbranch_execz .LBB4_1887
.LBB4_1891:                             ;   in Loop: Header=BB4_1888 Depth=4
	s_sleep 1
	s_trap 2
	ds_load_b64 v[8:9], v0
	s_wait_dscnt 0x0
	s_and_not1_b32 s93, s93, exec_lo
	v_cmp_ge_u64_e32 vcc_lo, v[8:9], v[48:49]
	s_or_not1_b32 vcc_lo, vcc_lo, exec_lo
	s_branch .LBB4_1887
.LBB4_1892:                             ;   in Loop: Header=BB4_1676 Depth=3
	s_or_b32 exec_lo, exec_lo, s91
	s_and_saveexec_b32 s91, s92
	s_delay_alu instid0(SALU_CYCLE_1)
	s_xor_b32 s91, exec_lo, s91
	s_cbranch_execz .LBB4_1894
; %bb.1893:                             ;   in Loop: Header=BB4_1676 Depth=3
	ds_store_b32 v0, v73
	s_trap 2
.LBB4_1894:                             ;   in Loop: Header=BB4_1676 Depth=3
	s_or_b32 exec_lo, exec_lo, s41
	;;#ASMSTART
	s_wakeup
	;;#ASMEND
.LBB4_1895:                             ;   in Loop: Header=BB4_1676 Depth=3
	s_or_b32 exec_lo, exec_lo, s40
.LBB4_1896:                             ;   in Loop: Header=BB4_1676 Depth=3
	s_and_not1_saveexec_b32 s15, s15
	s_cbranch_execz .LBB4_1898
; %bb.1897:                             ;   in Loop: Header=BB4_1676 Depth=3
	global_wb scope:SCOPE_DEV
	s_wait_storecnt 0x0
	s_wait_loadcnt_dscnt 0x0
	global_inv scope:SCOPE_DEV
	s_barrier_signal -1
	s_barrier_wait -1
.LBB4_1898:                             ;   in Loop: Header=BB4_1676 Depth=3
	s_or_b32 exec_lo, exec_lo, s15
	s_delay_alu instid0(SALU_CYCLE_1) | instskip(SKIP_1) | instid1(SALU_CYCLE_1)
	s_or_b32 exec_lo, exec_lo, s14
                                        ; implicit-def: $vgpr2
	s_and_saveexec_b32 s14, s7
	s_xor_b32 s14, exec_lo, s14
	s_cbranch_execnz .LBB4_1766
.LBB4_1899:                             ;   in Loop: Header=BB4_1676 Depth=3
	s_and_not1_saveexec_b32 s13, s14
	s_cbranch_execz .LBB4_1918
.LBB4_1900:                             ;   in Loop: Header=BB4_1676 Depth=3
	s_and_saveexec_b32 s14, s3
	s_delay_alu instid0(SALU_CYCLE_1)
	s_xor_b32 s14, exec_lo, s14
	s_cbranch_execz .LBB4_1915
; %bb.1901:                             ;   in Loop: Header=BB4_1676 Depth=3
	s_and_saveexec_b32 s15, s6
	s_cbranch_execz .LBB4_1914
; %bb.1902:                             ;   in Loop: Header=BB4_1676 Depth=3
	s_mov_b32 s41, exec_lo
	s_mov_b32 s40, exec_lo
	v_mbcnt_lo_u32_b32 v2, s41, 0
	;;#ASMSTART
	s_waitcnt lgkmcnt(0) vmcnt(0)
	;;#ASMEND
	s_delay_alu instid0(VALU_DEP_1)
	v_cmpx_eq_u32_e32 0, v2
	s_cbranch_execz .LBB4_1904
; %bb.1903:                             ;   in Loop: Header=BB4_1676 Depth=3
	s_bcnt1_i32_b32 s41, s41
	s_delay_alu instid0(SALU_CYCLE_1)
	v_mov_b32_e32 v2, s41
	s_wait_storecnt 0x0
	s_wait_loadcnt_dscnt 0x0
	ds_add_u64 v0, v[2:3]
	s_trap 2
.LBB4_1904:                             ;   in Loop: Header=BB4_1676 Depth=3
	s_or_b32 exec_lo, exec_lo, s40
	s_trap 2
	ds_load_b64 v[8:9], v0
	s_wait_dscnt 0x0
	v_add_nc_u64_e32 v[48:49], v[48:49], v[52:53]
	s_mov_b32 s40, exec_lo
	s_delay_alu instid0(VALU_DEP_1)
	v_cmpx_lt_u64_e64 v[8:9], v[48:49]
	s_cbranch_execz .LBB4_1913
; %bb.1905:                             ;   in Loop: Header=BB4_1676 Depth=3
	s_mov_b32 s41, 0
	s_mov_b32 s93, 0
                                        ; implicit-def: $sgpr91
                                        ; implicit-def: $sgpr92
	s_branch .LBB4_1907
.LBB4_1906:                             ;   in Loop: Header=BB4_1907 Depth=4
	s_or_b32 exec_lo, exec_lo, s95
	s_delay_alu instid0(SALU_CYCLE_1) | instskip(NEXT) | instid1(SALU_CYCLE_1)
	s_and_b32 s94, exec_lo, vcc_lo
	s_or_b32 s41, s94, s41
	s_and_not1_b32 s91, s91, exec_lo
	s_and_b32 s94, s92, exec_lo
	s_delay_alu instid0(SALU_CYCLE_1)
	s_or_b32 s91, s91, s94
	s_and_not1_b32 exec_lo, exec_lo, s41
	s_cbranch_execz .LBB4_1911
.LBB4_1907:                             ;   Parent Loop BB4_47 Depth=1
                                        ;     Parent Loop BB4_1673 Depth=2
                                        ;       Parent Loop BB4_1676 Depth=3
                                        ; =>      This Inner Loop Header: Depth=4
	s_add_co_i32 s93, s93, 1
	s_delay_alu instid0(SALU_CYCLE_1) | instskip(SKIP_1) | instid1(SALU_CYCLE_1)
	s_cmp_lg_u32 s93, 0x2710
	s_cselect_b32 s94, -1, 0
	s_and_b32 vcc_lo, exec_lo, s94
	s_cbranch_vccz .LBB4_1909
; %bb.1908:                             ;   in Loop: Header=BB4_1907 Depth=4
	s_mov_b32 vcc_lo, -1
	s_or_b32 s92, s92, exec_lo
	s_and_saveexec_b32 s95, s94
	s_cbranch_execz .LBB4_1906
	s_branch .LBB4_1910
.LBB4_1909:                             ;   in Loop: Header=BB4_1907 Depth=4
	s_trap 2
	ds_load_b64 v[8:9], v0
	s_and_not1_b32 s94, s94, exec_lo
	s_mov_b32 s93, 0
	s_wait_storecnt 0x0
	s_wait_loadcnt_dscnt 0x0
	flat_load_b32 v2, v[8:9] scope:SCOPE_SYS
	s_wait_loadcnt_dscnt 0x0
	global_inv scope:SCOPE_SYS
	v_cmp_eq_u32_e32 vcc_lo, 0, v2
	s_and_b32 s95, vcc_lo, exec_lo
	s_delay_alu instid0(SALU_CYCLE_1)
	s_or_b32 s94, s94, s95
	s_mov_b32 vcc_lo, -1
	s_or_b32 s92, s92, exec_lo
	s_and_saveexec_b32 s95, s94
	s_cbranch_execz .LBB4_1906
.LBB4_1910:                             ;   in Loop: Header=BB4_1907 Depth=4
	s_sleep 1
	s_trap 2
	ds_load_b64 v[8:9], v0
	s_wait_dscnt 0x0
	s_and_not1_b32 s92, s92, exec_lo
	v_cmp_ge_u64_e32 vcc_lo, v[8:9], v[48:49]
	s_or_not1_b32 vcc_lo, vcc_lo, exec_lo
	s_branch .LBB4_1906
.LBB4_1911:                             ;   in Loop: Header=BB4_1676 Depth=3
	s_or_b32 exec_lo, exec_lo, s41
	s_and_saveexec_b32 s41, s91
	s_delay_alu instid0(SALU_CYCLE_1)
	s_xor_b32 s41, exec_lo, s41
	s_cbranch_execz .LBB4_1913
; %bb.1912:                             ;   in Loop: Header=BB4_1676 Depth=3
	ds_store_b32 v0, v73
	s_trap 2
.LBB4_1913:                             ;   in Loop: Header=BB4_1676 Depth=3
	s_or_b32 exec_lo, exec_lo, s40
	;;#ASMSTART
	s_wakeup
	;;#ASMEND
.LBB4_1914:                             ;   in Loop: Header=BB4_1676 Depth=3
	s_or_b32 exec_lo, exec_lo, s15
.LBB4_1915:                             ;   in Loop: Header=BB4_1676 Depth=3
	s_and_not1_saveexec_b32 s14, s14
	s_cbranch_execz .LBB4_1917
; %bb.1916:                             ;   in Loop: Header=BB4_1676 Depth=3
	;;#ASMSTART
	s_waitcnt lgkmcnt(0) vmcnt(0)
	;;#ASMEND
	s_barrier_signal -1
	s_barrier_wait -1
.LBB4_1917:                             ;   in Loop: Header=BB4_1676 Depth=3
	s_or_b32 exec_lo, exec_lo, s14
	v_and_b32_e32 v2, 16, v30
.LBB4_1918:                             ;   in Loop: Header=BB4_1676 Depth=3
	s_or_b32 exec_lo, exec_lo, s13
	s_delay_alu instid0(VALU_DEP_1) | instskip(SKIP_1) | instid1(SALU_CYCLE_1)
	v_cmp_ne_u32_e32 vcc_lo, 0, v2
	s_xor_b32 s13, s4, -1
	s_and_b32 s14, vcc_lo, s13
	s_delay_alu instid0(SALU_CYCLE_1)
	s_and_saveexec_b32 s13, s14
	s_cbranch_execz .LBB4_1920
; %bb.1919:                             ;   in Loop: Header=BB4_1676 Depth=3
	global_wb scope:SCOPE_SYS
	s_wait_storecnt 0x0
	s_wait_loadcnt_dscnt 0x0
	flat_store_b32 v[38:39], v73 scope:SCOPE_SYS
.LBB4_1920:                             ;   in Loop: Header=BB4_1676 Depth=3
	s_wait_xcnt 0x0
	s_or_b32 exec_lo, exec_lo, s13
	v_and_b32_e32 v2, 48, v30
	s_mov_b32 s13, exec_lo
	s_delay_alu instid0(VALU_DEP_1)
	v_cmpx_ne_u32_e32 0, v2
	s_cbranch_execz .LBB4_1675
; %bb.1921:                             ;   in Loop: Header=BB4_1676 Depth=3
	v_add_nc_u64_e32 v[114:115], 2, v[114:115]
	global_wb scope:SCOPE_SYS
	s_wait_storecnt 0x0
	s_wait_loadcnt_dscnt 0x0
	flat_store_b64 v[32:33], v[114:115] scope:SCOPE_SYS
	s_branch .LBB4_1675
.LBB4_1922:                             ;   in Loop: Header=BB4_1673 Depth=2
	s_or_b32 exec_lo, exec_lo, s88
.LBB4_1923:                             ;   in Loop: Header=BB4_1673 Depth=2
	s_delay_alu instid0(SALU_CYCLE_1) | instskip(NEXT) | instid1(SALU_CYCLE_1)
	s_or_b32 exec_lo, exec_lo, s27
	s_mov_b32 s14, exec_lo
	v_cmpx_gt_i32_e32 2, v2
	s_cbranch_execz .LBB4_1999
; %bb.1924:                             ;   in Loop: Header=BB4_1673 Depth=2
	v_cmp_eq_u32_e64 s27, 0, v2
	s_mov_b32 s15, 0
	s_branch .LBB4_1926
.LBB4_1925:                             ;   in Loop: Header=BB4_1926 Depth=3
	s_wait_xcnt 0x0
	s_or_b32 exec_lo, exec_lo, s13
	v_add_nc_u32_e32 v42, v40, v42
	s_mov_b32 s27, 0
	s_and_not1_b32 exec_lo, exec_lo, s15
	s_cbranch_execz .LBB4_1998
.LBB4_1926:                             ;   Parent Loop BB4_47 Depth=1
                                        ;     Parent Loop BB4_1673 Depth=2
                                        ; =>    This Loop Header: Depth=3
                                        ;         Child Loop BB4_1932 Depth 4
                                        ;         Child Loop BB4_1960 Depth 4
	;; [unrolled: 1-line block ×3, first 2 shown]
	s_delay_alu instid0(VALU_DEP_1) | instskip(SKIP_2) | instid1(VALU_DEP_2)
	v_sub_nc_u32_e32 v2, v88, v42
	v_and_b32_e32 v8, 12, v30
	s_mov_b32 s40, exec_lo
	v_min_i32_e32 v40, v40, v2
	s_delay_alu instid0(VALU_DEP_2)
	v_cmpx_ne_u32_e32 0, v8
	s_cbranch_execz .LBB4_1952
; %bb.1927:                             ;   in Loop: Header=BB4_1926 Depth=3
	v_and_b32_e32 v2, 8, v30
	v_add_nc_u64_e32 v[8:9], 2, v[114:115]
	s_mov_b32 s41, exec_lo
	s_wait_loadcnt_dscnt 0x1
	s_delay_alu instid0(VALU_DEP_2) | instskip(NEXT) | instid1(VALU_DEP_1)
	v_add_nc_u64_e32 v[10:11], v[50:51], v[2:3]
	v_cmpx_lt_u64_e64 v[10:11], v[8:9]
	s_cbranch_execz .LBB4_1939
; %bb.1928:                             ;   in Loop: Header=BB4_1926 Depth=3
	v_and_b32_e32 v10, 64, v30
	s_mov_b32 s88, 0
	s_mov_b32 s92, 0
                                        ; implicit-def: $sgpr89
                                        ; implicit-def: $sgpr90
                                        ; implicit-def: $sgpr91
	s_delay_alu instid0(VALU_DEP_1)
	v_cmp_eq_u32_e32 vcc_lo, 0, v10
	s_branch .LBB4_1932
.LBB4_1929:                             ;   in Loop: Header=BB4_1932 Depth=4
	s_wait_loadcnt_dscnt 0x0
	v_add_nc_u64_e32 v[12:13], v[50:51], v[2:3]
	s_or_b32 s95, s95, exec_lo
	s_delay_alu instid0(VALU_DEP_1)
	v_cmp_ge_u64_e64 s13, v[12:13], v[8:9]
	s_or_not1_b32 s94, s13, exec_lo
.LBB4_1930:                             ;   in Loop: Header=BB4_1932 Depth=4
	s_or_b32 exec_lo, exec_lo, s30
	s_delay_alu instid0(SALU_CYCLE_1)
	s_and_not1_b32 s13, s91, exec_lo
	s_and_b32 s91, s95, exec_lo
	s_and_not1_b32 s90, s90, exec_lo
	s_and_b32 s94, s94, exec_lo
	s_or_b32 s91, s13, s91
	s_or_b32 s90, s90, s94
.LBB4_1931:                             ;   in Loop: Header=BB4_1932 Depth=4
	s_or_b32 exec_lo, exec_lo, s93
	s_delay_alu instid0(SALU_CYCLE_1) | instskip(NEXT) | instid1(SALU_CYCLE_1)
	s_and_b32 s13, exec_lo, s90
	s_or_b32 s88, s13, s88
	s_and_not1_b32 s13, s89, exec_lo
	s_and_b32 s89, s91, exec_lo
	s_delay_alu instid0(SALU_CYCLE_1)
	s_or_b32 s89, s13, s89
	s_and_not1_b32 exec_lo, exec_lo, s88
	s_cbranch_execz .LBB4_1936
.LBB4_1932:                             ;   Parent Loop BB4_47 Depth=1
                                        ;     Parent Loop BB4_1673 Depth=2
                                        ;       Parent Loop BB4_1926 Depth=3
                                        ; =>      This Inner Loop Header: Depth=4
	s_sleep 1
	s_wait_loadcnt_dscnt 0x0
	flat_load_b64 v[50:51], v[32:33] scope:SCOPE_SYS
	s_or_b32 s91, s91, exec_lo
	s_or_b32 s90, s90, exec_lo
                                        ; implicit-def: $vgpr10
	s_wait_xcnt 0x0
	s_and_saveexec_b32 s93, vcc_lo
	s_cbranch_execz .LBB4_1931
; %bb.1933:                             ;   in Loop: Header=BB4_1932 Depth=4
	s_cmp_lt_i32 s92, 0x270f
	s_mov_b32 s94, -1
	s_cselect_b32 vcc_hi, -1, 0
	s_cmp_gt_i32 s92, 0x270e
	s_cbranch_scc0 .LBB4_1935
; %bb.1934:                             ;   in Loop: Header=BB4_1932 Depth=4
	s_trap 2
	ds_load_b64 v[10:11], v0
	s_and_not1_b32 s92, vcc_hi, exec_lo
	s_mov_b32 s95, 0
	s_wait_storecnt 0x0
	s_wait_loadcnt_dscnt 0x0
	flat_load_b32 v10, v[10:11] scope:SCOPE_SYS
	s_wait_loadcnt_dscnt 0x0
	global_inv scope:SCOPE_SYS
	v_cmp_eq_u32_e64 s13, 0, v10
	s_and_b32 s13, s13, exec_lo
	s_delay_alu instid0(SALU_CYCLE_1)
	s_or_b32 vcc_hi, s92, s13
	s_mov_b32 s92, 0
	s_and_saveexec_b32 s30, vcc_hi
	s_cbranch_execz .LBB4_1930
	s_branch .LBB4_1929
.LBB4_1935:                             ;   in Loop: Header=BB4_1932 Depth=4
	s_add_co_i32 s92, s92, 1
	s_mov_b32 s95, -1
                                        ; implicit-def: $vgpr10
	s_and_saveexec_b32 s30, vcc_hi
	s_cbranch_execz .LBB4_1930
	s_branch .LBB4_1929
.LBB4_1936:                             ;   in Loop: Header=BB4_1926 Depth=3
	s_or_b32 exec_lo, exec_lo, s88
	s_xor_b32 s13, s89, -1
	s_delay_alu instid0(SALU_CYCLE_1) | instskip(NEXT) | instid1(SALU_CYCLE_1)
	s_and_saveexec_b32 s88, s13
	s_xor_b32 s13, exec_lo, s88
	s_cbranch_execz .LBB4_1938
; %bb.1937:                             ;   in Loop: Header=BB4_1926 Depth=3
	v_or_b32_e32 v30, 64, v30
	s_wait_storecnt 0x0
	s_wait_loadcnt_dscnt 0x0
	ds_store_b32 v0, v10
	s_trap 2
.LBB4_1938:                             ;   in Loop: Header=BB4_1926 Depth=3
	s_or_b32 exec_lo, exec_lo, s13
.LBB4_1939:                             ;   in Loop: Header=BB4_1926 Depth=3
	s_delay_alu instid0(SALU_CYCLE_1) | instskip(SKIP_2) | instid1(VALU_DEP_1)
	s_or_b32 exec_lo, exec_lo, s41
	v_and_b32_e32 v10, 0x108, v30
	;;#ASMSTART
	s_wakeup
	;;#ASMEND
	v_cmp_ne_u32_e32 vcc_lo, 0x108, v10
                                        ; implicit-def: $vgpr10_vgpr11
	s_and_saveexec_b32 s13, vcc_lo
	s_delay_alu instid0(SALU_CYCLE_1)
	s_xor_b32 s13, exec_lo, s13
; %bb.1940:                             ;   in Loop: Header=BB4_1926 Depth=3
	v_dual_mov_b32 v11, v3 :: v_dual_bitop2_b32 v10, 7, v114 bitop3:0x40
                                        ; implicit-def: $vgpr114_vgpr115
; %bb.1941:                             ;   in Loop: Header=BB4_1926 Depth=3
	s_and_not1_saveexec_b32 s13, s13
	s_cbranch_execz .LBB4_1943
; %bb.1942:                             ;   in Loop: Header=BB4_1926 Depth=3
	v_dual_ashrrev_i32 v41, 31, v40 :: v_dual_bitop2_b32 v10, 7, v114 bitop3:0x40
	v_mov_b32_e32 v11, v3
	s_delay_alu instid0(VALU_DEP_2) | instskip(NEXT) | instid1(VALU_DEP_3)
	v_mad_nc_u64_u32 v[12:13], v10, 24, v[6:7]
	v_lshlrev_b64_e32 v[14:15], 1, v[40:41]
	flat_store_b64 v[12:13], v[14:15] offset:8
.LBB4_1943:                             ;   in Loop: Header=BB4_1926 Depth=3
	s_wait_xcnt 0x0
	s_or_b32 exec_lo, exec_lo, s13
	v_and_b32_e32 v12, 0x100, v30
	s_mov_b32 s13, -1
	s_delay_alu instid0(VALU_DEP_1)
	v_cmp_ne_u32_e32 vcc_lo, 0, v12
                                        ; implicit-def: $vgpr12_vgpr13
	s_and_saveexec_b32 s41, vcc_lo
	s_cbranch_execz .LBB4_1947
; %bb.1944:                             ;   in Loop: Header=BB4_1926 Depth=3
	v_mad_nc_u64_u32 v[14:15], v10, 24, v[6:7]
	s_delay_alu instid0(VALU_DEP_1)
	v_mad_u32 v15, v11, 24, v15
	flat_load_b32 v12, v[14:15]
	s_wait_loadcnt_dscnt 0x0
	v_cmp_eq_u32_e64 s13, 1, v12
	v_cmp_ne_u32_e32 vcc_lo, 1, v12
                                        ; implicit-def: $vgpr12_vgpr13
	s_wait_xcnt 0x0
	s_and_saveexec_b32 s88, s13
	s_cbranch_execz .LBB4_1946
; %bb.1945:                             ;   in Loop: Header=BB4_1926 Depth=3
	flat_load_b32 v12, v[14:15] offset:4 scope:SCOPE_SYS
	s_wait_loadcnt_dscnt 0x0
	v_ashrrev_i32_e32 v13, 31, v12
	s_delay_alu instid0(VALU_DEP_1)
	v_lshrrev_b64 v[12:13], 1, v[12:13]
.LBB4_1946:                             ;   in Loop: Header=BB4_1926 Depth=3
	s_wait_xcnt 0x0
	s_or_b32 exec_lo, exec_lo, s88
	s_delay_alu instid0(SALU_CYCLE_1)
	s_or_not1_b32 s13, vcc_lo, exec_lo
.LBB4_1947:                             ;   in Loop: Header=BB4_1926 Depth=3
	s_or_b32 exec_lo, exec_lo, s41
	s_and_saveexec_b32 s41, s13
; %bb.1948:                             ;   in Loop: Header=BB4_1926 Depth=3
	v_mul_u64_e32 v[12:13], v[10:11], v[34:35]
; %bb.1949:                             ;   in Loop: Header=BB4_1926 Depth=3
	s_or_b32 exec_lo, exec_lo, s41
	v_cmp_eq_u32_e32 vcc_lo, 0, v2
	v_and_b32_e32 v14, 0x2000, v30
	s_delay_alu instid0(VALU_DEP_3) | instskip(SKIP_2) | instid1(VALU_DEP_1)
	v_lshl_add_u64 v[10:11], v[12:13], 1, v[36:37]
	s_mov_b32 s13, exec_lo
	v_cndmask_b32_e32 v2, 0xd0, v75, vcc_lo
	v_add_nc_u32_e32 v2, v0, v2
	ds_store_b64 v2, v[10:11] offset:584
	v_cmpx_ne_u32_e32 0, v14
	s_cbranch_execz .LBB4_1951
; %bb.1950:                             ;   in Loop: Header=BB4_1926 Depth=3
	ds_load_b64 v[10:11], v0 offset:872
	s_wait_dscnt 0x0
	v_add_nc_u64_e32 v[10:11], 1, v[10:11]
	ds_store_b64 v0, v[10:11] offset:872
.LBB4_1951:                             ;   in Loop: Header=BB4_1926 Depth=3
	s_or_b32 exec_lo, exec_lo, s13
	v_mov_b64_e32 v[114:115], v[8:9]
.LBB4_1952:                             ;   in Loop: Header=BB4_1926 Depth=3
	s_or_b32 exec_lo, exec_lo, s40
	s_xor_b32 s13, s27, -1
	s_delay_alu instid0(SALU_CYCLE_1) | instskip(NEXT) | instid1(SALU_CYCLE_1)
	s_and_b32 s13, exec_lo, s13
	s_or_b32 s15, s13, s15
	s_and_saveexec_b32 s13, s2
	s_cbranch_execz .LBB4_1971
; %bb.1953:                             ;   in Loop: Header=BB4_1926 Depth=3
	s_and_saveexec_b32 s27, s3
	s_delay_alu instid0(SALU_CYCLE_1)
	s_xor_b32 s27, exec_lo, s27
	s_cbranch_execz .LBB4_1968
; %bb.1954:                             ;   in Loop: Header=BB4_1926 Depth=3
	s_and_saveexec_b32 s40, s6
	s_cbranch_execz .LBB4_1967
; %bb.1955:                             ;   in Loop: Header=BB4_1926 Depth=3
	s_mov_b32 s88, exec_lo
	s_mov_b32 s41, exec_lo
	v_mbcnt_lo_u32_b32 v2, s88, 0
	global_wb scope:SCOPE_DEV
	s_wait_storecnt 0x0
	s_wait_loadcnt_dscnt 0x0
	global_inv scope:SCOPE_DEV
	v_cmpx_eq_u32_e32 0, v2
	s_cbranch_execz .LBB4_1957
; %bb.1956:                             ;   in Loop: Header=BB4_1926 Depth=3
	s_bcnt1_i32_b32 s88, s88
	s_delay_alu instid0(SALU_CYCLE_1)
	v_mov_b32_e32 v2, s88
	s_wait_loadcnt 0x0
	ds_add_u64 v0, v[2:3]
	s_trap 2
.LBB4_1957:                             ;   in Loop: Header=BB4_1926 Depth=3
	s_or_b32 exec_lo, exec_lo, s41
	s_trap 2
	ds_load_b64 v[8:9], v0
	s_wait_dscnt 0x0
	v_add_nc_u64_e32 v[48:49], v[48:49], v[52:53]
	s_mov_b32 s41, exec_lo
	s_delay_alu instid0(VALU_DEP_1)
	v_cmpx_lt_u64_e64 v[8:9], v[48:49]
	s_cbranch_execz .LBB4_1966
; %bb.1958:                             ;   in Loop: Header=BB4_1926 Depth=3
	s_mov_b32 s88, 0
	s_mov_b32 s91, 0
                                        ; implicit-def: $sgpr89
                                        ; implicit-def: $sgpr90
	s_branch .LBB4_1960
.LBB4_1959:                             ;   in Loop: Header=BB4_1960 Depth=4
	s_or_b32 exec_lo, exec_lo, s93
	s_delay_alu instid0(SALU_CYCLE_1) | instskip(NEXT) | instid1(SALU_CYCLE_1)
	s_and_b32 s92, exec_lo, s94
	s_or_b32 s88, s92, s88
	s_and_not1_b32 s89, s89, exec_lo
	s_and_b32 s92, s90, exec_lo
	s_delay_alu instid0(SALU_CYCLE_1)
	s_or_b32 s89, s89, s92
	s_and_not1_b32 exec_lo, exec_lo, s88
	s_cbranch_execz .LBB4_1964
.LBB4_1960:                             ;   Parent Loop BB4_47 Depth=1
                                        ;     Parent Loop BB4_1673 Depth=2
                                        ;       Parent Loop BB4_1926 Depth=3
                                        ; =>      This Inner Loop Header: Depth=4
	s_add_co_i32 s91, s91, 1
	s_delay_alu instid0(SALU_CYCLE_1) | instskip(SKIP_1) | instid1(SALU_CYCLE_1)
	s_cmp_lg_u32 s91, 0x2710
	s_cselect_b32 s92, -1, 0
	s_and_b32 vcc_lo, exec_lo, s92
	s_cbranch_vccz .LBB4_1962
; %bb.1961:                             ;   in Loop: Header=BB4_1960 Depth=4
	s_mov_b32 s94, -1
	s_or_b32 s90, s90, exec_lo
	s_and_saveexec_b32 s93, s92
	s_cbranch_execz .LBB4_1959
	s_branch .LBB4_1963
.LBB4_1962:                             ;   in Loop: Header=BB4_1960 Depth=4
	s_trap 2
	ds_load_b64 v[8:9], v0
	s_and_not1_b32 s92, s92, exec_lo
	s_mov_b32 s91, 0
	s_wait_loadcnt_dscnt 0x0
	flat_load_b32 v2, v[8:9] scope:SCOPE_SYS
	s_wait_loadcnt_dscnt 0x0
	global_inv scope:SCOPE_SYS
	v_cmp_eq_u32_e32 vcc_lo, 0, v2
	s_and_b32 s93, vcc_lo, exec_lo
	s_delay_alu instid0(SALU_CYCLE_1)
	s_or_b32 s92, s92, s93
	s_mov_b32 s94, -1
	s_or_b32 s90, s90, exec_lo
	s_and_saveexec_b32 s93, s92
	s_cbranch_execz .LBB4_1959
.LBB4_1963:                             ;   in Loop: Header=BB4_1960 Depth=4
	s_sleep 1
	s_trap 2
	ds_load_b64 v[8:9], v0
	s_wait_dscnt 0x0
	s_and_not1_b32 s90, s90, exec_lo
	v_cmp_ge_u64_e32 vcc_lo, v[8:9], v[48:49]
	s_or_not1_b32 s94, vcc_lo, exec_lo
	s_branch .LBB4_1959
.LBB4_1964:                             ;   in Loop: Header=BB4_1926 Depth=3
	s_or_b32 exec_lo, exec_lo, s88
	s_and_saveexec_b32 s88, s89
	s_delay_alu instid0(SALU_CYCLE_1)
	s_xor_b32 s88, exec_lo, s88
	s_cbranch_execz .LBB4_1966
; %bb.1965:                             ;   in Loop: Header=BB4_1926 Depth=3
	ds_store_b32 v0, v73
	s_trap 2
.LBB4_1966:                             ;   in Loop: Header=BB4_1926 Depth=3
	s_or_b32 exec_lo, exec_lo, s41
	;;#ASMSTART
	s_wakeup
	;;#ASMEND
.LBB4_1967:                             ;   in Loop: Header=BB4_1926 Depth=3
	s_or_b32 exec_lo, exec_lo, s40
.LBB4_1968:                             ;   in Loop: Header=BB4_1926 Depth=3
	s_and_not1_saveexec_b32 s27, s27
	s_cbranch_execz .LBB4_1970
; %bb.1969:                             ;   in Loop: Header=BB4_1926 Depth=3
	global_wb scope:SCOPE_DEV
	s_wait_storecnt 0x0
	s_wait_loadcnt_dscnt 0x0
	global_inv scope:SCOPE_DEV
	s_barrier_signal -1
	s_barrier_wait -1
.LBB4_1970:                             ;   in Loop: Header=BB4_1926 Depth=3
	s_or_b32 exec_lo, exec_lo, s27
.LBB4_1971:                             ;   in Loop: Header=BB4_1926 Depth=3
	s_delay_alu instid0(SALU_CYCLE_1) | instskip(SKIP_1) | instid1(SALU_CYCLE_1)
	s_or_b32 exec_lo, exec_lo, s13
                                        ; implicit-def: $vgpr2
	s_and_saveexec_b32 s13, s7
	s_xor_b32 s27, exec_lo, s13
	s_cbranch_execz .LBB4_1975
; %bb.1972:                             ;   in Loop: Header=BB4_1926 Depth=3
	s_trap 2
	ds_load_b32 v2, v0
	v_cmp_lt_i32_e32 vcc_lo, 0, v40
	s_wait_dscnt 0x0
	v_readfirstlane_b32 s13, v2
	v_and_b32_e32 v2, 16, v30
	s_cmp_eq_u32 s13, 0
	s_delay_alu instid0(VALU_DEP_1) | instskip(SKIP_3) | instid1(SALU_CYCLE_1)
	v_cmp_ne_u32_e64 s13, 0, v2
	s_cselect_b32 s40, -1, 0
	v_and_b32_e32 v2, 16, v30
	s_and_b32 s40, vcc_lo, s40
	s_and_b32 s40, s13, s40
	s_delay_alu instid0(SALU_CYCLE_1)
	s_and_saveexec_b32 s13, s40
	s_cbranch_execz .LBB4_1974
; %bb.1973:                             ;   in Loop: Header=BB4_1926 Depth=3
	v_mov_b32_e32 v2, 1
	global_wb scope:SCOPE_SYS
	s_wait_loadcnt 0x0
	s_wait_storecnt 0x0
	global_inv scope:SCOPE_SYS
.LBB4_1974:                             ;   in Loop: Header=BB4_1926 Depth=3
	s_or_b32 exec_lo, exec_lo, s13
	s_and_not1_saveexec_b32 s13, s27
	s_cbranch_execz .LBB4_1994
	s_branch .LBB4_1976
.LBB4_1975:                             ;   in Loop: Header=BB4_1926 Depth=3
	s_and_not1_saveexec_b32 s13, s27
	s_cbranch_execz .LBB4_1994
.LBB4_1976:                             ;   in Loop: Header=BB4_1926 Depth=3
	s_and_saveexec_b32 s27, s3
	s_delay_alu instid0(SALU_CYCLE_1)
	s_xor_b32 s27, exec_lo, s27
	s_cbranch_execz .LBB4_1991
; %bb.1977:                             ;   in Loop: Header=BB4_1926 Depth=3
	s_and_saveexec_b32 s40, s6
	s_cbranch_execz .LBB4_1990
; %bb.1978:                             ;   in Loop: Header=BB4_1926 Depth=3
	s_mov_b32 s88, exec_lo
	s_mov_b32 s41, exec_lo
	v_mbcnt_lo_u32_b32 v2, s88, 0
	;;#ASMSTART
	s_waitcnt lgkmcnt(0) vmcnt(0)
	;;#ASMEND
	s_delay_alu instid0(VALU_DEP_1)
	v_cmpx_eq_u32_e32 0, v2
	s_cbranch_execz .LBB4_1980
; %bb.1979:                             ;   in Loop: Header=BB4_1926 Depth=3
	s_bcnt1_i32_b32 s88, s88
	s_delay_alu instid0(SALU_CYCLE_1)
	v_mov_b32_e32 v2, s88
	s_wait_storecnt 0x0
	s_wait_loadcnt_dscnt 0x0
	ds_add_u64 v0, v[2:3]
	s_trap 2
.LBB4_1980:                             ;   in Loop: Header=BB4_1926 Depth=3
	s_or_b32 exec_lo, exec_lo, s41
	s_trap 2
	ds_load_b64 v[8:9], v0
	s_wait_dscnt 0x0
	v_add_nc_u64_e32 v[48:49], v[48:49], v[52:53]
	s_mov_b32 s41, exec_lo
	s_delay_alu instid0(VALU_DEP_1)
	v_cmpx_lt_u64_e64 v[8:9], v[48:49]
	s_cbranch_execz .LBB4_1989
; %bb.1981:                             ;   in Loop: Header=BB4_1926 Depth=3
	s_mov_b32 s88, 0
	s_mov_b32 s91, 0
                                        ; implicit-def: $sgpr89
                                        ; implicit-def: $sgpr90
	s_branch .LBB4_1983
.LBB4_1982:                             ;   in Loop: Header=BB4_1983 Depth=4
	s_or_b32 exec_lo, exec_lo, s93
	s_delay_alu instid0(SALU_CYCLE_1) | instskip(NEXT) | instid1(SALU_CYCLE_1)
	s_and_b32 s92, exec_lo, s94
	s_or_b32 s88, s92, s88
	s_and_not1_b32 s89, s89, exec_lo
	s_and_b32 s92, s90, exec_lo
	s_delay_alu instid0(SALU_CYCLE_1)
	s_or_b32 s89, s89, s92
	s_and_not1_b32 exec_lo, exec_lo, s88
	s_cbranch_execz .LBB4_1987
.LBB4_1983:                             ;   Parent Loop BB4_47 Depth=1
                                        ;     Parent Loop BB4_1673 Depth=2
                                        ;       Parent Loop BB4_1926 Depth=3
                                        ; =>      This Inner Loop Header: Depth=4
	s_add_co_i32 s91, s91, 1
	s_delay_alu instid0(SALU_CYCLE_1) | instskip(SKIP_1) | instid1(SALU_CYCLE_1)
	s_cmp_lg_u32 s91, 0x2710
	s_cselect_b32 s92, -1, 0
	s_and_b32 vcc_lo, exec_lo, s92
	s_cbranch_vccz .LBB4_1985
; %bb.1984:                             ;   in Loop: Header=BB4_1983 Depth=4
	s_mov_b32 s94, -1
	s_or_b32 s90, s90, exec_lo
	s_and_saveexec_b32 s93, s92
	s_cbranch_execz .LBB4_1982
	s_branch .LBB4_1986
.LBB4_1985:                             ;   in Loop: Header=BB4_1983 Depth=4
	s_trap 2
	ds_load_b64 v[8:9], v0
	s_and_not1_b32 s92, s92, exec_lo
	s_mov_b32 s91, 0
	s_wait_storecnt 0x0
	s_wait_loadcnt_dscnt 0x0
	flat_load_b32 v2, v[8:9] scope:SCOPE_SYS
	s_wait_loadcnt_dscnt 0x0
	global_inv scope:SCOPE_SYS
	v_cmp_eq_u32_e32 vcc_lo, 0, v2
	s_and_b32 s93, vcc_lo, exec_lo
	s_delay_alu instid0(SALU_CYCLE_1)
	s_or_b32 s92, s92, s93
	s_mov_b32 s94, -1
	s_or_b32 s90, s90, exec_lo
	s_and_saveexec_b32 s93, s92
	s_cbranch_execz .LBB4_1982
.LBB4_1986:                             ;   in Loop: Header=BB4_1983 Depth=4
	s_sleep 1
	s_trap 2
	ds_load_b64 v[8:9], v0
	s_wait_dscnt 0x0
	s_and_not1_b32 s90, s90, exec_lo
	v_cmp_ge_u64_e32 vcc_lo, v[8:9], v[48:49]
	s_or_not1_b32 s94, vcc_lo, exec_lo
	s_branch .LBB4_1982
.LBB4_1987:                             ;   in Loop: Header=BB4_1926 Depth=3
	s_or_b32 exec_lo, exec_lo, s88
	s_and_saveexec_b32 s88, s89
	s_delay_alu instid0(SALU_CYCLE_1)
	s_xor_b32 s88, exec_lo, s88
	s_cbranch_execz .LBB4_1989
; %bb.1988:                             ;   in Loop: Header=BB4_1926 Depth=3
	ds_store_b32 v0, v73
	s_trap 2
.LBB4_1989:                             ;   in Loop: Header=BB4_1926 Depth=3
	s_or_b32 exec_lo, exec_lo, s41
	;;#ASMSTART
	s_wakeup
	;;#ASMEND
.LBB4_1990:                             ;   in Loop: Header=BB4_1926 Depth=3
	s_or_b32 exec_lo, exec_lo, s40
.LBB4_1991:                             ;   in Loop: Header=BB4_1926 Depth=3
	s_and_not1_saveexec_b32 s27, s27
	s_cbranch_execz .LBB4_1993
; %bb.1992:                             ;   in Loop: Header=BB4_1926 Depth=3
	;;#ASMSTART
	s_waitcnt lgkmcnt(0) vmcnt(0)
	;;#ASMEND
	s_barrier_signal -1
	s_barrier_wait -1
.LBB4_1993:                             ;   in Loop: Header=BB4_1926 Depth=3
	s_or_b32 exec_lo, exec_lo, s27
	v_and_b32_e32 v2, 16, v30
.LBB4_1994:                             ;   in Loop: Header=BB4_1926 Depth=3
	s_or_b32 exec_lo, exec_lo, s13
	s_delay_alu instid0(VALU_DEP_1) | instskip(SKIP_1) | instid1(SALU_CYCLE_1)
	v_cmp_ne_u32_e32 vcc_lo, 0, v2
	s_xor_b32 s13, s4, -1
	s_and_b32 s27, vcc_lo, s13
	s_delay_alu instid0(SALU_CYCLE_1)
	s_and_saveexec_b32 s13, s27
	s_cbranch_execz .LBB4_1996
; %bb.1995:                             ;   in Loop: Header=BB4_1926 Depth=3
	global_wb scope:SCOPE_SYS
	s_wait_storecnt 0x0
	s_wait_loadcnt_dscnt 0x0
	flat_store_b32 v[38:39], v73 scope:SCOPE_SYS
.LBB4_1996:                             ;   in Loop: Header=BB4_1926 Depth=3
	s_wait_xcnt 0x0
	s_or_b32 exec_lo, exec_lo, s13
	v_and_b32_e32 v2, 48, v30
	s_mov_b32 s13, exec_lo
	s_delay_alu instid0(VALU_DEP_1)
	v_cmpx_ne_u32_e32 0, v2
	s_cbranch_execz .LBB4_1925
; %bb.1997:                             ;   in Loop: Header=BB4_1926 Depth=3
	v_add_nc_u64_e32 v[114:115], 2, v[114:115]
	global_wb scope:SCOPE_SYS
	s_wait_storecnt 0x0
	s_wait_loadcnt_dscnt 0x0
	flat_store_b64 v[32:33], v[114:115] scope:SCOPE_SYS
	s_branch .LBB4_1925
.LBB4_1998:                             ;   in Loop: Header=BB4_1673 Depth=2
	s_or_b32 exec_lo, exec_lo, s15
.LBB4_1999:                             ;   in Loop: Header=BB4_1673 Depth=2
	s_delay_alu instid0(SALU_CYCLE_1)
	s_or_b32 exec_lo, exec_lo, s14
	s_add_co_i32 s13, s18, 1
	s_cmp_eq_u32 s18, s76
	s_cbranch_scc1 .LBB4_2001
; %bb.2000:                             ;   in Loop: Header=BB4_1673 Depth=2
	s_mov_b32 s18, s13
	s_branch .LBB4_1673
.LBB4_2001:                             ;   in Loop: Header=BB4_47 Depth=1
	v_mul_u64_e32 v[8:9], s[28:29], v[112:113]
	s_delay_alu instid0(VALU_DEP_1) | instskip(SKIP_1) | instid1(VALU_DEP_2)
	v_sub_nc_u64_e32 v[10:11], v[116:117], v[8:9]
	v_mov_b32_e32 v116, 0
	v_min_i64 v[10:11], v[112:113], v[10:11]
	s_delay_alu instid0(VALU_DEP_1) | instskip(SKIP_1) | instid1(VALU_DEP_2)
	v_max_i32_e32 v58, 0, v10
	v_cmp_lt_i32_e32 vcc_lo, 0, v10
	v_add_nc_u32_e32 v2, 31, v58
	s_and_b32 s13, s77, vcc_lo
	s_delay_alu instid0(VALU_DEP_1) | instskip(NEXT) | instid1(VALU_DEP_1)
	v_lshrrev_b32_e32 v2, 1, v2
	v_and_b32_e32 v11, 0x3ffffff0, v2
	s_delay_alu instid0(VALU_DEP_1)
	v_dual_mov_b32 v2, 0 :: v_dual_max_i32 v59, s45, v11
	s_and_saveexec_b32 s14, s13
	s_cbranch_execz .LBB4_2170
; %bb.2002:                             ;   in Loop: Header=BB4_47 Depth=1
	v_add_nc_u64_e32 v[8:9], v[8:9], v[118:119]
	v_mov_b32_e32 v116, 0
	s_mov_b32 s27, 1
	s_mov_b32 s18, -1
	s_mov_b32 s15, 0
	s_delay_alu instid0(VALU_DEP_2)
	v_lshlrev_b64_e32 v[118:119], 1, v[8:9]
	s_branch .LBB4_2004
.LBB4_2003:                             ;   in Loop: Header=BB4_2004 Depth=2
	s_wait_xcnt 0x0
	s_or_b32 exec_lo, exec_lo, s13
	v_dual_add_nc_u32 v116, v59, v116 :: v_dual_mov_b32 v2, s27
	s_xor_b32 s13, s18, -1
	s_mov_b32 s18, 0
	s_mov_b32 s27, 2
	s_delay_alu instid0(VALU_DEP_1) | instskip(SKIP_1) | instid1(SALU_CYCLE_1)
	v_cmp_ge_i32_e32 vcc_lo, v116, v58
	s_or_b32 s13, s13, vcc_lo
	s_and_b32 s13, exec_lo, s13
	s_delay_alu instid0(SALU_CYCLE_1) | instskip(NEXT) | instid1(SALU_CYCLE_1)
	s_or_b32 s15, s13, s15
	s_and_not1_b32 exec_lo, exec_lo, s15
	s_cbranch_execz .LBB4_2169
.LBB4_2004:                             ;   Parent Loop BB4_47 Depth=1
                                        ; =>  This Loop Header: Depth=2
                                        ;       Child Loop BB4_2012 Depth 3
                                        ;       Child Loop BB4_2036 Depth 3
	;; [unrolled: 1-line block ×9, first 2 shown]
	s_and_saveexec_b32 s13, s0
	s_cbranch_execz .LBB4_2006
; %bb.2005:                             ;   in Loop: Header=BB4_2004 Depth=2
	s_trap 2
	ds_load_b128 v[8:11], v0
	s_wait_dscnt 0x0
	v_cmp_ne_u64_e32 vcc_lo, 0, v[10:11]
	v_ashrrev_i32_e32 v117, 31, v116
	v_add_nc_u64_e32 v[14:15], v[10:11], v[118:119]
	v_add_nc_u64_e32 v[8:9], v[8:9], v[118:119]
	s_delay_alu instid0(VALU_DEP_3) | instskip(NEXT) | instid1(VALU_DEP_1)
	v_lshlrev_b64_e32 v[12:13], 1, v[116:117]
	v_add_nc_u64_e32 v[14:15], v[14:15], v[12:13]
	s_delay_alu instid0(VALU_DEP_3) | instskip(NEXT) | instid1(VALU_DEP_2)
	v_add_nc_u64_e32 v[8:9], v[8:9], v[12:13]
	v_dual_cndmask_b32 v11, 0, v15 :: v_dual_cndmask_b32 v10, 0, v14
	ds_store_b64 v0, v[8:9]
	ds_store_b64 v0, v[10:11]
.LBB4_2006:                             ;   in Loop: Header=BB4_2004 Depth=2
	s_or_b32 exec_lo, exec_lo, s13
	v_and_b32_e32 v2, 4, v30
	s_mov_b32 s40, exec_lo
	s_delay_alu instid0(VALU_DEP_1)
	v_cmpx_ne_u32_e32 0, v2
	s_cbranch_execz .LBB4_2028
; %bb.2007:                             ;   in Loop: Header=BB4_2004 Depth=2
	v_add_nc_u64_e32 v[8:9], 2, v[114:115]
	s_mov_b32 s41, exec_lo
	s_wait_loadcnt_dscnt 0x1
	s_delay_alu instid0(VALU_DEP_1)
	v_cmpx_lt_u64_e64 v[50:51], v[8:9]
	s_cbranch_execz .LBB4_2019
; %bb.2008:                             ;   in Loop: Header=BB4_2004 Depth=2
	v_and_b32_e32 v2, 64, v30
	s_mov_b32 s88, 0
	s_mov_b32 s92, 0
                                        ; implicit-def: $sgpr89
                                        ; implicit-def: $sgpr90
                                        ; implicit-def: $sgpr91
	s_delay_alu instid0(VALU_DEP_1)
	v_cmp_eq_u32_e32 vcc_lo, 0, v2
	s_branch .LBB4_2012
.LBB4_2009:                             ;   in Loop: Header=BB4_2012 Depth=3
	s_wait_loadcnt_dscnt 0x0
	v_cmp_ge_u64_e64 s13, v[50:51], v[8:9]
	s_or_b32 s95, s95, exec_lo
	s_or_not1_b32 s94, s13, exec_lo
.LBB4_2010:                             ;   in Loop: Header=BB4_2012 Depth=3
	s_or_b32 exec_lo, exec_lo, s30
	s_delay_alu instid0(SALU_CYCLE_1)
	s_and_not1_b32 s13, s91, exec_lo
	s_and_b32 s91, s95, exec_lo
	s_and_not1_b32 s90, s90, exec_lo
	s_and_b32 s94, s94, exec_lo
	s_or_b32 s91, s13, s91
	s_or_b32 s90, s90, s94
.LBB4_2011:                             ;   in Loop: Header=BB4_2012 Depth=3
	s_or_b32 exec_lo, exec_lo, s93
	s_delay_alu instid0(SALU_CYCLE_1) | instskip(NEXT) | instid1(SALU_CYCLE_1)
	s_and_b32 s13, exec_lo, s90
	s_or_b32 s88, s13, s88
	s_and_not1_b32 s13, s89, exec_lo
	s_and_b32 s89, s91, exec_lo
	s_delay_alu instid0(SALU_CYCLE_1)
	s_or_b32 s89, s13, s89
	s_and_not1_b32 exec_lo, exec_lo, s88
	s_cbranch_execz .LBB4_2016
.LBB4_2012:                             ;   Parent Loop BB4_47 Depth=1
                                        ;     Parent Loop BB4_2004 Depth=2
                                        ; =>    This Inner Loop Header: Depth=3
	s_sleep 1
	s_wait_loadcnt_dscnt 0x0
	flat_load_b64 v[50:51], v[32:33] scope:SCOPE_SYS
	s_or_b32 s91, s91, exec_lo
	s_or_b32 s90, s90, exec_lo
                                        ; implicit-def: $vgpr2
	s_wait_xcnt 0x0
	s_and_saveexec_b32 s93, vcc_lo
	s_cbranch_execz .LBB4_2011
; %bb.2013:                             ;   in Loop: Header=BB4_2012 Depth=3
	s_cmp_lt_i32 s92, 0x270f
	s_mov_b32 s94, -1
	s_cselect_b32 vcc_hi, -1, 0
	s_cmp_gt_i32 s92, 0x270e
	s_cbranch_scc0 .LBB4_2015
; %bb.2014:                             ;   in Loop: Header=BB4_2012 Depth=3
	s_trap 2
	ds_load_b64 v[10:11], v0
	s_and_not1_b32 s92, vcc_hi, exec_lo
	s_mov_b32 s95, 0
	s_wait_storecnt 0x0
	s_wait_loadcnt_dscnt 0x0
	flat_load_b32 v2, v[10:11] scope:SCOPE_SYS
	s_wait_loadcnt_dscnt 0x0
	global_inv scope:SCOPE_SYS
	v_cmp_eq_u32_e64 s13, 0, v2
	s_and_b32 s13, s13, exec_lo
	s_delay_alu instid0(SALU_CYCLE_1)
	s_or_b32 vcc_hi, s92, s13
	s_mov_b32 s92, 0
	s_wait_xcnt 0x0
	s_and_saveexec_b32 s30, vcc_hi
	s_cbranch_execz .LBB4_2010
	s_branch .LBB4_2009
.LBB4_2015:                             ;   in Loop: Header=BB4_2012 Depth=3
	s_add_co_i32 s92, s92, 1
	s_mov_b32 s95, -1
                                        ; implicit-def: $vgpr2
	s_and_saveexec_b32 s30, vcc_hi
	s_cbranch_execz .LBB4_2010
	s_branch .LBB4_2009
.LBB4_2016:                             ;   in Loop: Header=BB4_2004 Depth=2
	s_or_b32 exec_lo, exec_lo, s88
	s_xor_b32 s13, s89, -1
	s_delay_alu instid0(SALU_CYCLE_1) | instskip(NEXT) | instid1(SALU_CYCLE_1)
	s_and_saveexec_b32 s88, s13
	s_xor_b32 s13, exec_lo, s88
	s_cbranch_execz .LBB4_2018
; %bb.2017:                             ;   in Loop: Header=BB4_2004 Depth=2
	v_or_b32_e32 v30, 64, v30
	s_wait_storecnt 0x0
	s_wait_loadcnt_dscnt 0x0
	ds_store_b32 v0, v2
	s_trap 2
.LBB4_2018:                             ;   in Loop: Header=BB4_2004 Depth=2
	s_or_b32 exec_lo, exec_lo, s13
.LBB4_2019:                             ;   in Loop: Header=BB4_2004 Depth=2
	s_delay_alu instid0(SALU_CYCLE_1) | instskip(SKIP_3) | instid1(VALU_DEP_1)
	s_or_b32 exec_lo, exec_lo, s41
	v_and_b32_e32 v2, 0x100, v30
	s_mov_b32 s13, -1
	;;#ASMSTART
	s_wakeup
	;;#ASMEND
                                        ; implicit-def: $vgpr10_vgpr11
	v_cmp_ne_u32_e32 vcc_lo, 0, v2
	v_and_b32_e32 v2, 7, v114
	s_and_saveexec_b32 s41, vcc_lo
	s_cbranch_execz .LBB4_2023
; %bb.2020:                             ;   in Loop: Header=BB4_2004 Depth=2
	s_delay_alu instid0(VALU_DEP_1)
	v_mad_nc_u64_u32 v[12:13], v2, 24, v[6:7]
	flat_load_b32 v10, v[12:13]
	s_wait_loadcnt_dscnt 0x0
	v_cmp_eq_u32_e64 s13, 1, v10
	v_cmp_ne_u32_e32 vcc_lo, 1, v10
                                        ; implicit-def: $vgpr10_vgpr11
	s_wait_xcnt 0x0
	s_and_saveexec_b32 s88, s13
	s_cbranch_execz .LBB4_2022
; %bb.2021:                             ;   in Loop: Header=BB4_2004 Depth=2
	flat_load_b32 v10, v[12:13] offset:4 scope:SCOPE_SYS
	s_wait_loadcnt_dscnt 0x0
	v_ashrrev_i32_e32 v11, 31, v10
	s_delay_alu instid0(VALU_DEP_1)
	v_lshrrev_b64 v[10:11], 1, v[10:11]
.LBB4_2022:                             ;   in Loop: Header=BB4_2004 Depth=2
	s_wait_xcnt 0x0
	s_or_b32 exec_lo, exec_lo, s88
	s_delay_alu instid0(SALU_CYCLE_1)
	s_or_not1_b32 s13, vcc_lo, exec_lo
.LBB4_2023:                             ;   in Loop: Header=BB4_2004 Depth=2
	s_or_b32 exec_lo, exec_lo, s41
	s_and_saveexec_b32 s41, s13
; %bb.2024:                             ;   in Loop: Header=BB4_2004 Depth=2
	v_mul_u64_e32 v[10:11], v[2:3], v[34:35]
; %bb.2025:                             ;   in Loop: Header=BB4_2004 Depth=2
	s_or_b32 exec_lo, exec_lo, s41
	v_and_b32_e32 v2, 0x2000, v30
	s_delay_alu instid0(VALU_DEP_2)
	v_lshl_add_u64 v[10:11], v[10:11], 1, v[36:37]
	s_mov_b32 s13, exec_lo
	ds_store_b64 v0, v[10:11] offset:720
	v_cmpx_ne_u32_e32 0, v2
	s_cbranch_execz .LBB4_2027
; %bb.2026:                             ;   in Loop: Header=BB4_2004 Depth=2
	ds_load_b64 v[10:11], v0 offset:872
	s_wait_dscnt 0x0
	v_add_nc_u64_e32 v[10:11], 1, v[10:11]
	ds_store_b64 v0, v[10:11] offset:872
.LBB4_2027:                             ;   in Loop: Header=BB4_2004 Depth=2
	s_or_b32 exec_lo, exec_lo, s13
	v_mov_b64_e32 v[114:115], v[8:9]
.LBB4_2028:                             ;   in Loop: Header=BB4_2004 Depth=2
	s_or_b32 exec_lo, exec_lo, s40
	s_and_saveexec_b32 s13, s2
	s_cbranch_execz .LBB4_2047
; %bb.2029:                             ;   in Loop: Header=BB4_2004 Depth=2
	s_and_saveexec_b32 s40, s3
	s_delay_alu instid0(SALU_CYCLE_1)
	s_xor_b32 s40, exec_lo, s40
	s_cbranch_execz .LBB4_2044
; %bb.2030:                             ;   in Loop: Header=BB4_2004 Depth=2
	s_and_saveexec_b32 s41, s6
	s_cbranch_execz .LBB4_2043
; %bb.2031:                             ;   in Loop: Header=BB4_2004 Depth=2
	s_mov_b32 s89, exec_lo
	s_mov_b32 s88, exec_lo
	v_mbcnt_lo_u32_b32 v2, s89, 0
	global_wb scope:SCOPE_DEV
	s_wait_storecnt 0x0
	s_wait_loadcnt_dscnt 0x0
	global_inv scope:SCOPE_DEV
	v_cmpx_eq_u32_e32 0, v2
	s_cbranch_execz .LBB4_2033
; %bb.2032:                             ;   in Loop: Header=BB4_2004 Depth=2
	s_bcnt1_i32_b32 s89, s89
	s_delay_alu instid0(SALU_CYCLE_1)
	v_mov_b32_e32 v2, s89
	s_wait_loadcnt 0x0
	ds_add_u64 v0, v[2:3]
	s_trap 2
.LBB4_2033:                             ;   in Loop: Header=BB4_2004 Depth=2
	s_or_b32 exec_lo, exec_lo, s88
	s_trap 2
	ds_load_b64 v[8:9], v0
	s_wait_dscnt 0x0
	v_add_nc_u64_e32 v[48:49], v[48:49], v[52:53]
	s_mov_b32 s88, exec_lo
	s_delay_alu instid0(VALU_DEP_1)
	v_cmpx_lt_u64_e64 v[8:9], v[48:49]
	s_cbranch_execz .LBB4_2042
; %bb.2034:                             ;   in Loop: Header=BB4_2004 Depth=2
	s_mov_b32 s89, 0
	s_mov_b32 s92, 0
                                        ; implicit-def: $sgpr90
                                        ; implicit-def: $sgpr91
	s_branch .LBB4_2036
.LBB4_2035:                             ;   in Loop: Header=BB4_2036 Depth=3
	s_or_b32 exec_lo, exec_lo, s94
	s_delay_alu instid0(SALU_CYCLE_1) | instskip(NEXT) | instid1(SALU_CYCLE_1)
	s_and_b32 s93, exec_lo, s95
	s_or_b32 s89, s93, s89
	s_and_not1_b32 s90, s90, exec_lo
	s_and_b32 s93, s91, exec_lo
	s_delay_alu instid0(SALU_CYCLE_1)
	s_or_b32 s90, s90, s93
	s_and_not1_b32 exec_lo, exec_lo, s89
	s_cbranch_execz .LBB4_2040
.LBB4_2036:                             ;   Parent Loop BB4_47 Depth=1
                                        ;     Parent Loop BB4_2004 Depth=2
                                        ; =>    This Inner Loop Header: Depth=3
	s_add_co_i32 s92, s92, 1
	s_delay_alu instid0(SALU_CYCLE_1) | instskip(SKIP_1) | instid1(SALU_CYCLE_1)
	s_cmp_lg_u32 s92, 0x2710
	s_cselect_b32 s93, -1, 0
	s_and_b32 vcc_lo, exec_lo, s93
	s_cbranch_vccz .LBB4_2038
; %bb.2037:                             ;   in Loop: Header=BB4_2036 Depth=3
	s_mov_b32 s95, -1
	s_or_b32 s91, s91, exec_lo
	s_and_saveexec_b32 s94, s93
	s_cbranch_execz .LBB4_2035
	s_branch .LBB4_2039
.LBB4_2038:                             ;   in Loop: Header=BB4_2036 Depth=3
	s_trap 2
	ds_load_b64 v[8:9], v0
	s_and_not1_b32 s93, s93, exec_lo
	s_mov_b32 s92, 0
	s_wait_loadcnt_dscnt 0x0
	flat_load_b32 v2, v[8:9] scope:SCOPE_SYS
	s_wait_loadcnt_dscnt 0x0
	global_inv scope:SCOPE_SYS
	v_cmp_eq_u32_e32 vcc_lo, 0, v2
	s_and_b32 s94, vcc_lo, exec_lo
	s_delay_alu instid0(SALU_CYCLE_1)
	s_or_b32 s93, s93, s94
	s_mov_b32 s95, -1
	s_or_b32 s91, s91, exec_lo
	s_wait_xcnt 0x0
	s_and_saveexec_b32 s94, s93
	s_cbranch_execz .LBB4_2035
.LBB4_2039:                             ;   in Loop: Header=BB4_2036 Depth=3
	s_sleep 1
	s_trap 2
	ds_load_b64 v[8:9], v0
	s_wait_dscnt 0x0
	s_and_not1_b32 s91, s91, exec_lo
	v_cmp_ge_u64_e32 vcc_lo, v[8:9], v[48:49]
	s_or_not1_b32 s95, vcc_lo, exec_lo
	s_branch .LBB4_2035
.LBB4_2040:                             ;   in Loop: Header=BB4_2004 Depth=2
	s_or_b32 exec_lo, exec_lo, s89
	s_and_saveexec_b32 s89, s90
	s_delay_alu instid0(SALU_CYCLE_1)
	s_xor_b32 s89, exec_lo, s89
	s_cbranch_execz .LBB4_2042
; %bb.2041:                             ;   in Loop: Header=BB4_2004 Depth=2
	ds_store_b32 v0, v73
	s_trap 2
.LBB4_2042:                             ;   in Loop: Header=BB4_2004 Depth=2
	s_or_b32 exec_lo, exec_lo, s88
	;;#ASMSTART
	s_wakeup
	;;#ASMEND
.LBB4_2043:                             ;   in Loop: Header=BB4_2004 Depth=2
	s_or_b32 exec_lo, exec_lo, s41
.LBB4_2044:                             ;   in Loop: Header=BB4_2004 Depth=2
	s_and_not1_saveexec_b32 s40, s40
	s_cbranch_execz .LBB4_2046
; %bb.2045:                             ;   in Loop: Header=BB4_2004 Depth=2
	global_wb scope:SCOPE_DEV
	s_wait_storecnt 0x0
	s_wait_loadcnt_dscnt 0x0
	global_inv scope:SCOPE_DEV
	s_barrier_signal -1
	s_barrier_wait -1
.LBB4_2046:                             ;   in Loop: Header=BB4_2004 Depth=2
	s_or_b32 exec_lo, exec_lo, s40
.LBB4_2047:                             ;   in Loop: Header=BB4_2004 Depth=2
	s_delay_alu instid0(SALU_CYCLE_1) | instskip(SKIP_4) | instid1(VALU_DEP_1)
	s_or_b32 exec_lo, exec_lo, s13
	s_trap 2
	ds_load_b32 v8, v0
	v_and_b32_e32 v2, 0x4000, v30
	s_xor_b32 s13, s1, -1
	v_cmp_ne_u32_e32 vcc_lo, 0, v2
	s_and_b32 s40, s13, vcc_lo
	s_delay_alu instid0(SALU_CYCLE_1)
	s_and_saveexec_b32 s13, s40
	s_cbranch_execz .LBB4_2066
; %bb.2048:                             ;   in Loop: Header=BB4_2004 Depth=2
	s_and_saveexec_b32 s40, s3
	s_delay_alu instid0(SALU_CYCLE_1)
	s_xor_b32 s40, exec_lo, s40
	s_cbranch_execz .LBB4_2063
; %bb.2049:                             ;   in Loop: Header=BB4_2004 Depth=2
	s_and_saveexec_b32 s41, s6
	s_cbranch_execz .LBB4_2062
; %bb.2050:                             ;   in Loop: Header=BB4_2004 Depth=2
	s_mov_b32 s89, exec_lo
	s_mov_b32 s88, exec_lo
	v_mbcnt_lo_u32_b32 v2, s89, 0
	global_wb scope:SCOPE_DEV
	s_wait_storecnt 0x0
	s_wait_loadcnt_dscnt 0x0
	global_inv scope:SCOPE_DEV
	v_cmpx_eq_u32_e32 0, v2
	s_cbranch_execz .LBB4_2052
; %bb.2051:                             ;   in Loop: Header=BB4_2004 Depth=2
	s_bcnt1_i32_b32 s89, s89
	s_delay_alu instid0(SALU_CYCLE_1)
	v_mov_b32_e32 v2, s89
	s_wait_loadcnt 0x0
	ds_add_u64 v0, v[2:3]
	s_trap 2
.LBB4_2052:                             ;   in Loop: Header=BB4_2004 Depth=2
	s_or_b32 exec_lo, exec_lo, s88
	s_trap 2
	ds_load_b64 v[10:11], v0
	s_wait_dscnt 0x0
	v_add_nc_u64_e32 v[48:49], v[48:49], v[52:53]
	s_mov_b32 s88, exec_lo
	s_delay_alu instid0(VALU_DEP_1)
	v_cmpx_lt_u64_e64 v[10:11], v[48:49]
	s_cbranch_execz .LBB4_2061
; %bb.2053:                             ;   in Loop: Header=BB4_2004 Depth=2
	s_mov_b32 s89, 0
	s_mov_b32 s92, 0
                                        ; implicit-def: $sgpr90
                                        ; implicit-def: $sgpr91
	s_branch .LBB4_2055
.LBB4_2054:                             ;   in Loop: Header=BB4_2055 Depth=3
	s_or_b32 exec_lo, exec_lo, s94
	s_delay_alu instid0(SALU_CYCLE_1) | instskip(NEXT) | instid1(SALU_CYCLE_1)
	s_and_b32 s93, exec_lo, s95
	s_or_b32 s89, s93, s89
	s_and_not1_b32 s90, s90, exec_lo
	s_and_b32 s93, s91, exec_lo
	s_delay_alu instid0(SALU_CYCLE_1)
	s_or_b32 s90, s90, s93
	s_and_not1_b32 exec_lo, exec_lo, s89
	s_cbranch_execz .LBB4_2059
.LBB4_2055:                             ;   Parent Loop BB4_47 Depth=1
                                        ;     Parent Loop BB4_2004 Depth=2
                                        ; =>    This Inner Loop Header: Depth=3
	s_add_co_i32 s92, s92, 1
	s_delay_alu instid0(SALU_CYCLE_1) | instskip(SKIP_1) | instid1(SALU_CYCLE_1)
	s_cmp_lg_u32 s92, 0x2710
	s_cselect_b32 s93, -1, 0
	s_and_b32 vcc_lo, exec_lo, s93
	s_cbranch_vccz .LBB4_2057
; %bb.2056:                             ;   in Loop: Header=BB4_2055 Depth=3
	s_mov_b32 s95, -1
	s_or_b32 s91, s91, exec_lo
	s_and_saveexec_b32 s94, s93
	s_cbranch_execz .LBB4_2054
	s_branch .LBB4_2058
.LBB4_2057:                             ;   in Loop: Header=BB4_2055 Depth=3
	s_trap 2
	ds_load_b64 v[10:11], v0
	s_and_not1_b32 s93, s93, exec_lo
	s_mov_b32 s92, 0
	s_wait_loadcnt_dscnt 0x0
	flat_load_b32 v2, v[10:11] scope:SCOPE_SYS
	s_wait_loadcnt_dscnt 0x0
	global_inv scope:SCOPE_SYS
	v_cmp_eq_u32_e32 vcc_lo, 0, v2
	s_and_b32 s94, vcc_lo, exec_lo
	s_delay_alu instid0(SALU_CYCLE_1)
	s_or_b32 s93, s93, s94
	s_mov_b32 s95, -1
	s_or_b32 s91, s91, exec_lo
	s_wait_xcnt 0x0
	s_and_saveexec_b32 s94, s93
	s_cbranch_execz .LBB4_2054
.LBB4_2058:                             ;   in Loop: Header=BB4_2055 Depth=3
	s_sleep 1
	s_trap 2
	ds_load_b64 v[10:11], v0
	s_wait_dscnt 0x0
	s_and_not1_b32 s91, s91, exec_lo
	v_cmp_ge_u64_e32 vcc_lo, v[10:11], v[48:49]
	s_or_not1_b32 s95, vcc_lo, exec_lo
	s_branch .LBB4_2054
.LBB4_2059:                             ;   in Loop: Header=BB4_2004 Depth=2
	s_or_b32 exec_lo, exec_lo, s89
	s_and_saveexec_b32 s89, s90
	s_delay_alu instid0(SALU_CYCLE_1)
	s_xor_b32 s89, exec_lo, s89
	s_cbranch_execz .LBB4_2061
; %bb.2060:                             ;   in Loop: Header=BB4_2004 Depth=2
	ds_store_b32 v0, v73
	s_trap 2
.LBB4_2061:                             ;   in Loop: Header=BB4_2004 Depth=2
	s_or_b32 exec_lo, exec_lo, s88
	;;#ASMSTART
	s_wakeup
	;;#ASMEND
.LBB4_2062:                             ;   in Loop: Header=BB4_2004 Depth=2
	s_or_b32 exec_lo, exec_lo, s41
.LBB4_2063:                             ;   in Loop: Header=BB4_2004 Depth=2
	s_and_not1_saveexec_b32 s40, s40
	s_cbranch_execz .LBB4_2065
; %bb.2064:                             ;   in Loop: Header=BB4_2004 Depth=2
	global_wb scope:SCOPE_DEV
	s_wait_storecnt 0x0
	s_wait_loadcnt_dscnt 0x0
	global_inv scope:SCOPE_DEV
	s_barrier_signal -1
	s_barrier_wait -1
.LBB4_2065:                             ;   in Loop: Header=BB4_2004 Depth=2
	s_or_b32 exec_lo, exec_lo, s40
.LBB4_2066:                             ;   in Loop: Header=BB4_2004 Depth=2
	s_delay_alu instid0(SALU_CYCLE_1) | instskip(SKIP_3) | instid1(VALU_DEP_1)
	s_or_b32 exec_lo, exec_lo, s13
	s_trap 2
	ds_load_b64 v[40:41], v0
	v_sub_nc_u32_e32 v2, v58, v116
	v_min_i32_e32 v59, v59, v2
	s_wait_dscnt 0x0
	v_cmp_eq_u64_e32 vcc_lo, 0, v[40:41]
	s_cbranch_vccnz .LBB4_2074
; %bb.2067:                             ;   in Loop: Header=BB4_2004 Depth=2
	s_trap 2
	ds_load_b64 v[42:43], v0
	s_wait_dscnt 0x0
	v_cmp_eq_u64_e32 vcc_lo, 0, v[42:43]
	s_cbranch_vccnz .LBB4_2074
; %bb.2068:                             ;   in Loop: Header=BB4_2004 Depth=2
	s_mov_b32 s13, -1
	s_and_saveexec_b32 s40, s11
	s_cbranch_execz .LBB4_2070
; %bb.2069:                             ;   in Loop: Header=BB4_2004 Depth=2
	ds_load_b32 v2, v0 offset:720
	s_wait_dscnt 0x0
	v_and_b32_e32 v2, 15, v2
	s_delay_alu instid0(VALU_DEP_1)
	v_cmp_eq_u32_e32 vcc_lo, 0, v2
	s_or_not1_b32 s13, vcc_lo, exec_lo
.LBB4_2070:                             ;   in Loop: Header=BB4_2004 Depth=2
	s_or_b32 exec_lo, exec_lo, s40
	s_and_saveexec_b32 s40, s10
	s_cbranch_execz .LBB4_2072
; %bb.2071:                             ;   in Loop: Header=BB4_2004 Depth=2
	ds_load_b32 v2, v0 offset:784
	s_wait_dscnt 0x0
	v_and_b32_e32 v2, 15, v2
	s_delay_alu instid0(VALU_DEP_1) | instskip(SKIP_3) | instid1(SALU_CYCLE_1)
	v_cmp_eq_u32_e32 vcc_lo, 0, v2
	s_and_b32 s41, s13, vcc_lo
	s_and_not1_b32 s13, s13, exec_lo
	s_and_b32 s41, s41, exec_lo
	s_or_b32 s13, s13, s41
.LBB4_2072:                             ;   in Loop: Header=BB4_2004 Depth=2
	s_or_b32 exec_lo, exec_lo, s40
	s_xor_b32 s13, s13, -1
	s_mov_b32 s41, -1
	v_cndmask_b32_e64 v2, 0, 1, s13
	v_cmp_eq_u32_e64 s13, 0, v8
	s_delay_alu instid0(VALU_DEP_2)
	v_cmp_ne_u32_e32 vcc_lo, 0, v2
	s_cbranch_vccz .LBB4_2079
; %bb.2073:                             ;   in Loop: Header=BB4_2004 Depth=2
	s_mov_b32 s41, 0
	s_mov_b32 s40, -1
	s_branch .LBB4_2080
.LBB4_2074:                             ;   in Loop: Header=BB4_2004 Depth=2
	s_mov_b32 s13, 0
	s_and_saveexec_b32 s40, s2
	s_cbranch_execnz .LBB4_2130
.LBB4_2075:                             ;   in Loop: Header=BB4_2004 Depth=2
	s_or_b32 exec_lo, exec_lo, s40
	s_and_saveexec_b32 s40, s7
	s_delay_alu instid0(SALU_CYCLE_1)
	s_xor_b32 s40, exec_lo, s40
	s_cbranch_execz .LBB4_2148
.LBB4_2076:                             ;   in Loop: Header=BB4_2004 Depth=2
	v_and_b32_e32 v2, 16, v30
	s_delay_alu instid0(VALU_DEP_1) | instskip(SKIP_1) | instid1(SALU_CYCLE_1)
	v_cmp_ne_u32_e32 vcc_lo, 0, v2
	s_and_b32 s41, vcc_lo, s13
	s_and_saveexec_b32 s13, s41
	s_cbranch_execz .LBB4_2078
; %bb.2077:                             ;   in Loop: Header=BB4_2004 Depth=2
	global_wb scope:SCOPE_SYS
	s_wait_storecnt 0x0
	s_wait_loadcnt_dscnt 0x0
	global_inv scope:SCOPE_SYS
.LBB4_2078:                             ;   in Loop: Header=BB4_2004 Depth=2
	s_or_b32 exec_lo, exec_lo, s13
	s_and_not1_saveexec_b32 s13, s40
	s_cbranch_execz .LBB4_2167
	s_branch .LBB4_2149
.LBB4_2079:                             ;   in Loop: Header=BB4_2004 Depth=2
	s_mov_b32 s40, 0
.LBB4_2080:                             ;   in Loop: Header=BB4_2004 Depth=2
	v_dual_cndmask_b32 v2, 0, v59, s13 :: v_dual_mov_b32 v14, 0
	s_and_not1_b32 vcc_lo, exec_lo, s41
	s_delay_alu instid0(VALU_DEP_1)
	v_lshlrev_b32_e32 v117, 1, v2
	s_cbranch_vccnz .LBB4_2088
; %bb.2081:                             ;   in Loop: Header=BB4_2004 Depth=2
	s_delay_alu instid0(VALU_DEP_1) | instskip(SKIP_3) | instid1(VALU_DEP_2)
	v_ashrrev_i32_e32 v8, 31, v117
	v_add_nc_u64_e32 v[44:45], v[42:43], v[102:103]
	s_mov_b32 s41, 0
	s_mov_b32 s13, exec_lo
                                        ; implicit-def: $vgpr12_vgpr13
	v_lshrrev_b32_e32 v8, 22, v8
	s_delay_alu instid0(VALU_DEP_1) | instskip(NEXT) | instid1(VALU_DEP_1)
	v_add_nc_u32_e32 v8, v117, v8
	v_ashrrev_i32_e32 v60, 10, v8
                                        ; implicit-def: $vgpr8_vgpr9
	s_delay_alu instid0(VALU_DEP_1) | instskip(NEXT) | instid1(VALU_DEP_1)
	v_sub_nc_u32_e32 v61, v60, v78
	v_cmpx_lt_i32_e32 0, v61
	s_cbranch_execz .LBB4_2090
; %bb.2082:                             ;   in Loop: Header=BB4_2004 Depth=2
	v_add_nc_u64_e32 v[46:47], v[40:41], v[102:103]
	s_mov_b32 s89, 0
                                        ; implicit-def: $sgpr88
                                        ; implicit-def: $vgpr8_vgpr9
                                        ; implicit-def: $vgpr12_vgpr13
	s_branch .LBB4_2084
.LBB4_2083:                             ;   in Loop: Header=BB4_2084 Depth=3
	s_or_b32 exec_lo, exec_lo, s90
	s_delay_alu instid0(VALU_DEP_1) | instskip(NEXT) | instid1(VALU_DEP_3)
	v_sub_nc_u32_e32 v61, v61, v62
	v_add_nc_u64_e32 v[62:63], v[44:45], v[56:57]
	s_wait_loadcnt 0x1
	global_store_b128 v[44:45], v[16:19], off th:TH_STORE_NT
	s_wait_loadcnt 0x0
	global_store_b128 v[44:45], v[20:23], off offset:512 th:TH_STORE_NT
	v_add_nc_u64_e32 v[46:47], v[46:47], v[56:57]
	v_cmp_gt_i32_e32 vcc_lo, 1, v61
	s_wait_xcnt 0x0
	v_add_nc_u64_e32 v[44:45], 0x400, v[62:63]
	s_or_b32 s41, vcc_lo, s41
	s_and_not1_b32 s88, s88, exec_lo
	s_and_b32 s90, s89, exec_lo
	s_delay_alu instid0(SALU_CYCLE_1)
	s_or_b32 s88, s88, s90
	s_and_not1_b32 exec_lo, exec_lo, s41
	s_cbranch_execz .LBB4_2089
.LBB4_2084:                             ;   Parent Loop BB4_47 Depth=1
                                        ;     Parent Loop BB4_2004 Depth=2
                                        ; =>    This Inner Loop Header: Depth=3
	s_clause 0x1
	global_load_b128 v[16:19], v[46:47], off th:TH_LOAD_NT
	global_load_b128 v[20:23], v[46:47], off offset:512 th:TH_LOAD_NT
	s_wait_xcnt 0x0
	s_and_saveexec_b32 s90, s89
	s_cbranch_execz .LBB4_2086
; %bb.2085:                             ;   in Loop: Header=BB4_2084 Depth=3
	v_add_nc_u64_e32 v[56:57], v[44:45], v[86:87]
	s_clause 0x1
	global_store_b128 v[44:45], v[8:11], off th:TH_STORE_NT
	global_store_b128 v[44:45], v[12:15], off offset:512 th:TH_STORE_NT
	s_wait_xcnt 0x0
	v_mov_b64_e32 v[44:45], v[56:57]
.LBB4_2086:                             ;   in Loop: Header=BB4_2084 Depth=3
	s_or_b32 exec_lo, exec_lo, s90
	v_dual_mov_b32 v62, 0 :: v_dual_sub_nc_u32 v61, v61, v52
	v_add_nc_u64_e32 v[46:47], v[46:47], v[86:87]
	v_mov_b64_e32 v[56:57], 0
	s_delay_alu instid0(VALU_DEP_3)
	v_cmp_lt_i32_e64 s89, 0, v61
	s_and_saveexec_b32 s90, s89
	s_cbranch_execz .LBB4_2083
; %bb.2087:                             ;   in Loop: Header=BB4_2084 Depth=3
	s_clause 0x1
	global_load_b128 v[8:11], v[46:47], off th:TH_LOAD_NT
	global_load_b128 v[12:15], v[46:47], off offset:512 th:TH_LOAD_NT
	s_wait_xcnt 0x0
	v_add_nc_u64_e32 v[46:47], 0x400, v[46:47]
	v_mov_b64_e32 v[56:57], v[70:71]
	v_mov_b32_e32 v62, v52
	s_branch .LBB4_2083
.LBB4_2088:                             ;   in Loop: Header=BB4_2004 Depth=2
	v_dual_mov_b32 v15, v0 :: v_dual_mov_b32 v8, v78
	s_and_saveexec_b32 s13, s40
	s_cbranch_execnz .LBB4_2109
	s_branch .LBB4_2129
.LBB4_2089:                             ;   in Loop: Header=BB4_2004 Depth=2
	s_or_b32 exec_lo, exec_lo, s41
	s_delay_alu instid0(SALU_CYCLE_1)
	s_and_b32 s41, s88, exec_lo
.LBB4_2090:                             ;   in Loop: Header=BB4_2004 Depth=2
	s_or_b32 exec_lo, exec_lo, s13
	s_and_saveexec_b32 s13, s41
	s_cbranch_execz .LBB4_2092
; %bb.2091:                             ;   in Loop: Header=BB4_2004 Depth=2
	s_clause 0x1
	global_store_b128 v[44:45], v[8:11], off th:TH_STORE_NT
	global_store_b128 v[44:45], v[12:15], off offset:512 th:TH_STORE_NT
.LBB4_2092:                             ;   in Loop: Header=BB4_2004 Depth=2
	s_wait_xcnt 0x0
	s_or_b32 exec_lo, exec_lo, s13
	v_lshlrev_b32_e32 v20, 10, v60
	s_mov_b32 s41, exec_lo
                                        ; implicit-def: $vgpr14
                                        ; implicit-def: $vgpr15
                                        ; implicit-def: $vgpr8
	s_delay_alu instid0(VALU_DEP_1)
	v_cmpx_ne_u32_e64 v117, v20
	s_cbranch_execz .LBB4_2108
; %bb.2093:                             ;   in Loop: Header=BB4_2004 Depth=2
	v_dual_lshlrev_b32 v8, 5, v61 :: v_dual_sub_nc_u32 v12, v117, v20
	s_mov_b32 s89, 0
	s_mov_b32 s88, exec_lo
	s_delay_alu instid0(VALU_DEP_1) | instskip(NEXT) | instid1(VALU_DEP_2)
	v_sub_nc_u32_e32 v8, v0, v8
	v_ashrrev_i32_e32 v11, 31, v12
	s_delay_alu instid0(VALU_DEP_2) | instskip(NEXT) | instid1(VALU_DEP_1)
	v_ashrrev_i32_e32 v9, 31, v8
	v_lshrrev_b32_e32 v9, 27, v9
	s_delay_alu instid0(VALU_DEP_1) | instskip(NEXT) | instid1(VALU_DEP_1)
	v_add_nc_u32_e32 v9, v8, v9
	v_and_b32_e32 v10, 0xffffffe0, v9
	s_delay_alu instid0(VALU_DEP_1) | instskip(NEXT) | instid1(VALU_DEP_1)
	v_dual_ashrrev_i32 v9, 5, v9 :: v_dual_sub_nc_u32 v22, v8, v10
	v_dual_lshrrev_b32 v8, 23, v11 :: v_dual_lshlrev_b32 v10, 4, v22
	s_delay_alu instid0(VALU_DEP_1) | instskip(NEXT) | instid1(VALU_DEP_2)
	v_add_nc_u32_e32 v8, v12, v8
	v_lshl_add_u32 v13, v9, 9, v10
	s_delay_alu instid0(VALU_DEP_2) | instskip(NEXT) | instid1(VALU_DEP_1)
	v_and_b32_e32 v21, 0xfffffe00, v8
	v_dual_add_nc_u32 v10, v13, v20 :: v_dual_sub_nc_u32 v23, v12, v21
	v_dual_ashrrev_i32 v8, 9, v8 :: v_dual_sub_nc_u32 v45, v12, v13
	s_delay_alu instid0(VALU_DEP_2) | instskip(NEXT) | instid1(VALU_DEP_3)
	v_ashrrev_i32_e32 v11, 31, v10
	v_cmp_lt_i32_e32 vcc_lo, 15, v23
	s_delay_alu instid0(VALU_DEP_2) | instskip(NEXT) | instid1(VALU_DEP_4)
	v_add_nc_u64_e32 v[16:17], v[10:11], v[42:43]
	v_add_co_ci_u32_e64 v8, null, 0, v8, vcc_lo
	s_delay_alu instid0(VALU_DEP_1)
	v_sub_nc_u32_e32 v44, v8, v9
                                        ; implicit-def: $vgpr8_vgpr9
	v_cmpx_lt_i32_e32 15, v45
	s_cbranch_execz .LBB4_2103
; %bb.2094:                             ;   in Loop: Header=BB4_2004 Depth=2
	v_add_nc_u64_e32 v[18:19], v[10:11], v[40:41]
	s_mov_b32 s91, 0
                                        ; implicit-def: $sgpr90
                                        ; implicit-def: $vgpr8_vgpr9
	s_branch .LBB4_2096
.LBB4_2095:                             ;   in Loop: Header=BB4_2096 Depth=3
	s_or_b32 exec_lo, exec_lo, s13
	s_delay_alu instid0(VALU_DEP_1) | instskip(SKIP_3) | instid1(SALU_CYCLE_1)
	v_cmp_gt_i32_e64 s13, 16, v45
	s_or_b32 s89, s13, s89
	s_and_not1_b32 s13, s90, exec_lo
	s_and_b32 s90, s91, exec_lo
	s_or_b32 s90, s13, s90
	s_and_not1_b32 exec_lo, exec_lo, s89
	s_cbranch_execz .LBB4_2102
.LBB4_2096:                             ;   Parent Loop BB4_47 Depth=1
                                        ;     Parent Loop BB4_2004 Depth=2
                                        ; =>    This Inner Loop Header: Depth=3
	global_load_b128 v[12:15], v[18:19], off th:TH_LOAD_NT
	s_wait_xcnt 0x0
	s_and_saveexec_b32 s13, s91
	s_cbranch_execz .LBB4_2098
; %bb.2097:                             ;   in Loop: Header=BB4_2096 Depth=3
	v_add_nc_u64_e32 v[46:47], v[16:17], v[98:99]
	global_store_b128 v[16:17], v[8:11], off th:TH_STORE_NT
	s_wait_xcnt 0x0
	v_mov_b64_e32 v[16:17], v[46:47]
.LBB4_2098:                             ;   in Loop: Header=BB4_2096 Depth=3
	s_or_b32 exec_lo, exec_lo, s13
	v_sub_nc_u32_e32 v45, v45, v76
	v_add_nc_u64_e32 v[18:19], v[18:19], v[98:99]
	s_delay_alu instid0(VALU_DEP_2)
	v_cmp_lt_i32_e64 s91, 15, v45
	s_and_saveexec_b32 s13, s91
	s_cbranch_execz .LBB4_2100
; %bb.2099:                             ;   in Loop: Header=BB4_2096 Depth=3
	global_load_b128 v[8:11], v[18:19], off th:TH_LOAD_NT
	s_wait_xcnt 0x0
	v_add_nc_u64_e32 v[18:19], 0x200, v[18:19]
.LBB4_2100:                             ;   in Loop: Header=BB4_2096 Depth=3
	s_or_b32 exec_lo, exec_lo, s13
	s_wait_loadcnt 0x0
	global_store_b128 v[16:17], v[12:15], off th:TH_STORE_NT
	s_wait_xcnt 0x0
	v_add_nc_u64_e32 v[16:17], 0x200, v[16:17]
	v_sub_nc_u32_e32 v44, v44, v52
	s_and_saveexec_b32 s13, s91
	s_cbranch_execz .LBB4_2095
; %bb.2101:                             ;   in Loop: Header=BB4_2096 Depth=3
	v_add_nc_u64_e32 v[18:19], v[18:19], v[82:83]
	s_delay_alu instid0(VALU_DEP_3)
	v_add_nc_u64_e32 v[16:17], v[16:17], v[82:83]
	v_sub_nc_u32_e32 v44, v44, v52
	v_sub_nc_u32_e32 v45, v45, v76
	s_branch .LBB4_2095
.LBB4_2102:                             ;   in Loop: Header=BB4_2004 Depth=2
	s_or_b32 exec_lo, exec_lo, s89
	s_delay_alu instid0(SALU_CYCLE_1)
	s_and_b32 s89, s90, exec_lo
.LBB4_2103:                             ;   in Loop: Header=BB4_2004 Depth=2
	s_or_b32 exec_lo, exec_lo, s88
	s_and_saveexec_b32 s13, s89
	s_cbranch_execz .LBB4_2105
; %bb.2104:                             ;   in Loop: Header=BB4_2004 Depth=2
	global_store_b128 v[16:17], v[8:11], off th:TH_STORE_NT
.LBB4_2105:                             ;   in Loop: Header=BB4_2004 Depth=2
	s_wait_xcnt 0x0
	s_or_b32 exec_lo, exec_lo, s13
	v_and_b32_e32 v9, 14, v117
	s_mov_b32 s89, s40
	s_mov_b32 s88, exec_lo
                                        ; implicit-def: $vgpr14
                                        ; implicit-def: $vgpr15
                                        ; implicit-def: $vgpr8
	s_delay_alu instid0(VALU_DEP_1) | instskip(NEXT) | instid1(VALU_DEP_1)
	v_cndmask_b32_e32 v117, v23, v9, vcc_lo
	v_cmpx_ne_u32_e32 0, v117
	s_cbranch_execz .LBB4_2107
; %bb.2106:                             ;   in Loop: Header=BB4_2004 Depth=2
	v_cmp_lt_i32_e64 s13, 0, v44
	s_or_b32 s89, s40, exec_lo
	v_dual_sub_nc_u32 v9, v23, v9 :: v_dual_cndmask_b32 v8, 0, v52, s13
	s_delay_alu instid0(VALU_DEP_1) | instskip(NEXT) | instid1(VALU_DEP_1)
	v_dual_cndmask_b32 v9, 0, v9 :: v_dual_sub_nc_u32 v8, v8, v44
	v_add3_u32 v14, v21, v20, v9
	s_delay_alu instid0(VALU_DEP_2) | instskip(NEXT) | instid1(VALU_DEP_1)
	v_lshl_add_u32 v10, v8, 5, v22
	v_ashrrev_i32_e32 v8, 31, v10
	s_delay_alu instid0(VALU_DEP_1) | instskip(NEXT) | instid1(VALU_DEP_1)
	v_lshrrev_b32_e32 v8, 27, v8
	v_add_nc_u32_e32 v8, v10, v8
	s_delay_alu instid0(VALU_DEP_1) | instskip(NEXT) | instid1(VALU_DEP_1)
	v_and_b32_e32 v11, 0xffffffe0, v8
	v_dual_ashrrev_i32 v8, 5, v8 :: v_dual_sub_nc_u32 v15, v10, v11
.LBB4_2107:                             ;   in Loop: Header=BB4_2004 Depth=2
	s_or_b32 exec_lo, exec_lo, s88
	s_delay_alu instid0(SALU_CYCLE_1) | instskip(SKIP_1) | instid1(SALU_CYCLE_1)
	s_and_not1_b32 s13, s40, exec_lo
	s_and_b32 s40, s89, exec_lo
	s_or_b32 s40, s13, s40
.LBB4_2108:                             ;   in Loop: Header=BB4_2004 Depth=2
	s_or_b32 exec_lo, exec_lo, s41
	s_and_saveexec_b32 s13, s40
	s_cbranch_execz .LBB4_2129
.LBB4_2109:                             ;   in Loop: Header=BB4_2004 Depth=2
	s_delay_alu instid0(VALU_DEP_1) | instskip(SKIP_2) | instid1(VALU_DEP_1)
	v_dual_ashrrev_i32 v9, 31, v117 :: v_dual_lshlrev_b32 v10, 8, v8
	s_mov_b32 s41, 0
	s_mov_b32 s40, exec_lo
                                        ; implicit-def: $vgpr17
                                        ; implicit-def: $vgpr18
                                        ; implicit-def: $vgpr19
                                        ; implicit-def: $vgpr20
	v_dual_lshlrev_b32 v11, 1, v15 :: v_dual_lshrrev_b32 v9, 24, v9
	s_delay_alu instid0(VALU_DEP_1) | instskip(NEXT) | instid1(VALU_DEP_1)
	v_add3_u32 v10, v14, v11, v10
	v_dual_add_nc_u32 v9, v117, v9 :: v_dual_ashrrev_i32 v11, 31, v10
	s_delay_alu instid0(VALU_DEP_1) | instskip(NEXT) | instid1(VALU_DEP_1)
	v_ashrrev_i32_e32 v16, 8, v9
	v_sub_nc_u32_e32 v21, v16, v8
	s_delay_alu instid0(VALU_DEP_3) | instskip(NEXT) | instid1(VALU_DEP_2)
	v_add_nc_u64_e32 v[8:9], v[42:43], v[10:11]
	v_cmpx_lt_i32_e32 0, v21
	s_cbranch_execz .LBB4_2117
; %bb.2110:                             ;   in Loop: Header=BB4_2004 Depth=2
	v_add_nc_u64_e32 v[10:11], v[10:11], v[40:41]
	s_mov_b32 s89, 0
                                        ; implicit-def: $sgpr88
                                        ; implicit-def: $vgpr17
                                        ; implicit-def: $vgpr18
                                        ; implicit-def: $vgpr19
                                        ; implicit-def: $vgpr20
	s_branch .LBB4_2112
.LBB4_2111:                             ;   in Loop: Header=BB4_2112 Depth=3
	s_or_b32 exec_lo, exec_lo, s90
	s_delay_alu instid0(VALU_DEP_1) | instskip(NEXT) | instid1(VALU_DEP_3)
	v_sub_nc_u32_e32 v21, v21, v46
	v_add_nc_u64_e32 v[46:47], v[8:9], v[12:13]
	s_wait_loadcnt_dscnt 0x303
	flat_store_b16 v[8:9], v22 th:TH_STORE_NT
	s_wait_loadcnt_dscnt 0x203
	flat_store_b16 v[8:9], v23 offset:64 th:TH_STORE_NT
	s_wait_loadcnt_dscnt 0x103
	flat_store_b16 v[8:9], v44 offset:128 th:TH_STORE_NT
	;; [unrolled: 2-line block ×3, first 2 shown]
	v_add_nc_u64_e32 v[10:11], v[10:11], v[12:13]
	v_cmp_gt_i32_e32 vcc_lo, 1, v21
	s_wait_xcnt 0x0
	v_add_nc_u64_e32 v[8:9], 0x100, v[46:47]
	s_or_b32 s41, vcc_lo, s41
	s_and_not1_b32 s88, s88, exec_lo
	s_and_b32 s90, s89, exec_lo
	s_delay_alu instid0(SALU_CYCLE_1)
	s_or_b32 s88, s88, s90
	s_and_not1_b32 exec_lo, exec_lo, s41
	s_cbranch_execz .LBB4_2116
.LBB4_2112:                             ;   Parent Loop BB4_47 Depth=1
                                        ;     Parent Loop BB4_2004 Depth=2
                                        ; =>    This Inner Loop Header: Depth=3
	s_clause 0x3
	flat_load_u16 v22, v[10:11] th:TH_LOAD_NT
	flat_load_u16 v23, v[10:11] offset:64 th:TH_LOAD_NT
	flat_load_u16 v44, v[10:11] offset:128 th:TH_LOAD_NT
	flat_load_u16 v45, v[10:11] offset:192 th:TH_LOAD_NT
	s_wait_xcnt 0x0
	s_and_saveexec_b32 s90, s89
	s_cbranch_execz .LBB4_2114
; %bb.2113:                             ;   in Loop: Header=BB4_2112 Depth=3
	s_clause 0x3
	flat_store_b16 v[8:9], v17 th:TH_STORE_NT
	flat_store_b16 v[8:9], v18 offset:64 th:TH_STORE_NT
	flat_store_b16 v[8:9], v19 offset:128 th:TH_STORE_NT
	flat_store_b16 v[8:9], v20 offset:192 th:TH_STORE_NT
	s_wait_xcnt 0x0
	v_add_nc_u64_e32 v[8:9], v[8:9], v[96:97]
.LBB4_2114:                             ;   in Loop: Header=BB4_2112 Depth=3
	s_or_b32 exec_lo, exec_lo, s90
	v_dual_mov_b32 v46, 0 :: v_dual_sub_nc_u32 v21, v21, v52
	v_add_nc_u64_e32 v[10:11], v[10:11], v[96:97]
	v_mov_b64_e32 v[12:13], 0
	s_delay_alu instid0(VALU_DEP_3)
	v_cmp_lt_i32_e64 s89, 0, v21
	s_and_saveexec_b32 s90, s89
	s_cbranch_execz .LBB4_2111
; %bb.2115:                             ;   in Loop: Header=BB4_2112 Depth=3
	s_clause 0x3
	flat_load_u16 v17, v[10:11] th:TH_LOAD_NT
	flat_load_u16 v18, v[10:11] offset:64 th:TH_LOAD_NT
	flat_load_u16 v19, v[10:11] offset:128 th:TH_LOAD_NT
	;; [unrolled: 1-line block ×3, first 2 shown]
	s_wait_xcnt 0x0
	v_add_nc_u64_e32 v[10:11], 0x100, v[10:11]
	v_mov_b64_e32 v[12:13], v[80:81]
	v_mov_b32_e32 v46, v52
	s_branch .LBB4_2111
.LBB4_2116:                             ;   in Loop: Header=BB4_2004 Depth=2
	s_or_b32 exec_lo, exec_lo, s41
	s_delay_alu instid0(SALU_CYCLE_1)
	s_and_b32 s41, s88, exec_lo
.LBB4_2117:                             ;   in Loop: Header=BB4_2004 Depth=2
	s_or_b32 exec_lo, exec_lo, s40
	s_and_saveexec_b32 s40, s41
	s_cbranch_execz .LBB4_2119
; %bb.2118:                             ;   in Loop: Header=BB4_2004 Depth=2
	s_clause 0x3
	flat_store_b16 v[8:9], v17 th:TH_STORE_NT
	flat_store_b16 v[8:9], v18 offset:64 th:TH_STORE_NT
	flat_store_b16 v[8:9], v19 offset:128 th:TH_STORE_NT
	;; [unrolled: 1-line block ×3, first 2 shown]
.LBB4_2119:                             ;   in Loop: Header=BB4_2004 Depth=2
	s_wait_xcnt 0x0
	s_or_b32 exec_lo, exec_lo, s40
	v_lshlrev_b32_e32 v8, 8, v16
	s_delay_alu instid0(VALU_DEP_1)
	v_cmp_ne_u32_e32 vcc_lo, v117, v8
	s_and_b32 exec_lo, exec_lo, vcc_lo
	s_cbranch_execz .LBB4_2129
; %bb.2120:                             ;   in Loop: Header=BB4_2004 Depth=2
	v_lshlrev_b32_e32 v9, 5, v21
	s_delay_alu instid0(VALU_DEP_1) | instskip(NEXT) | instid1(VALU_DEP_1)
	v_sub_nc_u32_e32 v9, v15, v9
	v_ashrrev_i32_e32 v10, 31, v9
	s_delay_alu instid0(VALU_DEP_1) | instskip(NEXT) | instid1(VALU_DEP_1)
	v_lshrrev_b32_e32 v10, 27, v10
	v_add_nc_u32_e32 v10, v9, v10
	s_delay_alu instid0(VALU_DEP_1) | instskip(NEXT) | instid1(VALU_DEP_1)
	v_and_b32_e32 v11, 0x7fffffe0, v10
	v_dual_lshlrev_b32 v10, 1, v10 :: v_dual_sub_nc_u32 v9, v9, v11
	s_delay_alu instid0(VALU_DEP_1) | instskip(NEXT) | instid1(VALU_DEP_2)
	v_and_b32_e32 v10, 0xffffffc0, v10
	v_lshlrev_b32_e32 v9, 1, v9
	s_delay_alu instid0(VALU_DEP_1) | instskip(NEXT) | instid1(VALU_DEP_1)
	v_add3_u32 v8, v10, v9, v8
	v_sub_nc_u32_e32 v15, v117, v8
	s_delay_alu instid0(VALU_DEP_1)
	v_cmp_lt_i32_e32 vcc_lo, 1, v15
	s_and_b32 exec_lo, exec_lo, vcc_lo
	s_cbranch_execz .LBB4_2129
; %bb.2121:                             ;   in Loop: Header=BB4_2004 Depth=2
	v_add_nc_u32_e32 v10, v8, v14
	s_mov_b32 s88, 0
	s_mov_b32 s40, 0
                                        ; implicit-def: $sgpr41
                                        ; implicit-def: $vgpr14
	s_delay_alu instid0(VALU_DEP_1) | instskip(NEXT) | instid1(VALU_DEP_1)
	v_ashrrev_i32_e32 v11, 31, v10
	v_add_nc_u64_e32 v[8:9], v[42:43], v[10:11]
	v_add_nc_u64_e32 v[10:11], v[10:11], v[40:41]
	s_branch .LBB4_2123
.LBB4_2122:                             ;   in Loop: Header=BB4_2123 Depth=3
	s_or_b32 exec_lo, exec_lo, s89
	s_delay_alu instid0(VALU_DEP_1) | instskip(NEXT) | instid1(VALU_DEP_3)
	v_sub_nc_u32_e32 v15, v15, v17
	v_add_nc_u64_e32 v[18:19], v[8:9], v[12:13]
	s_wait_loadcnt_dscnt 0x0
	flat_store_b16 v[8:9], v16 th:TH_STORE_NT
	v_add_nc_u64_e32 v[10:11], v[10:11], v[12:13]
	v_cmp_gt_i32_e32 vcc_lo, 2, v15
	s_wait_xcnt 0x0
	v_add_nc_u64_e32 v[8:9], 64, v[18:19]
	s_or_b32 s40, vcc_lo, s40
	s_and_not1_b32 s41, s41, exec_lo
	s_and_b32 s89, s88, exec_lo
	s_delay_alu instid0(SALU_CYCLE_1)
	s_or_b32 s41, s41, s89
	s_and_not1_b32 exec_lo, exec_lo, s40
	s_cbranch_execz .LBB4_2127
.LBB4_2123:                             ;   Parent Loop BB4_47 Depth=1
                                        ;     Parent Loop BB4_2004 Depth=2
                                        ; =>    This Inner Loop Header: Depth=3
	flat_load_u16 v16, v[10:11] th:TH_LOAD_NT
	s_wait_xcnt 0x0
	s_and_saveexec_b32 s89, s88
	s_cbranch_execz .LBB4_2125
; %bb.2124:                             ;   in Loop: Header=BB4_2123 Depth=3
	v_add_nc_u64_e32 v[12:13], v[8:9], v[100:101]
	flat_store_b16 v[8:9], v14 th:TH_STORE_NT
	s_wait_xcnt 0x0
	v_mov_b64_e32 v[8:9], v[12:13]
.LBB4_2125:                             ;   in Loop: Header=BB4_2123 Depth=3
	s_or_b32 exec_lo, exec_lo, s89
	v_dual_sub_nc_u32 v15, v15, v77 :: v_dual_mov_b32 v17, 0
	v_add_nc_u64_e32 v[10:11], v[10:11], v[100:101]
	v_mov_b64_e32 v[12:13], 0
	s_delay_alu instid0(VALU_DEP_3)
	v_cmp_lt_i32_e64 s88, 1, v15
	s_and_saveexec_b32 s89, s88
	s_cbranch_execz .LBB4_2122
; %bb.2126:                             ;   in Loop: Header=BB4_2123 Depth=3
	flat_load_u16 v14, v[10:11] th:TH_LOAD_NT
	s_wait_xcnt 0x0
	v_add_nc_u64_e32 v[10:11], 64, v[10:11]
	v_mov_b64_e32 v[12:13], v[84:85]
	v_mov_b32_e32 v17, v77
	s_branch .LBB4_2122
.LBB4_2127:                             ;   in Loop: Header=BB4_2004 Depth=2
	s_or_b32 exec_lo, exec_lo, s40
	s_delay_alu instid0(SALU_CYCLE_1)
	s_and_b32 exec_lo, exec_lo, s41
	s_cbranch_execz .LBB4_2129
; %bb.2128:                             ;   in Loop: Header=BB4_2004 Depth=2
	flat_store_b16 v[8:9], v14 th:TH_STORE_NT
.LBB4_2129:                             ;   in Loop: Header=BB4_2004 Depth=2
	s_wait_xcnt 0x0
	s_or_b32 exec_lo, exec_lo, s13
	v_cmp_lt_i32_e64 s13, 0, v2
	s_and_saveexec_b32 s40, s2
	s_cbranch_execz .LBB4_2075
.LBB4_2130:                             ;   in Loop: Header=BB4_2004 Depth=2
	s_and_saveexec_b32 s41, s3
	s_delay_alu instid0(SALU_CYCLE_1)
	s_xor_b32 s41, exec_lo, s41
	s_cbranch_execz .LBB4_2145
; %bb.2131:                             ;   in Loop: Header=BB4_2004 Depth=2
	s_and_saveexec_b32 s88, s6
	s_cbranch_execz .LBB4_2144
; %bb.2132:                             ;   in Loop: Header=BB4_2004 Depth=2
	s_mov_b32 s90, exec_lo
	s_mov_b32 s89, exec_lo
	v_mbcnt_lo_u32_b32 v2, s90, 0
	global_wb scope:SCOPE_DEV
	s_wait_storecnt 0x0
	s_wait_loadcnt_dscnt 0x0
	global_inv scope:SCOPE_DEV
	v_cmpx_eq_u32_e32 0, v2
	s_cbranch_execz .LBB4_2134
; %bb.2133:                             ;   in Loop: Header=BB4_2004 Depth=2
	s_bcnt1_i32_b32 s90, s90
	s_delay_alu instid0(SALU_CYCLE_1)
	v_mov_b32_e32 v2, s90
	s_wait_loadcnt 0x0
	ds_add_u64 v0, v[2:3]
	s_trap 2
.LBB4_2134:                             ;   in Loop: Header=BB4_2004 Depth=2
	s_or_b32 exec_lo, exec_lo, s89
	s_trap 2
	ds_load_b64 v[8:9], v0
	s_wait_dscnt 0x0
	v_add_nc_u64_e32 v[48:49], v[48:49], v[52:53]
	s_mov_b32 s89, exec_lo
	s_delay_alu instid0(VALU_DEP_1)
	v_cmpx_lt_u64_e64 v[8:9], v[48:49]
	s_cbranch_execz .LBB4_2143
; %bb.2135:                             ;   in Loop: Header=BB4_2004 Depth=2
	s_mov_b32 s90, 0
	s_mov_b32 s93, 0
                                        ; implicit-def: $sgpr91
                                        ; implicit-def: $sgpr92
	s_branch .LBB4_2137
.LBB4_2136:                             ;   in Loop: Header=BB4_2137 Depth=3
	s_or_b32 exec_lo, exec_lo, s95
	s_delay_alu instid0(SALU_CYCLE_1) | instskip(NEXT) | instid1(SALU_CYCLE_1)
	s_and_b32 s94, exec_lo, vcc_lo
	s_or_b32 s90, s94, s90
	s_and_not1_b32 s91, s91, exec_lo
	s_and_b32 s94, s92, exec_lo
	s_delay_alu instid0(SALU_CYCLE_1)
	s_or_b32 s91, s91, s94
	s_and_not1_b32 exec_lo, exec_lo, s90
	s_cbranch_execz .LBB4_2141
.LBB4_2137:                             ;   Parent Loop BB4_47 Depth=1
                                        ;     Parent Loop BB4_2004 Depth=2
                                        ; =>    This Inner Loop Header: Depth=3
	s_add_co_i32 s93, s93, 1
	s_delay_alu instid0(SALU_CYCLE_1) | instskip(SKIP_1) | instid1(SALU_CYCLE_1)
	s_cmp_lg_u32 s93, 0x2710
	s_cselect_b32 s94, -1, 0
	s_and_b32 vcc_lo, exec_lo, s94
	s_cbranch_vccz .LBB4_2139
; %bb.2138:                             ;   in Loop: Header=BB4_2137 Depth=3
	s_mov_b32 vcc_lo, -1
	s_or_b32 s92, s92, exec_lo
	s_and_saveexec_b32 s95, s94
	s_cbranch_execz .LBB4_2136
	s_branch .LBB4_2140
.LBB4_2139:                             ;   in Loop: Header=BB4_2137 Depth=3
	s_trap 2
	ds_load_b64 v[8:9], v0
	s_and_not1_b32 s94, s94, exec_lo
	s_mov_b32 s93, 0
	s_wait_loadcnt_dscnt 0x0
	flat_load_b32 v2, v[8:9] scope:SCOPE_SYS
	s_wait_loadcnt_dscnt 0x0
	global_inv scope:SCOPE_SYS
	v_cmp_eq_u32_e32 vcc_lo, 0, v2
	s_and_b32 s95, vcc_lo, exec_lo
	s_delay_alu instid0(SALU_CYCLE_1)
	s_or_b32 s94, s94, s95
	s_mov_b32 vcc_lo, -1
	s_or_b32 s92, s92, exec_lo
	s_and_saveexec_b32 s95, s94
	s_cbranch_execz .LBB4_2136
.LBB4_2140:                             ;   in Loop: Header=BB4_2137 Depth=3
	s_sleep 1
	s_trap 2
	ds_load_b64 v[8:9], v0
	s_wait_dscnt 0x0
	s_and_not1_b32 s92, s92, exec_lo
	v_cmp_ge_u64_e32 vcc_lo, v[8:9], v[48:49]
	s_or_not1_b32 vcc_lo, vcc_lo, exec_lo
	s_branch .LBB4_2136
.LBB4_2141:                             ;   in Loop: Header=BB4_2004 Depth=2
	s_or_b32 exec_lo, exec_lo, s90
	s_and_saveexec_b32 s90, s91
	s_delay_alu instid0(SALU_CYCLE_1)
	s_xor_b32 s90, exec_lo, s90
	s_cbranch_execz .LBB4_2143
; %bb.2142:                             ;   in Loop: Header=BB4_2004 Depth=2
	ds_store_b32 v0, v73
	s_trap 2
.LBB4_2143:                             ;   in Loop: Header=BB4_2004 Depth=2
	s_or_b32 exec_lo, exec_lo, s89
	;;#ASMSTART
	s_wakeup
	;;#ASMEND
.LBB4_2144:                             ;   in Loop: Header=BB4_2004 Depth=2
	s_or_b32 exec_lo, exec_lo, s88
.LBB4_2145:                             ;   in Loop: Header=BB4_2004 Depth=2
	s_and_not1_saveexec_b32 s41, s41
	s_cbranch_execz .LBB4_2147
; %bb.2146:                             ;   in Loop: Header=BB4_2004 Depth=2
	global_wb scope:SCOPE_DEV
	s_wait_storecnt 0x0
	s_wait_loadcnt_dscnt 0x0
	global_inv scope:SCOPE_DEV
	s_barrier_signal -1
	s_barrier_wait -1
.LBB4_2147:                             ;   in Loop: Header=BB4_2004 Depth=2
	s_or_b32 exec_lo, exec_lo, s41
	s_delay_alu instid0(SALU_CYCLE_1) | instskip(SKIP_1) | instid1(SALU_CYCLE_1)
	s_or_b32 exec_lo, exec_lo, s40
	s_and_saveexec_b32 s40, s7
	s_xor_b32 s40, exec_lo, s40
	s_cbranch_execnz .LBB4_2076
.LBB4_2148:                             ;   in Loop: Header=BB4_2004 Depth=2
	s_and_not1_saveexec_b32 s13, s40
	s_cbranch_execz .LBB4_2167
.LBB4_2149:                             ;   in Loop: Header=BB4_2004 Depth=2
	s_and_saveexec_b32 s40, s3
	s_delay_alu instid0(SALU_CYCLE_1)
	s_xor_b32 s40, exec_lo, s40
	s_cbranch_execz .LBB4_2164
; %bb.2150:                             ;   in Loop: Header=BB4_2004 Depth=2
	s_and_saveexec_b32 s41, s6
	s_cbranch_execz .LBB4_2163
; %bb.2151:                             ;   in Loop: Header=BB4_2004 Depth=2
	s_mov_b32 s89, exec_lo
	s_mov_b32 s88, exec_lo
	v_mbcnt_lo_u32_b32 v2, s89, 0
	;;#ASMSTART
	s_waitcnt lgkmcnt(0) vmcnt(0)
	;;#ASMEND
	s_delay_alu instid0(VALU_DEP_1)
	v_cmpx_eq_u32_e32 0, v2
	s_cbranch_execz .LBB4_2153
; %bb.2152:                             ;   in Loop: Header=BB4_2004 Depth=2
	s_bcnt1_i32_b32 s89, s89
	s_delay_alu instid0(SALU_CYCLE_1)
	v_mov_b32_e32 v2, s89
	s_wait_storecnt 0x0
	s_wait_loadcnt_dscnt 0x0
	ds_add_u64 v0, v[2:3]
	s_trap 2
.LBB4_2153:                             ;   in Loop: Header=BB4_2004 Depth=2
	s_or_b32 exec_lo, exec_lo, s88
	s_trap 2
	ds_load_b64 v[8:9], v0
	s_wait_dscnt 0x0
	v_add_nc_u64_e32 v[48:49], v[48:49], v[52:53]
	s_mov_b32 s88, exec_lo
	s_delay_alu instid0(VALU_DEP_1)
	v_cmpx_lt_u64_e64 v[8:9], v[48:49]
	s_cbranch_execz .LBB4_2162
; %bb.2154:                             ;   in Loop: Header=BB4_2004 Depth=2
	s_mov_b32 s89, 0
	s_mov_b32 s92, 0
                                        ; implicit-def: $sgpr90
                                        ; implicit-def: $sgpr91
	s_branch .LBB4_2156
.LBB4_2155:                             ;   in Loop: Header=BB4_2156 Depth=3
	s_or_b32 exec_lo, exec_lo, s94
	s_delay_alu instid0(SALU_CYCLE_1) | instskip(NEXT) | instid1(SALU_CYCLE_1)
	s_and_b32 s93, exec_lo, s95
	s_or_b32 s89, s93, s89
	s_and_not1_b32 s90, s90, exec_lo
	s_and_b32 s93, s91, exec_lo
	s_delay_alu instid0(SALU_CYCLE_1)
	s_or_b32 s90, s90, s93
	s_and_not1_b32 exec_lo, exec_lo, s89
	s_cbranch_execz .LBB4_2160
.LBB4_2156:                             ;   Parent Loop BB4_47 Depth=1
                                        ;     Parent Loop BB4_2004 Depth=2
                                        ; =>    This Inner Loop Header: Depth=3
	s_add_co_i32 s92, s92, 1
	s_delay_alu instid0(SALU_CYCLE_1) | instskip(SKIP_1) | instid1(SALU_CYCLE_1)
	s_cmp_lg_u32 s92, 0x2710
	s_cselect_b32 s93, -1, 0
	s_and_b32 vcc_lo, exec_lo, s93
	s_cbranch_vccz .LBB4_2158
; %bb.2157:                             ;   in Loop: Header=BB4_2156 Depth=3
	s_mov_b32 s95, -1
	s_or_b32 s91, s91, exec_lo
	s_and_saveexec_b32 s94, s93
	s_cbranch_execz .LBB4_2155
	s_branch .LBB4_2159
.LBB4_2158:                             ;   in Loop: Header=BB4_2156 Depth=3
	s_trap 2
	ds_load_b64 v[8:9], v0
	s_and_not1_b32 s93, s93, exec_lo
	s_mov_b32 s92, 0
	s_wait_storecnt 0x0
	s_wait_loadcnt_dscnt 0x0
	flat_load_b32 v2, v[8:9] scope:SCOPE_SYS
	s_wait_loadcnt_dscnt 0x0
	global_inv scope:SCOPE_SYS
	v_cmp_eq_u32_e32 vcc_lo, 0, v2
	s_and_b32 s94, vcc_lo, exec_lo
	s_delay_alu instid0(SALU_CYCLE_1)
	s_or_b32 s93, s93, s94
	s_mov_b32 s95, -1
	s_or_b32 s91, s91, exec_lo
	s_and_saveexec_b32 s94, s93
	s_cbranch_execz .LBB4_2155
.LBB4_2159:                             ;   in Loop: Header=BB4_2156 Depth=3
	s_sleep 1
	s_trap 2
	ds_load_b64 v[8:9], v0
	s_wait_dscnt 0x0
	s_and_not1_b32 s91, s91, exec_lo
	v_cmp_ge_u64_e32 vcc_lo, v[8:9], v[48:49]
	s_or_not1_b32 s95, vcc_lo, exec_lo
	s_branch .LBB4_2155
.LBB4_2160:                             ;   in Loop: Header=BB4_2004 Depth=2
	s_or_b32 exec_lo, exec_lo, s89
	s_and_saveexec_b32 s89, s90
	s_delay_alu instid0(SALU_CYCLE_1)
	s_xor_b32 s89, exec_lo, s89
	s_cbranch_execz .LBB4_2162
; %bb.2161:                             ;   in Loop: Header=BB4_2004 Depth=2
	ds_store_b32 v0, v73
	s_trap 2
.LBB4_2162:                             ;   in Loop: Header=BB4_2004 Depth=2
	s_or_b32 exec_lo, exec_lo, s88
	;;#ASMSTART
	s_wakeup
	;;#ASMEND
.LBB4_2163:                             ;   in Loop: Header=BB4_2004 Depth=2
	s_or_b32 exec_lo, exec_lo, s41
.LBB4_2164:                             ;   in Loop: Header=BB4_2004 Depth=2
	s_and_not1_saveexec_b32 s40, s40
	s_cbranch_execz .LBB4_2166
; %bb.2165:                             ;   in Loop: Header=BB4_2004 Depth=2
	;;#ASMSTART
	s_waitcnt lgkmcnt(0) vmcnt(0)
	;;#ASMEND
	s_barrier_signal -1
	s_barrier_wait -1
.LBB4_2166:                             ;   in Loop: Header=BB4_2004 Depth=2
	s_or_b32 exec_lo, exec_lo, s40
.LBB4_2167:                             ;   in Loop: Header=BB4_2004 Depth=2
	s_delay_alu instid0(SALU_CYCLE_1) | instskip(SKIP_2) | instid1(VALU_DEP_1)
	s_or_b32 exec_lo, exec_lo, s13
	v_and_b32_e32 v2, 32, v30
	s_mov_b32 s13, exec_lo
	v_cmpx_ne_u32_e32 0, v2
	s_cbranch_execz .LBB4_2003
; %bb.2168:                             ;   in Loop: Header=BB4_2004 Depth=2
	v_add_nc_u64_e32 v[114:115], 2, v[114:115]
	global_wb scope:SCOPE_SYS
	s_wait_storecnt 0x0
	s_wait_loadcnt_dscnt 0x0
	flat_store_b64 v[32:33], v[114:115] scope:SCOPE_SYS
	s_branch .LBB4_2003
.LBB4_2169:                             ;   in Loop: Header=BB4_47 Depth=1
	s_or_b32 exec_lo, exec_lo, s15
.LBB4_2170:                             ;   in Loop: Header=BB4_47 Depth=1
	s_delay_alu instid0(SALU_CYCLE_1) | instskip(NEXT) | instid1(SALU_CYCLE_1)
	s_or_b32 exec_lo, exec_lo, s14
	s_mov_b32 s14, exec_lo
	v_cmpx_gt_i32_e32 2, v2
	s_cbranch_execz .LBB4_46
; %bb.2171:                             ;   in Loop: Header=BB4_47 Depth=1
	v_cmp_eq_u32_e64 s18, 0, v2
	s_mov_b32 s15, 0
	s_branch .LBB4_2173
.LBB4_2172:                             ;   in Loop: Header=BB4_2173 Depth=2
	s_wait_xcnt 0x0
	s_or_b32 exec_lo, exec_lo, s13
	v_add_nc_u32_e32 v116, v59, v116
	s_mov_b32 s18, 0
	s_and_not1_b32 exec_lo, exec_lo, s15
	s_cbranch_execz .LBB4_45
.LBB4_2173:                             ;   Parent Loop BB4_47 Depth=1
                                        ; =>  This Loop Header: Depth=2
                                        ;       Child Loop BB4_2179 Depth 3
                                        ;       Child Loop BB4_2203 Depth 3
	;; [unrolled: 1-line block ×3, first 2 shown]
	v_and_b32_e32 v2, 4, v30
	s_mov_b32 s27, exec_lo
	s_delay_alu instid0(VALU_DEP_1)
	v_cmpx_ne_u32_e32 0, v2
	s_cbranch_execz .LBB4_2195
; %bb.2174:                             ;   in Loop: Header=BB4_2173 Depth=2
	v_add_nc_u64_e32 v[8:9], 2, v[114:115]
	s_mov_b32 s40, exec_lo
	s_wait_loadcnt_dscnt 0x1
	s_delay_alu instid0(VALU_DEP_1)
	v_cmpx_lt_u64_e64 v[50:51], v[8:9]
	s_cbranch_execz .LBB4_2186
; %bb.2175:                             ;   in Loop: Header=BB4_2173 Depth=2
	v_and_b32_e32 v2, 64, v30
	s_mov_b32 s41, 0
	s_mov_b32 s91, 0
                                        ; implicit-def: $sgpr88
                                        ; implicit-def: $sgpr89
                                        ; implicit-def: $sgpr90
	s_delay_alu instid0(VALU_DEP_1)
	v_cmp_eq_u32_e32 vcc_lo, 0, v2
	s_branch .LBB4_2179
.LBB4_2176:                             ;   in Loop: Header=BB4_2179 Depth=3
	s_wait_loadcnt_dscnt 0x0
	v_cmp_ge_u64_e64 s13, v[50:51], v[8:9]
	s_or_b32 s94, s94, exec_lo
	s_or_not1_b32 s93, s13, exec_lo
.LBB4_2177:                             ;   in Loop: Header=BB4_2179 Depth=3
	s_or_b32 exec_lo, exec_lo, vcc_hi
	s_delay_alu instid0(SALU_CYCLE_1)
	s_and_not1_b32 s13, s90, exec_lo
	s_and_b32 s90, s94, exec_lo
	s_and_not1_b32 s89, s89, exec_lo
	s_and_b32 s93, s93, exec_lo
	s_or_b32 s90, s13, s90
	s_or_b32 s89, s89, s93
.LBB4_2178:                             ;   in Loop: Header=BB4_2179 Depth=3
	s_or_b32 exec_lo, exec_lo, s92
	s_delay_alu instid0(SALU_CYCLE_1) | instskip(NEXT) | instid1(SALU_CYCLE_1)
	s_and_b32 s13, exec_lo, s89
	s_or_b32 s41, s13, s41
	s_and_not1_b32 s13, s88, exec_lo
	s_and_b32 s88, s90, exec_lo
	s_delay_alu instid0(SALU_CYCLE_1)
	s_or_b32 s88, s13, s88
	s_and_not1_b32 exec_lo, exec_lo, s41
	s_cbranch_execz .LBB4_2183
.LBB4_2179:                             ;   Parent Loop BB4_47 Depth=1
                                        ;     Parent Loop BB4_2173 Depth=2
                                        ; =>    This Inner Loop Header: Depth=3
	s_sleep 1
	s_wait_loadcnt_dscnt 0x0
	flat_load_b64 v[50:51], v[32:33] scope:SCOPE_SYS
	s_or_b32 s90, s90, exec_lo
	s_or_b32 s89, s89, exec_lo
                                        ; implicit-def: $vgpr2
	s_wait_xcnt 0x0
	s_and_saveexec_b32 s92, vcc_lo
	s_cbranch_execz .LBB4_2178
; %bb.2180:                             ;   in Loop: Header=BB4_2179 Depth=3
	s_cmp_lt_i32 s91, 0x270f
	s_mov_b32 s93, -1
	s_cselect_b32 s95, -1, 0
	s_cmp_gt_i32 s91, 0x270e
	s_cbranch_scc0 .LBB4_2182
; %bb.2181:                             ;   in Loop: Header=BB4_2179 Depth=3
	s_trap 2
	ds_load_b64 v[10:11], v0
	s_and_not1_b32 s91, s95, exec_lo
	s_mov_b32 s94, 0
	s_wait_storecnt 0x0
	s_wait_loadcnt_dscnt 0x0
	flat_load_b32 v2, v[10:11] scope:SCOPE_SYS
	s_wait_loadcnt_dscnt 0x0
	global_inv scope:SCOPE_SYS
	v_cmp_eq_u32_e64 s13, 0, v2
	s_and_b32 s13, s13, exec_lo
	s_delay_alu instid0(SALU_CYCLE_1)
	s_or_b32 s95, s91, s13
	s_mov_b32 s91, 0
	s_and_saveexec_b32 vcc_hi, s95
	s_cbranch_execz .LBB4_2177
	s_branch .LBB4_2176
.LBB4_2182:                             ;   in Loop: Header=BB4_2179 Depth=3
	s_add_co_i32 s91, s91, 1
	s_mov_b32 s94, -1
                                        ; implicit-def: $vgpr2
	s_and_saveexec_b32 vcc_hi, s95
	s_cbranch_execz .LBB4_2177
	s_branch .LBB4_2176
.LBB4_2183:                             ;   in Loop: Header=BB4_2173 Depth=2
	s_or_b32 exec_lo, exec_lo, s41
	s_xor_b32 s13, s88, -1
	s_delay_alu instid0(SALU_CYCLE_1) | instskip(NEXT) | instid1(SALU_CYCLE_1)
	s_and_saveexec_b32 s41, s13
	s_xor_b32 s13, exec_lo, s41
	s_cbranch_execz .LBB4_2185
; %bb.2184:                             ;   in Loop: Header=BB4_2173 Depth=2
	v_or_b32_e32 v30, 64, v30
	s_wait_storecnt 0x0
	s_wait_loadcnt_dscnt 0x0
	ds_store_b32 v0, v2
	s_trap 2
.LBB4_2185:                             ;   in Loop: Header=BB4_2173 Depth=2
	s_or_b32 exec_lo, exec_lo, s13
.LBB4_2186:                             ;   in Loop: Header=BB4_2173 Depth=2
	s_delay_alu instid0(SALU_CYCLE_1) | instskip(SKIP_3) | instid1(VALU_DEP_1)
	s_or_b32 exec_lo, exec_lo, s40
	v_and_b32_e32 v2, 0x100, v30
	s_mov_b32 s13, -1
	;;#ASMSTART
	s_wakeup
	;;#ASMEND
                                        ; implicit-def: $vgpr10_vgpr11
	v_cmp_ne_u32_e32 vcc_lo, 0, v2
	v_and_b32_e32 v2, 7, v114
	s_and_saveexec_b32 s40, vcc_lo
	s_cbranch_execz .LBB4_2190
; %bb.2187:                             ;   in Loop: Header=BB4_2173 Depth=2
	s_delay_alu instid0(VALU_DEP_1)
	v_mad_nc_u64_u32 v[12:13], v2, 24, v[6:7]
	flat_load_b32 v10, v[12:13]
	s_wait_loadcnt_dscnt 0x0
	v_cmp_eq_u32_e64 s13, 1, v10
	v_cmp_ne_u32_e32 vcc_lo, 1, v10
                                        ; implicit-def: $vgpr10_vgpr11
	s_wait_xcnt 0x0
	s_and_saveexec_b32 s41, s13
	s_cbranch_execz .LBB4_2189
; %bb.2188:                             ;   in Loop: Header=BB4_2173 Depth=2
	flat_load_b32 v10, v[12:13] offset:4 scope:SCOPE_SYS
	s_wait_loadcnt_dscnt 0x0
	v_ashrrev_i32_e32 v11, 31, v10
	s_delay_alu instid0(VALU_DEP_1)
	v_lshrrev_b64 v[10:11], 1, v[10:11]
.LBB4_2189:                             ;   in Loop: Header=BB4_2173 Depth=2
	s_wait_xcnt 0x0
	s_or_b32 exec_lo, exec_lo, s41
	s_delay_alu instid0(SALU_CYCLE_1)
	s_or_not1_b32 s13, vcc_lo, exec_lo
.LBB4_2190:                             ;   in Loop: Header=BB4_2173 Depth=2
	s_or_b32 exec_lo, exec_lo, s40
	s_and_saveexec_b32 s40, s13
; %bb.2191:                             ;   in Loop: Header=BB4_2173 Depth=2
	v_mul_u64_e32 v[10:11], v[2:3], v[34:35]
; %bb.2192:                             ;   in Loop: Header=BB4_2173 Depth=2
	s_or_b32 exec_lo, exec_lo, s40
	v_and_b32_e32 v2, 0x2000, v30
	s_delay_alu instid0(VALU_DEP_2)
	v_lshl_add_u64 v[10:11], v[10:11], 1, v[36:37]
	s_mov_b32 s13, exec_lo
	ds_store_b64 v0, v[10:11] offset:720
	v_cmpx_ne_u32_e32 0, v2
	s_cbranch_execz .LBB4_2194
; %bb.2193:                             ;   in Loop: Header=BB4_2173 Depth=2
	ds_load_b64 v[10:11], v0 offset:872
	s_wait_dscnt 0x0
	v_add_nc_u64_e32 v[10:11], 1, v[10:11]
	ds_store_b64 v0, v[10:11] offset:872
.LBB4_2194:                             ;   in Loop: Header=BB4_2173 Depth=2
	s_or_b32 exec_lo, exec_lo, s13
	v_mov_b64_e32 v[114:115], v[8:9]
.LBB4_2195:                             ;   in Loop: Header=BB4_2173 Depth=2
	s_or_b32 exec_lo, exec_lo, s27
	s_xor_b32 s13, s18, -1
	s_delay_alu instid0(SALU_CYCLE_1) | instskip(NEXT) | instid1(SALU_CYCLE_1)
	s_and_b32 s13, exec_lo, s13
	s_or_b32 s15, s13, s15
	s_and_saveexec_b32 s13, s2
	s_cbranch_execz .LBB4_2214
; %bb.2196:                             ;   in Loop: Header=BB4_2173 Depth=2
	s_and_saveexec_b32 s18, s3
	s_delay_alu instid0(SALU_CYCLE_1)
	s_xor_b32 s18, exec_lo, s18
	s_cbranch_execz .LBB4_2211
; %bb.2197:                             ;   in Loop: Header=BB4_2173 Depth=2
	s_and_saveexec_b32 s27, s6
	s_cbranch_execz .LBB4_2210
; %bb.2198:                             ;   in Loop: Header=BB4_2173 Depth=2
	s_mov_b32 s41, exec_lo
	s_mov_b32 s40, exec_lo
	v_mbcnt_lo_u32_b32 v2, s41, 0
	global_wb scope:SCOPE_DEV
	s_wait_storecnt 0x0
	s_wait_loadcnt_dscnt 0x0
	global_inv scope:SCOPE_DEV
	v_cmpx_eq_u32_e32 0, v2
	s_cbranch_execz .LBB4_2200
; %bb.2199:                             ;   in Loop: Header=BB4_2173 Depth=2
	s_bcnt1_i32_b32 s41, s41
	s_delay_alu instid0(SALU_CYCLE_1)
	v_mov_b32_e32 v2, s41
	s_wait_loadcnt 0x0
	ds_add_u64 v0, v[2:3]
	s_trap 2
.LBB4_2200:                             ;   in Loop: Header=BB4_2173 Depth=2
	s_or_b32 exec_lo, exec_lo, s40
	s_trap 2
	ds_load_b64 v[8:9], v0
	s_wait_dscnt 0x0
	v_add_nc_u64_e32 v[48:49], v[48:49], v[52:53]
	s_mov_b32 s40, exec_lo
	s_delay_alu instid0(VALU_DEP_1)
	v_cmpx_lt_u64_e64 v[8:9], v[48:49]
	s_cbranch_execz .LBB4_2209
; %bb.2201:                             ;   in Loop: Header=BB4_2173 Depth=2
	s_mov_b32 s41, 0
	s_mov_b32 s90, 0
                                        ; implicit-def: $sgpr88
                                        ; implicit-def: $sgpr89
	s_branch .LBB4_2203
.LBB4_2202:                             ;   in Loop: Header=BB4_2203 Depth=3
	s_or_b32 exec_lo, exec_lo, s92
	s_delay_alu instid0(SALU_CYCLE_1) | instskip(NEXT) | instid1(SALU_CYCLE_1)
	s_and_b32 s91, exec_lo, s93
	s_or_b32 s41, s91, s41
	s_and_not1_b32 s88, s88, exec_lo
	s_and_b32 s91, s89, exec_lo
	s_delay_alu instid0(SALU_CYCLE_1)
	s_or_b32 s88, s88, s91
	s_and_not1_b32 exec_lo, exec_lo, s41
	s_cbranch_execz .LBB4_2207
.LBB4_2203:                             ;   Parent Loop BB4_47 Depth=1
                                        ;     Parent Loop BB4_2173 Depth=2
                                        ; =>    This Inner Loop Header: Depth=3
	s_add_co_i32 s90, s90, 1
	s_delay_alu instid0(SALU_CYCLE_1) | instskip(SKIP_1) | instid1(SALU_CYCLE_1)
	s_cmp_lg_u32 s90, 0x2710
	s_cselect_b32 s91, -1, 0
	s_and_b32 vcc_lo, exec_lo, s91
	s_cbranch_vccz .LBB4_2205
; %bb.2204:                             ;   in Loop: Header=BB4_2203 Depth=3
	s_mov_b32 s93, -1
	s_or_b32 s89, s89, exec_lo
	s_and_saveexec_b32 s92, s91
	s_cbranch_execz .LBB4_2202
	s_branch .LBB4_2206
.LBB4_2205:                             ;   in Loop: Header=BB4_2203 Depth=3
	s_trap 2
	ds_load_b64 v[8:9], v0
	s_and_not1_b32 s91, s91, exec_lo
	s_mov_b32 s90, 0
	s_wait_loadcnt_dscnt 0x0
	flat_load_b32 v2, v[8:9] scope:SCOPE_SYS
	s_wait_loadcnt_dscnt 0x0
	global_inv scope:SCOPE_SYS
	v_cmp_eq_u32_e32 vcc_lo, 0, v2
	s_and_b32 s92, vcc_lo, exec_lo
	s_delay_alu instid0(SALU_CYCLE_1)
	s_or_b32 s91, s91, s92
	s_mov_b32 s93, -1
	s_or_b32 s89, s89, exec_lo
	s_and_saveexec_b32 s92, s91
	s_cbranch_execz .LBB4_2202
.LBB4_2206:                             ;   in Loop: Header=BB4_2203 Depth=3
	s_sleep 1
	s_trap 2
	ds_load_b64 v[8:9], v0
	s_wait_dscnt 0x0
	s_and_not1_b32 s89, s89, exec_lo
	v_cmp_ge_u64_e32 vcc_lo, v[8:9], v[48:49]
	s_or_not1_b32 s93, vcc_lo, exec_lo
	s_branch .LBB4_2202
.LBB4_2207:                             ;   in Loop: Header=BB4_2173 Depth=2
	s_or_b32 exec_lo, exec_lo, s41
	s_and_saveexec_b32 s41, s88
	s_delay_alu instid0(SALU_CYCLE_1)
	s_xor_b32 s41, exec_lo, s41
	s_cbranch_execz .LBB4_2209
; %bb.2208:                             ;   in Loop: Header=BB4_2173 Depth=2
	ds_store_b32 v0, v73
	s_trap 2
.LBB4_2209:                             ;   in Loop: Header=BB4_2173 Depth=2
	s_or_b32 exec_lo, exec_lo, s40
	;;#ASMSTART
	s_wakeup
	;;#ASMEND
.LBB4_2210:                             ;   in Loop: Header=BB4_2173 Depth=2
	s_or_b32 exec_lo, exec_lo, s27
.LBB4_2211:                             ;   in Loop: Header=BB4_2173 Depth=2
	s_and_not1_saveexec_b32 s18, s18
	s_cbranch_execz .LBB4_2213
; %bb.2212:                             ;   in Loop: Header=BB4_2173 Depth=2
	global_wb scope:SCOPE_DEV
	s_wait_storecnt 0x0
	s_wait_loadcnt_dscnt 0x0
	global_inv scope:SCOPE_DEV
	s_barrier_signal -1
	s_barrier_wait -1
.LBB4_2213:                             ;   in Loop: Header=BB4_2173 Depth=2
	s_or_b32 exec_lo, exec_lo, s18
.LBB4_2214:                             ;   in Loop: Header=BB4_2173 Depth=2
	s_delay_alu instid0(SALU_CYCLE_1) | instskip(SKIP_1) | instid1(VALU_DEP_1)
	s_or_b32 exec_lo, exec_lo, s13
	v_sub_nc_u32_e32 v2, v58, v116
	v_min_i32_e32 v59, v59, v2
	s_and_saveexec_b32 s13, s7
	s_delay_alu instid0(SALU_CYCLE_1)
	s_xor_b32 s18, exec_lo, s13
	s_cbranch_execz .LBB4_2218
; %bb.2215:                             ;   in Loop: Header=BB4_2173 Depth=2
	s_trap 2
	ds_load_b32 v2, v0
	v_cmp_lt_i32_e32 vcc_lo, 0, v59
	s_wait_dscnt 0x0
	v_readfirstlane_b32 s13, v2
	v_and_b32_e32 v2, 16, v30
	s_cmp_eq_u32 s13, 0
	s_delay_alu instid0(VALU_DEP_1) | instskip(SKIP_1) | instid1(SALU_CYCLE_1)
	v_cmp_ne_u32_e64 s13, 0, v2
	s_cselect_b32 s27, -1, 0
	s_and_b32 s27, vcc_lo, s27
	s_delay_alu instid0(SALU_CYCLE_1) | instskip(NEXT) | instid1(SALU_CYCLE_1)
	s_and_b32 s27, s13, s27
	s_and_saveexec_b32 s13, s27
	s_cbranch_execz .LBB4_2217
; %bb.2216:                             ;   in Loop: Header=BB4_2173 Depth=2
	global_wb scope:SCOPE_SYS
	s_wait_loadcnt 0x0
	s_wait_storecnt 0x0
	global_inv scope:SCOPE_SYS
.LBB4_2217:                             ;   in Loop: Header=BB4_2173 Depth=2
	s_or_b32 exec_lo, exec_lo, s13
.LBB4_2218:                             ;   in Loop: Header=BB4_2173 Depth=2
	s_and_not1_saveexec_b32 s13, s18
	s_cbranch_execz .LBB4_2237
; %bb.2219:                             ;   in Loop: Header=BB4_2173 Depth=2
	s_and_saveexec_b32 s18, s3
	s_delay_alu instid0(SALU_CYCLE_1)
	s_xor_b32 s18, exec_lo, s18
	s_cbranch_execz .LBB4_2234
; %bb.2220:                             ;   in Loop: Header=BB4_2173 Depth=2
	s_and_saveexec_b32 s27, s6
	s_cbranch_execz .LBB4_2233
; %bb.2221:                             ;   in Loop: Header=BB4_2173 Depth=2
	s_mov_b32 s41, exec_lo
	s_mov_b32 s40, exec_lo
	v_mbcnt_lo_u32_b32 v2, s41, 0
	;;#ASMSTART
	s_waitcnt lgkmcnt(0) vmcnt(0)
	;;#ASMEND
	s_delay_alu instid0(VALU_DEP_1)
	v_cmpx_eq_u32_e32 0, v2
	s_cbranch_execz .LBB4_2223
; %bb.2222:                             ;   in Loop: Header=BB4_2173 Depth=2
	s_bcnt1_i32_b32 s41, s41
	s_delay_alu instid0(SALU_CYCLE_1)
	v_mov_b32_e32 v2, s41
	s_wait_storecnt 0x0
	s_wait_loadcnt_dscnt 0x0
	ds_add_u64 v0, v[2:3]
	s_trap 2
.LBB4_2223:                             ;   in Loop: Header=BB4_2173 Depth=2
	s_or_b32 exec_lo, exec_lo, s40
	s_trap 2
	ds_load_b64 v[8:9], v0
	s_wait_dscnt 0x0
	v_add_nc_u64_e32 v[48:49], v[48:49], v[52:53]
	s_mov_b32 s40, exec_lo
	s_delay_alu instid0(VALU_DEP_1)
	v_cmpx_lt_u64_e64 v[8:9], v[48:49]
	s_cbranch_execz .LBB4_2232
; %bb.2224:                             ;   in Loop: Header=BB4_2173 Depth=2
	s_mov_b32 s41, 0
	s_mov_b32 s90, 0
                                        ; implicit-def: $sgpr88
                                        ; implicit-def: $sgpr89
	s_branch .LBB4_2226
.LBB4_2225:                             ;   in Loop: Header=BB4_2226 Depth=3
	s_or_b32 exec_lo, exec_lo, s92
	s_delay_alu instid0(SALU_CYCLE_1) | instskip(NEXT) | instid1(SALU_CYCLE_1)
	s_and_b32 s91, exec_lo, s93
	s_or_b32 s41, s91, s41
	s_and_not1_b32 s88, s88, exec_lo
	s_and_b32 s91, s89, exec_lo
	s_delay_alu instid0(SALU_CYCLE_1)
	s_or_b32 s88, s88, s91
	s_and_not1_b32 exec_lo, exec_lo, s41
	s_cbranch_execz .LBB4_2230
.LBB4_2226:                             ;   Parent Loop BB4_47 Depth=1
                                        ;     Parent Loop BB4_2173 Depth=2
                                        ; =>    This Inner Loop Header: Depth=3
	s_add_co_i32 s90, s90, 1
	s_delay_alu instid0(SALU_CYCLE_1) | instskip(SKIP_1) | instid1(SALU_CYCLE_1)
	s_cmp_lg_u32 s90, 0x2710
	s_cselect_b32 s91, -1, 0
	s_and_b32 vcc_lo, exec_lo, s91
	s_cbranch_vccz .LBB4_2228
; %bb.2227:                             ;   in Loop: Header=BB4_2226 Depth=3
	s_mov_b32 s93, -1
	s_or_b32 s89, s89, exec_lo
	s_and_saveexec_b32 s92, s91
	s_cbranch_execz .LBB4_2225
	s_branch .LBB4_2229
.LBB4_2228:                             ;   in Loop: Header=BB4_2226 Depth=3
	s_trap 2
	ds_load_b64 v[8:9], v0
	s_and_not1_b32 s91, s91, exec_lo
	s_mov_b32 s90, 0
	s_wait_storecnt 0x0
	s_wait_loadcnt_dscnt 0x0
	flat_load_b32 v2, v[8:9] scope:SCOPE_SYS
	s_wait_loadcnt_dscnt 0x0
	global_inv scope:SCOPE_SYS
	v_cmp_eq_u32_e32 vcc_lo, 0, v2
	s_and_b32 s92, vcc_lo, exec_lo
	s_delay_alu instid0(SALU_CYCLE_1)
	s_or_b32 s91, s91, s92
	s_mov_b32 s93, -1
	s_or_b32 s89, s89, exec_lo
	s_and_saveexec_b32 s92, s91
	s_cbranch_execz .LBB4_2225
.LBB4_2229:                             ;   in Loop: Header=BB4_2226 Depth=3
	s_sleep 1
	s_trap 2
	ds_load_b64 v[8:9], v0
	s_wait_dscnt 0x0
	s_and_not1_b32 s89, s89, exec_lo
	v_cmp_ge_u64_e32 vcc_lo, v[8:9], v[48:49]
	s_or_not1_b32 s93, vcc_lo, exec_lo
	s_branch .LBB4_2225
.LBB4_2230:                             ;   in Loop: Header=BB4_2173 Depth=2
	s_or_b32 exec_lo, exec_lo, s41
	s_and_saveexec_b32 s41, s88
	s_delay_alu instid0(SALU_CYCLE_1)
	s_xor_b32 s41, exec_lo, s41
	s_cbranch_execz .LBB4_2232
; %bb.2231:                             ;   in Loop: Header=BB4_2173 Depth=2
	ds_store_b32 v0, v73
	s_trap 2
.LBB4_2232:                             ;   in Loop: Header=BB4_2173 Depth=2
	s_or_b32 exec_lo, exec_lo, s40
	;;#ASMSTART
	s_wakeup
	;;#ASMEND
.LBB4_2233:                             ;   in Loop: Header=BB4_2173 Depth=2
	s_or_b32 exec_lo, exec_lo, s27
.LBB4_2234:                             ;   in Loop: Header=BB4_2173 Depth=2
	s_and_not1_saveexec_b32 s18, s18
	s_cbranch_execz .LBB4_2236
; %bb.2235:                             ;   in Loop: Header=BB4_2173 Depth=2
	;;#ASMSTART
	s_waitcnt lgkmcnt(0) vmcnt(0)
	;;#ASMEND
	s_barrier_signal -1
	s_barrier_wait -1
.LBB4_2236:                             ;   in Loop: Header=BB4_2173 Depth=2
	s_or_b32 exec_lo, exec_lo, s18
.LBB4_2237:                             ;   in Loop: Header=BB4_2173 Depth=2
	s_delay_alu instid0(SALU_CYCLE_1) | instskip(SKIP_2) | instid1(VALU_DEP_1)
	s_or_b32 exec_lo, exec_lo, s13
	v_and_b32_e32 v2, 32, v30
	s_mov_b32 s13, exec_lo
	v_cmpx_ne_u32_e32 0, v2
	s_cbranch_execz .LBB4_2172
; %bb.2238:                             ;   in Loop: Header=BB4_2173 Depth=2
	v_add_nc_u64_e32 v[114:115], 2, v[114:115]
	global_wb scope:SCOPE_SYS
	s_wait_storecnt 0x0
	s_wait_loadcnt_dscnt 0x0
	flat_store_b64 v[32:33], v[114:115] scope:SCOPE_SYS
	s_branch .LBB4_2172
.LBB4_2239:
	s_or_b32 exec_lo, exec_lo, s79
.LBB4_2240:
	s_delay_alu instid0(SALU_CYCLE_1) | instskip(SKIP_2) | instid1(VALU_DEP_1)
	s_or_b32 exec_lo, exec_lo, s43
	v_and_b32_e32 v0, 0x800, v30
	s_mov_b32 s1, exec_lo
	v_cmpx_eq_u32_e32 0, v0
	s_cbranch_execz .LBB4_2273
; %bb.2241:
	v_and_b32_e32 v0, 48, v30
	s_mov_b32 s0, exec_lo
	s_delay_alu instid0(VALU_DEP_1)
	v_cmpx_ne_u32_e32 0, v0
	s_cbranch_execz .LBB4_2243
; %bb.2242:
	flat_store_b64 v[28:29], v[114:115] offset:104
.LBB4_2243:
	s_wait_xcnt 0x0
	s_or_b32 exec_lo, exec_lo, s0
	v_and_b32_e32 v0, 0x88, v30
	s_mov_b32 s2, exec_lo
	s_delay_alu instid0(VALU_DEP_1)
	v_cmpx_eq_u32_e32 0x88, v0
	s_cbranch_execz .LBB4_2253
; %bb.2244:
	v_add_nc_u32_e32 v0, 6, v114
	s_mov_b32 s3, 0
	s_delay_alu instid0(VALU_DEP_1) | instskip(NEXT) | instid1(VALU_DEP_1)
	v_and_b32_e32 v0, 7, v0
	v_mad_nc_u64_u32 v[2:3], v0, 24, v[6:7]
	v_and_b32_e32 v0, 64, v30
	s_delay_alu instid0(VALU_DEP_1)
	v_cmp_eq_u32_e64 s0, 0, v0
	flat_load_b64 v[4:5], v[2:3] offset:8 scope:SCOPE_SYS
	s_wait_loadcnt_dscnt 0x0
	v_cmp_ne_u64_e32 vcc_lo, -1, v[4:5]
	s_and_b32 s0, vcc_lo, s0
	s_wait_xcnt 0x0
	s_and_b32 exec_lo, exec_lo, s0
	s_cbranch_execz .LBB4_2253
; %bb.2245:
	s_mov_b32 s5, 0
                                        ; implicit-def: $sgpr0
                                        ; implicit-def: $sgpr4
	s_branch .LBB4_2248
.LBB4_2246:                             ;   in Loop: Header=BB4_2248 Depth=1
	flat_load_b64 v[4:5], v[2:3] offset:8 scope:SCOPE_SYS
	s_wait_loadcnt 0x0
	s_and_not1_b32 s4, s4, exec_lo
	s_wait_dscnt 0x0
	v_cmp_eq_u64_e32 vcc_lo, -1, v[4:5]
	s_or_not1_b32 s7, vcc_lo, exec_lo
.LBB4_2247:                             ;   in Loop: Header=BB4_2248 Depth=1
	s_wait_xcnt 0x0
	s_or_b32 exec_lo, exec_lo, s10
	s_delay_alu instid0(SALU_CYCLE_1) | instskip(NEXT) | instid1(SALU_CYCLE_1)
	s_and_b32 s6, exec_lo, s7
	s_or_b32 s3, s6, s3
	s_and_not1_b32 s0, s0, exec_lo
	s_and_b32 s6, s4, exec_lo
	s_delay_alu instid0(SALU_CYCLE_1)
	s_or_b32 s0, s0, s6
	s_and_not1_b32 exec_lo, exec_lo, s3
	s_cbranch_execz .LBB4_2251
.LBB4_2248:                             ; =>This Inner Loop Header: Depth=1
	s_cmp_lt_i32 s5, 0x270f
	s_cselect_b32 s6, -1, 0
	s_delay_alu instid0(SALU_CYCLE_1)
	s_and_b32 vcc_lo, exec_lo, s6
	s_cbranch_vccnz .LBB4_2250
; %bb.2249:                             ;   in Loop: Header=BB4_2248 Depth=1
	s_trap 2
	ds_load_b64 v[4:5], v0
	s_and_not1_b32 s6, s6, exec_lo
	s_mov_b32 s5, 0
	s_wait_storecnt_dscnt 0x0
	flat_load_b32 v0, v[4:5] scope:SCOPE_SYS
	s_wait_loadcnt_dscnt 0x0
	global_inv scope:SCOPE_SYS
	v_cmp_eq_u32_e32 vcc_lo, 0, v0
	s_and_b32 s7, vcc_lo, exec_lo
	s_delay_alu instid0(SALU_CYCLE_1)
	s_or_b32 s6, s6, s7
	s_mov_b32 s7, -1
	s_or_b32 s4, s4, exec_lo
	s_wait_xcnt 0x0
	s_and_saveexec_b32 s10, s6
	s_cbranch_execz .LBB4_2247
	s_branch .LBB4_2246
.LBB4_2250:                             ;   in Loop: Header=BB4_2248 Depth=1
	s_add_co_i32 s5, s5, 1
                                        ; implicit-def: $vgpr0
	s_mov_b32 s7, -1
	s_or_b32 s4, s4, exec_lo
	s_and_saveexec_b32 s10, s6
	s_cbranch_execz .LBB4_2247
	s_branch .LBB4_2246
.LBB4_2251:
	s_or_b32 exec_lo, exec_lo, s3
	s_and_saveexec_b32 s3, s0
	s_delay_alu instid0(SALU_CYCLE_1)
	s_xor_b32 s3, exec_lo, s3
	s_cbranch_execz .LBB4_2253
; %bb.2252:
	s_wait_loadcnt 0x0
	s_wait_storecnt 0x0
	ds_store_b32 v0, v0
	s_trap 2
.LBB4_2253:
	s_or_b32 exec_lo, exec_lo, s2
	v_and_b32_e32 v0, 0x2000, v30
	s_mov_b32 s0, exec_lo
	s_delay_alu instid0(VALU_DEP_1)
	v_cmpx_ne_u32_e32 0, v0
	s_cbranch_execz .LBB4_2255
; %bb.2254:
	s_trap 2
	ds_load_b64 v[2:3], v0
	s_wait_dscnt 0x0
	flat_store_b64 v[26:27], v[2:3] offset:16
.LBB4_2255:
	s_wait_xcnt 0x0
	s_or_b32 exec_lo, exec_lo, s0
	v_cmp_ne_u32_e32 vcc_lo, 32, v1
	s_and_b32 exec_lo, exec_lo, vcc_lo
	s_cbranch_execz .LBB4_2273
; %bb.2256:
	s_mov_b32 s0, exec_lo
	v_cmpx_ne_u32_e64 v1, v72
	s_xor_b32 s0, exec_lo, s0
	s_cbranch_execz .LBB4_2271
; %bb.2257:
	v_and_b32_e32 v0, 31, v31
	s_mov_b32 s2, exec_lo
	s_delay_alu instid0(VALU_DEP_1)
	v_cmpx_eq_u32_e32 0, v0
	s_cbranch_execz .LBB4_2270
; %bb.2258:
	s_mov_b32 s4, exec_lo
	s_mov_b32 s3, exec_lo
	v_mbcnt_lo_u32_b32 v0, s4, 0
	global_wb scope:SCOPE_DEV
	s_wait_storecnt 0x0
	s_wait_loadcnt_dscnt 0x0
	global_inv scope:SCOPE_DEV
	v_cmpx_eq_u32_e32 0, v0
	s_cbranch_execz .LBB4_2260
; %bb.2259:
	s_bcnt1_i32_b32 s4, s4
	s_delay_alu instid0(SALU_CYCLE_1)
	v_dual_mov_b32 v3, 0 :: v_dual_mov_b32 v2, s4
	s_wait_loadcnt 0x0
	ds_add_u64 v0, v[2:3]
	s_trap 2
.LBB4_2260:
	s_or_b32 exec_lo, exec_lo, s3
	s_trap 2
	ds_load_b64 v[2:3], v0
	s_wait_dscnt 0x0
	v_dual_mov_b32 v1, 0 :: v_dual_lshrrev_b32 v0, 5, v1
	s_mov_b32 s3, exec_lo
	s_delay_alu instid0(VALU_DEP_1) | instskip(NEXT) | instid1(VALU_DEP_1)
	v_add_nc_u64_e32 v[0:1], v[48:49], v[0:1]
	v_cmpx_lt_u64_e64 v[2:3], v[0:1]
	s_cbranch_execz .LBB4_2269
; %bb.2261:
	s_mov_b32 s4, 0
	s_mov_b32 s7, 0
                                        ; implicit-def: $sgpr5
                                        ; implicit-def: $sgpr6
	s_branch .LBB4_2263
.LBB4_2262:                             ;   in Loop: Header=BB4_2263 Depth=1
	s_or_b32 exec_lo, exec_lo, s11
	s_delay_alu instid0(SALU_CYCLE_1) | instskip(NEXT) | instid1(SALU_CYCLE_1)
	s_and_b32 s10, exec_lo, s12
	s_or_b32 s4, s10, s4
	s_and_not1_b32 s5, s5, exec_lo
	s_and_b32 s10, s6, exec_lo
	s_delay_alu instid0(SALU_CYCLE_1)
	s_or_b32 s5, s5, s10
	s_and_not1_b32 exec_lo, exec_lo, s4
	s_cbranch_execz .LBB4_2267
.LBB4_2263:                             ; =>This Inner Loop Header: Depth=1
	s_add_co_i32 s7, s7, 1
	s_delay_alu instid0(SALU_CYCLE_1) | instskip(SKIP_1) | instid1(SALU_CYCLE_1)
	s_cmp_lg_u32 s7, 0x2710
	s_cselect_b32 s10, -1, 0
	s_and_b32 vcc_lo, exec_lo, s10
	s_cbranch_vccz .LBB4_2265
; %bb.2264:                             ;   in Loop: Header=BB4_2263 Depth=1
	s_mov_b32 s12, -1
	s_or_b32 s6, s6, exec_lo
	s_and_saveexec_b32 s11, s10
	s_cbranch_execz .LBB4_2262
	s_branch .LBB4_2266
.LBB4_2265:                             ;   in Loop: Header=BB4_2263 Depth=1
	s_trap 2
	ds_load_b64 v[2:3], v0
	s_and_not1_b32 s10, s10, exec_lo
	s_mov_b32 s7, 0
	s_wait_loadcnt_dscnt 0x0
	flat_load_b32 v2, v[2:3] scope:SCOPE_SYS
	s_wait_loadcnt_dscnt 0x0
	global_inv scope:SCOPE_SYS
	v_cmp_eq_u32_e32 vcc_lo, 0, v2
	s_and_b32 s11, vcc_lo, exec_lo
	s_delay_alu instid0(SALU_CYCLE_1)
	s_or_b32 s10, s10, s11
	s_mov_b32 s12, -1
	s_or_b32 s6, s6, exec_lo
	s_and_saveexec_b32 s11, s10
	s_cbranch_execz .LBB4_2262
.LBB4_2266:                             ;   in Loop: Header=BB4_2263 Depth=1
	s_sleep 1
	s_trap 2
	ds_load_b64 v[2:3], v0
	s_wait_dscnt 0x0
	s_and_not1_b32 s6, s6, exec_lo
	v_cmp_ge_u64_e32 vcc_lo, v[2:3], v[0:1]
	s_or_not1_b32 s12, vcc_lo, exec_lo
	s_branch .LBB4_2262
.LBB4_2267:
	s_or_b32 exec_lo, exec_lo, s4
	s_and_saveexec_b32 s4, s5
	s_delay_alu instid0(SALU_CYCLE_1)
	s_xor_b32 s4, exec_lo, s4
	s_cbranch_execz .LBB4_2269
; %bb.2268:
	v_mov_b32_e32 v0, 1
	ds_store_b32 v0, v0
	s_trap 2
.LBB4_2269:
	s_or_b32 exec_lo, exec_lo, s3
	;;#ASMSTART
	s_wakeup
	;;#ASMEND
.LBB4_2270:
	s_or_b32 exec_lo, exec_lo, s2
.LBB4_2271:
	s_and_not1_saveexec_b32 s0, s0
	s_cbranch_execz .LBB4_2273
; %bb.2272:
	global_wb scope:SCOPE_DEV
	s_wait_storecnt 0x0
	s_wait_loadcnt_dscnt 0x0
	global_inv scope:SCOPE_DEV
	s_barrier_signal -1
	s_barrier_wait -1
.LBB4_2273:
	s_or_b32 exec_lo, exec_lo, s1
.LBB4_2274:
	s_and_not1_saveexec_b32 s21, s42
	s_cbranch_execz .LBB4_2276
; %bb.2275:
	s_get_pc_i64 s[0:1]
	s_add_nc_u64 s[0:1], s[0:1], __PRETTY_FUNCTION__._ZN10PrimitivesI12hip_bfloat168FuncProdIS0_E12FanSymmetricILi1EELi0E11ProtoSimpleILi2ELi2ELi0ELi1ELi0ELi0EELi0ELb0ELi0ELi1ELi0EEC2EiiPKiS9_PKvPvmhhhP15ncclDevWorkCollP14ncclDevWorkP2pii@rel64+4
	s_get_pc_i64 s[2:3]
	s_add_nc_u64 s[2:3], s[2:3], __assert_fail@rel64+4
	v_dual_mov_b32 v0, s0 :: v_dual_mov_b32 v1, s1
	s_swap_pc_i64 s[30:31], s[2:3]
	; divergent unreachable
.LBB4_2276:
	s_or_b32 exec_lo, exec_lo, s21
	s_clause 0x1c
	scratch_load_b32 v106, off, s33
	scratch_load_b32 v105, off, s33 offset:4
	scratch_load_b32 v104, off, s33 offset:8
	;; [unrolled: 1-line block ×28, first 2 shown]
	s_wait_dscnt 0x0
	s_clause 0x5
	scratch_load_b32 v45, off, s33 offset:116
	scratch_load_b32 v44, off, s33 offset:120
	;; [unrolled: 1-line block ×6, first 2 shown]
	v_readlane_b32 s30, v107, 1
	v_readlane_b32 s31, v107, 2
	v_readlane_b32 s34, v107, 0
	s_mov_b32 s32, s33
	v_readlane_b32 s0, v107, 3
	s_wait_xcnt 0x0
	s_or_saveexec_b32 s1, -1
	scratch_load_b32 v107, off, s33 offset:208 ; 4-byte Folded Reload
	s_wait_xcnt 0x0
	s_mov_b32 exec_lo, s1
	s_mov_b32 s33, s0
	s_wait_loadcnt 0x0
	s_set_pc_i64 s[30:31]
.Lfunc_end4:
	.size	_ZN12_GLOBAL__N_17runRingI12hip_bfloat168FuncProdIS1_E11ProtoSimpleILi2ELi2ELi0ELi1ELi0ELi0EELi0ELi0ELi1ELi1EEEviiP15ncclDevWorkColl, .Lfunc_end4-_ZN12_GLOBAL__N_17runRingI12hip_bfloat168FuncProdIS1_E11ProtoSimpleILi2ELi2ELi0ELi1ELi0ELi0EELi0ELi0ELi1ELi1EEEviiP15ncclDevWorkColl
                                        ; -- End function
	.set .L_ZN12_GLOBAL__N_17runRingI12hip_bfloat168FuncProdIS1_E11ProtoSimpleILi2ELi2ELi0ELi1ELi0ELi0EELi0ELi0ELi1ELi1EEEviiP15ncclDevWorkColl.num_vgpr, max(120, .L__assert_fail.num_vgpr)
	.set .L_ZN12_GLOBAL__N_17runRingI12hip_bfloat168FuncProdIS1_E11ProtoSimpleILi2ELi2ELi0ELi1ELi0ELi0EELi0ELi0ELi1ELi1EEEviiP15ncclDevWorkColl.num_agpr, max(0, .L__assert_fail.num_agpr)
	.set .L_ZN12_GLOBAL__N_17runRingI12hip_bfloat168FuncProdIS1_E11ProtoSimpleILi2ELi2ELi0ELi1ELi0ELi0EELi0ELi0ELi1ELi1EEEviiP15ncclDevWorkColl.numbered_sgpr, max(96, .L__assert_fail.numbered_sgpr)
	.set .L_ZN12_GLOBAL__N_17runRingI12hip_bfloat168FuncProdIS1_E11ProtoSimpleILi2ELi2ELi0ELi1ELi0ELi0EELi0ELi0ELi1ELi1EEEviiP15ncclDevWorkColl.num_named_barrier, max(0, .L__assert_fail.num_named_barrier)
	.set .L_ZN12_GLOBAL__N_17runRingI12hip_bfloat168FuncProdIS1_E11ProtoSimpleILi2ELi2ELi0ELi1ELi0ELi0EELi0ELi0ELi1ELi1EEEviiP15ncclDevWorkColl.private_seg_size, 224+max(.L__assert_fail.private_seg_size)
	.set .L_ZN12_GLOBAL__N_17runRingI12hip_bfloat168FuncProdIS1_E11ProtoSimpleILi2ELi2ELi0ELi1ELi0ELi0EELi0ELi0ELi1ELi1EEEviiP15ncclDevWorkColl.uses_vcc, or(1, .L__assert_fail.uses_vcc)
	.set .L_ZN12_GLOBAL__N_17runRingI12hip_bfloat168FuncProdIS1_E11ProtoSimpleILi2ELi2ELi0ELi1ELi0ELi0EELi0ELi0ELi1ELi1EEEviiP15ncclDevWorkColl.uses_flat_scratch, or(1, .L__assert_fail.uses_flat_scratch)
	.set .L_ZN12_GLOBAL__N_17runRingI12hip_bfloat168FuncProdIS1_E11ProtoSimpleILi2ELi2ELi0ELi1ELi0ELi0EELi0ELi0ELi1ELi1EEEviiP15ncclDevWorkColl.has_dyn_sized_stack, or(0, .L__assert_fail.has_dyn_sized_stack)
	.set .L_ZN12_GLOBAL__N_17runRingI12hip_bfloat168FuncProdIS1_E11ProtoSimpleILi2ELi2ELi0ELi1ELi0ELi0EELi0ELi0ELi1ELi1EEEviiP15ncclDevWorkColl.has_recursion, or(1, .L__assert_fail.has_recursion)
	.set .L_ZN12_GLOBAL__N_17runRingI12hip_bfloat168FuncProdIS1_E11ProtoSimpleILi2ELi2ELi0ELi1ELi0ELi0EELi0ELi0ELi1ELi1EEEviiP15ncclDevWorkColl.has_indirect_call, or(0, .L__assert_fail.has_indirect_call)
	.section	.AMDGPU.csdata,"",@progbits
; Function info:
; codeLenInByte = 76140
; TotalNumSgprs: 98
; NumVgprs: 120
; ScratchSize: 288
; MemoryBound: 1
	.text
	.p2align	2                               ; -- Begin function _Z49ncclDevFunc_AllReduce_RING_SIMPLE_Prod_bf16_0_1_1v
	.type	_Z49ncclDevFunc_AllReduce_RING_SIMPLE_Prod_bf16_0_1_1v,@function
_Z49ncclDevFunc_AllReduce_RING_SIMPLE_Prod_bf16_0_1_1v: ; @_Z49ncclDevFunc_AllReduce_RING_SIMPLE_Prod_bf16_0_1_1v
; %bb.0:
	s_wait_loadcnt_dscnt 0x0
	s_wait_kmcnt 0x0
	s_mov_b32 s0, s33
	s_mov_b32 s33, s32
	s_or_saveexec_b32 s1, -1
	scratch_store_b32 off, v42, s33 offset:12 ; 4-byte Folded Spill
	s_wait_xcnt 0x0
	s_mov_b32 exec_lo, s1
	v_writelane_b32 v42, s0, 10
	s_add_co_i32 s32, s32, 32
	s_clause 0x2
	scratch_store_b32 off, v40, s33 offset:8
	; meta instruction
	scratch_store_b32 off, v41, s33 offset:4
	; meta instruction
	scratch_store_b32 off, v107, s33
	v_writelane_b32 v42, s34, 0
	v_writelane_b32 v42, s35, 1
	v_writelane_b32 v42, s36, 2
	v_writelane_b32 v42, s37, 3
	v_writelane_b32 v42, s38, 4
	v_writelane_b32 v42, s39, 5
	v_writelane_b32 v42, s48, 6
	v_writelane_b32 v42, s49, 7
	v_writelane_b32 v42, s30, 8
	v_writelane_b32 v42, s31, 9
	s_trap 2
	ds_load_b32 v0, v0
	s_wait_xcnt 0x2
	v_mov_b32_e32 v40, v31
	s_mov_b32 s35, s12
	s_mov_b64 s[36:37], s[8:9]
	s_wait_dscnt 0x0
	v_cmp_gt_i32_e32 vcc_lo, 1, v0
	s_cbranch_vccnz .LBB5_8
; %bb.1:
	s_wait_xcnt 0x1
	v_and_b32_e32 v41, 0x3ff, v40
	s_mov_b32 s48, 0
	s_get_pc_i64 s[38:39]
	s_add_nc_u64 s[38:39], s[38:39], _ZN12_GLOBAL__N_17runRingI12hip_bfloat168FuncProdIS1_E11ProtoSimpleILi2ELi2ELi0ELi1ELi0ELi0EELi0ELi0ELi1ELi1EEEviiP15ncclDevWorkColl@rel64+4
	s_branch .LBB5_3
.LBB5_2:                                ;   in Loop: Header=BB5_3 Depth=1
	s_or_b32 exec_lo, exec_lo, s49
	s_trap 2
	ds_load_b32 v0, v0
	s_add_co_i32 s48, s48, 1
	s_wait_dscnt 0x0
	v_cmp_lt_i32_e32 vcc_lo, s48, v0
	s_cbranch_vccz .LBB5_8
.LBB5_3:                                ; =>This Inner Loop Header: Depth=1
	s_trap 2
	ds_load_b32 v0, v0
	s_cmp_eq_u32 s48, 0
	s_cbranch_scc1 .LBB5_6
; %bb.4:                                ;   in Loop: Header=BB5_3 Depth=1
	s_trap 2
	s_wait_dscnt 0x0
	ds_load_b32 v1, v0
	s_wait_dscnt 0x0
	v_xor_b32_e32 v1, v1, v0
	s_delay_alu instid0(VALU_DEP_1) | instskip(NEXT) | instid1(VALU_DEP_1)
	v_and_b32_e32 v1, 0xff0000, v1
	v_cmp_eq_u32_e32 vcc_lo, 0, v1
	s_cbranch_vccnz .LBB5_6
; %bb.5:                                ;   in Loop: Header=BB5_3 Depth=1
	s_wait_storecnt 0x0
	s_barrier_signal -1
	s_barrier_wait -1
	ds_load_b32 v0, v0
.LBB5_6:                                ;   in Loop: Header=BB5_3 Depth=1
	s_wait_dscnt 0x0
	v_lshrrev_b32_e32 v0, 11, v0
	s_mov_b32 s49, exec_lo
	s_delay_alu instid0(VALU_DEP_1) | instskip(SKIP_1) | instid1(VALU_DEP_1)
	v_and_b32_e32 v1, 0x1fe0, v0
	s_wait_xcnt 0x0
	v_cmpx_lt_u32_e64 v41, v1
	s_cbranch_execz .LBB5_2
; %bb.7:                                ;   in Loop: Header=BB5_3 Depth=1
	s_mov_b64 s[0:1], src_shared_base
	v_dual_mov_b32 v31, v40 :: v_dual_mov_b32 v0, v41
	v_mov_b32_e32 v3, s1
	s_mov_b64 s[8:9], s[36:37]
	s_mov_b32 s12, s35
	s_swap_pc_i64 s[30:31], s[38:39]
	s_branch .LBB5_2
.LBB5_8:
	s_clause 0x2
	scratch_load_b32 v107, off, s33
	scratch_load_b32 v41, off, s33 offset:4
	scratch_load_b32 v40, off, s33 offset:8
	v_readlane_b32 s30, v42, 8
	v_readlane_b32 s31, v42, 9
	;; [unrolled: 1-line block ×10, first 2 shown]
	s_mov_b32 s32, s33
	v_readlane_b32 s0, v42, 10
	s_wait_xcnt 0x0
	s_or_saveexec_b32 s1, -1
	scratch_load_b32 v42, off, s33 offset:12 ; 4-byte Folded Reload
	s_wait_xcnt 0x0
	s_mov_b32 exec_lo, s1
	s_mov_b32 s33, s0
	s_wait_loadcnt 0x0
	s_set_pc_i64 s[30:31]
.Lfunc_end5:
	.size	_Z49ncclDevFunc_AllReduce_RING_SIMPLE_Prod_bf16_0_1_1v, .Lfunc_end5-_Z49ncclDevFunc_AllReduce_RING_SIMPLE_Prod_bf16_0_1_1v
                                        ; -- End function
	.set .L_Z49ncclDevFunc_AllReduce_RING_SIMPLE_Prod_bf16_0_1_1v.num_vgpr, max(108, .L_ZN12_GLOBAL__N_17runRingI12hip_bfloat168FuncProdIS1_E11ProtoSimpleILi2ELi2ELi0ELi1ELi0ELi0EELi0ELi0ELi1ELi1EEEviiP15ncclDevWorkColl.num_vgpr)
	.set .L_Z49ncclDevFunc_AllReduce_RING_SIMPLE_Prod_bf16_0_1_1v.num_agpr, max(0, .L_ZN12_GLOBAL__N_17runRingI12hip_bfloat168FuncProdIS1_E11ProtoSimpleILi2ELi2ELi0ELi1ELi0ELi0EELi0ELi0ELi1ELi1EEEviiP15ncclDevWorkColl.num_agpr)
	.set .L_Z49ncclDevFunc_AllReduce_RING_SIMPLE_Prod_bf16_0_1_1v.numbered_sgpr, max(50, .L_ZN12_GLOBAL__N_17runRingI12hip_bfloat168FuncProdIS1_E11ProtoSimpleILi2ELi2ELi0ELi1ELi0ELi0EELi0ELi0ELi1ELi1EEEviiP15ncclDevWorkColl.numbered_sgpr)
	.set .L_Z49ncclDevFunc_AllReduce_RING_SIMPLE_Prod_bf16_0_1_1v.num_named_barrier, max(0, .L_ZN12_GLOBAL__N_17runRingI12hip_bfloat168FuncProdIS1_E11ProtoSimpleILi2ELi2ELi0ELi1ELi0ELi0EELi0ELi0ELi1ELi1EEEviiP15ncclDevWorkColl.num_named_barrier)
	.set .L_Z49ncclDevFunc_AllReduce_RING_SIMPLE_Prod_bf16_0_1_1v.private_seg_size, 32+max(.L_ZN12_GLOBAL__N_17runRingI12hip_bfloat168FuncProdIS1_E11ProtoSimpleILi2ELi2ELi0ELi1ELi0ELi0EELi0ELi0ELi1ELi1EEEviiP15ncclDevWorkColl.private_seg_size)
	.set .L_Z49ncclDevFunc_AllReduce_RING_SIMPLE_Prod_bf16_0_1_1v.uses_vcc, or(1, .L_ZN12_GLOBAL__N_17runRingI12hip_bfloat168FuncProdIS1_E11ProtoSimpleILi2ELi2ELi0ELi1ELi0ELi0EELi0ELi0ELi1ELi1EEEviiP15ncclDevWorkColl.uses_vcc)
	.set .L_Z49ncclDevFunc_AllReduce_RING_SIMPLE_Prod_bf16_0_1_1v.uses_flat_scratch, or(1, .L_ZN12_GLOBAL__N_17runRingI12hip_bfloat168FuncProdIS1_E11ProtoSimpleILi2ELi2ELi0ELi1ELi0ELi0EELi0ELi0ELi1ELi1EEEviiP15ncclDevWorkColl.uses_flat_scratch)
	.set .L_Z49ncclDevFunc_AllReduce_RING_SIMPLE_Prod_bf16_0_1_1v.has_dyn_sized_stack, or(0, .L_ZN12_GLOBAL__N_17runRingI12hip_bfloat168FuncProdIS1_E11ProtoSimpleILi2ELi2ELi0ELi1ELi0ELi0EELi0ELi0ELi1ELi1EEEviiP15ncclDevWorkColl.has_dyn_sized_stack)
	.set .L_Z49ncclDevFunc_AllReduce_RING_SIMPLE_Prod_bf16_0_1_1v.has_recursion, or(1, .L_ZN12_GLOBAL__N_17runRingI12hip_bfloat168FuncProdIS1_E11ProtoSimpleILi2ELi2ELi0ELi1ELi0ELi0EELi0ELi0ELi1ELi1EEEviiP15ncclDevWorkColl.has_recursion)
	.set .L_Z49ncclDevFunc_AllReduce_RING_SIMPLE_Prod_bf16_0_1_1v.has_indirect_call, or(0, .L_ZN12_GLOBAL__N_17runRingI12hip_bfloat168FuncProdIS1_E11ProtoSimpleILi2ELi2ELi0ELi1ELi0ELi0EELi0ELi0ELi1ELi1EEEviiP15ncclDevWorkColl.has_indirect_call)
	.section	.AMDGPU.csdata,"",@progbits
; Function info:
; codeLenInByte = 608
; TotalNumSgprs: 98
; NumVgprs: 120
; ScratchSize: 320
; MemoryBound: 0
	.text
	.p2align	2                               ; -- Begin function _ZN12_GLOBAL__N_17runRingI12hip_bfloat168FuncProdIS1_E11ProtoSimpleILi2ELi2ELi0ELi2ELi0ELi0EELi0ELi0ELi2ELi0EEEviiP15ncclDevWorkColl
	.type	_ZN12_GLOBAL__N_17runRingI12hip_bfloat168FuncProdIS1_E11ProtoSimpleILi2ELi2ELi0ELi2ELi0ELi0EELi0ELi0ELi2ELi0EEEviiP15ncclDevWorkColl,@function
_ZN12_GLOBAL__N_17runRingI12hip_bfloat168FuncProdIS1_E11ProtoSimpleILi2ELi2ELi0ELi2ELi0ELi0EELi0ELi0ELi2ELi0EEEviiP15ncclDevWorkColl: ; @_ZN12_GLOBAL__N_17runRingI12hip_bfloat168FuncProdIS1_E11ProtoSimpleILi2ELi2ELi0ELi2ELi0ELi0EELi0ELi0ELi2ELi0EEEviiP15ncclDevWorkColl
; %bb.0:
	s_wait_loadcnt_dscnt 0x0
	s_wait_kmcnt 0x0
	s_mov_b32 s79, s33
	s_mov_b32 s33, s32
	s_or_saveexec_b32 s0, -1
	scratch_store_b32 off, v108, s33 offset:144 ; 4-byte Folded Spill
	s_wait_xcnt 0x0
	s_mov_b32 exec_lo, s0
	s_addk_co_i32 s32, 0xa0
	s_clause 0x23
	scratch_store_b32 off, v40, s33 offset:140
	; meta instruction
	scratch_store_b32 off, v41, s33 offset:136
	; meta instruction
	;; [unrolled: 2-line block ×35, first 2 shown]
	scratch_store_b32 off, v107, s33
	v_writelane_b32 v108, s30, 0
	v_writelane_b32 v108, s31, 1
	s_trap 2
	flat_load_b32 v7, v[2:3]
	ds_load_b32 v6, v0
	s_mov_b32 s0, exec_lo
                                        ; implicit-def: $vgpr14_vgpr15
                                        ; implicit-def: $vgpr24_vgpr25
                                        ; implicit-def: $vgpr4_vgpr5
	s_wait_dscnt 0x0
	v_readfirstlane_b32 s16, v6
	s_wait_loadcnt 0x0
	v_and_b32_e32 v8, 0xff, v7
	s_wait_xcnt 0x0
	s_delay_alu instid0(VALU_DEP_1)
	v_cmpx_ne_u32_e64 v6, v8
	s_xor_b32 s0, exec_lo, s0
	s_cbranch_execz .LBB6_6
; %bb.1:
	v_bfe_u32 v9, v7, 8, 8
	v_not_b32_e32 v8, v8
	s_mov_b32 s1, exec_lo
                                        ; implicit-def: $vgpr14_vgpr15
                                        ; implicit-def: $vgpr24_vgpr25
                                        ; implicit-def: $vgpr4_vgpr5
	s_delay_alu instid0(VALU_DEP_2)
	v_cmpx_ne_u32_e64 v6, v9
	s_xor_b32 s1, exec_lo, s1
	s_cbranch_execz .LBB6_3
; %bb.2:
	s_clause 0x1
	flat_load_b128 v[10:13], v[2:3] offset:72
	flat_load_b64 v[4:5], v[2:3] offset:96
	v_add_nc_u32_e32 v6, v6, v8
                                        ; implicit-def: $vgpr9
                                        ; implicit-def: $vgpr8
	s_wait_loadcnt_dscnt 0x101
	s_delay_alu instid0(VALU_DEP_1) | instskip(SKIP_3) | instid1(VALU_DEP_3)
	v_mad_nc_u64_u32 v[24:25], v12, v6, v[10:11]
	s_wait_loadcnt_dscnt 0x0
	v_lshrrev_b64 v[14:15], 13, v[4:5]
	v_mov_b64_e32 v[4:5], v[12:13]
	v_mad_u32 v7, v13, v6, v25
	v_ashrrev_i32_e32 v6, 31, v6
	s_delay_alu instid0(VALU_DEP_1)
	v_mad_u32 v25, v12, v6, v7
.LBB6_3:
	s_wait_xcnt 0x0
	s_and_not1_saveexec_b32 s1, s1
	s_cbranch_execz .LBB6_5
; %bb.4:
	s_clause 0x1
	flat_load_b128 v[10:13], v[2:3] offset:72
	flat_load_b128 v[4:7], v[2:3] offset:88
	s_wait_loadcnt_dscnt 0x0
	v_dual_add_nc_u32 v6, v9, v8 :: v_dual_lshrrev_b32 v14, 2, v7
	s_delay_alu instid0(VALU_DEP_1) | instskip(NEXT) | instid1(VALU_DEP_1)
	v_mad_nc_u64_u32 v[24:25], v12, v6, v[10:11]
	v_mad_u32 v8, v13, v6, v25
	v_ashrrev_i32_e32 v6, 31, v6
	s_delay_alu instid0(VALU_DEP_1)
	v_mad_u32 v25, v12, v6, v8
.LBB6_5:
	s_wait_xcnt 0x0
	s_or_b32 exec_lo, exec_lo, s1
.LBB6_6:
	s_and_not1_saveexec_b32 s0, s0
	s_cbranch_execz .LBB6_8
; %bb.7:
	s_clause 0x1
	flat_load_b64 v[6:7], v[2:3] offset:96
	flat_load_b64 v[4:5], v[2:3] offset:72
	v_mov_b64_e32 v[24:25], 0
	s_wait_loadcnt_dscnt 0x101
	v_lshlrev_b64_e32 v[14:15], 8, v[6:7]
.LBB6_8:
	s_wait_xcnt 0x0
	s_or_b32 exec_lo, exec_lo, s0
	s_trap 2
	ds_load_b64 v[6:7], v0
	s_mov_b32 s1, 0
	s_mov_b32 s2, exec_lo
	s_wait_dscnt 0x0
	v_cmp_ne_u32_e32 vcc_lo, -1, v6
	v_cndmask_b32_e64 v15, 0, 1, vcc_lo
	v_cmp_ne_u32_e32 vcc_lo, -1, v7
	s_delay_alu instid0(VALU_DEP_2) | instskip(NEXT) | instid1(VALU_DEP_1)
	v_add_co_ci_u32_e64 v8, null, 0, v15, vcc_lo
	v_lshlrev_b32_e32 v6, 1, v8
	s_delay_alu instid0(VALU_DEP_1)
	v_cmpx_le_u32_e64 v6, v1
	s_xor_b32 s42, exec_lo, s2
	s_cbranch_execz .LBB6_1654
; %bb.9:
	s_clause 0x3
	flat_load_b128 v[10:13], v[2:3] offset:16
	flat_load_b64 v[16:17], v[2:3] offset:104
	flat_load_u16 v7, v[2:3] offset:8
	flat_load_b32 v6, v[2:3] offset:4
	s_trap 2
	s_load_b32 s0, s[8:9], 0x0
	s_bfe_u32 s2, ttmp6, 0x4000c
	s_and_b32 s3, ttmp6, 15
	s_add_co_i32 s2, s2, 1
	s_getreg_b32 s4, hwreg(HW_REG_IB_STS2, 6, 4)
	s_mul_i32 s2, ttmp9, s2
	v_dual_mov_b32 v9, 0 :: v_dual_mov_b32 v30, 4
	s_add_co_i32 s3, s3, s2
	s_cmp_eq_u32 s4, 0
	s_cselect_b32 s2, ttmp9, s3
	s_wait_kmcnt 0x0
	s_cmp_lt_u32 s2, s0
	s_cselect_b32 s0, 12, 18
	s_delay_alu instid0(SALU_CYCLE_1)
	s_add_nc_u64 s[0:1], s[8:9], s[0:1]
	global_load_u16 v18, v9, s[0:1]
	s_wait_xcnt 0x0
	ds_load_b32 v9, v0
	s_mov_b32 s1, exec_lo
	s_wait_dscnt 0x0
	v_readfirstlane_b32 s6, v9
	v_cmpx_ge_i32_e64 v0, v15
	s_cbranch_execz .LBB6_19
; %bb.10:
	v_cmp_ge_u32_e64 s0, v0, v8
                                        ; implicit-def: $vgpr30
	s_and_saveexec_b32 s2, s0
	s_delay_alu instid0(SALU_CYCLE_1)
	s_xor_b32 s0, exec_lo, s2
	s_cbranch_execz .LBB6_16
; %bb.11:
	v_cndmask_b32_e64 v9, 0, 1, vcc_lo
	s_mov_b32 s2, exec_lo
	s_delay_alu instid0(VALU_DEP_1) | instskip(NEXT) | instid1(VALU_DEP_1)
	v_sub_nc_u32_e32 v9, v1, v9
	v_cmpx_ge_u32_e64 v0, v9
	s_xor_b32 s2, exec_lo, s2
; %bb.12:
                                        ; implicit-def: $vgpr8
; %bb.13:
	s_delay_alu instid0(SALU_CYCLE_1)
	s_or_saveexec_b32 s2, s2
	v_mov_b32_e32 v30, 16
	s_xor_b32 exec_lo, exec_lo, s2
; %bb.14:
	v_sub_nc_u32_e32 v8, v1, v8
	s_delay_alu instid0(VALU_DEP_1)
	v_cmp_lt_i32_e32 vcc_lo, v0, v8
	v_cndmask_b32_e64 v30, 32, 0, vcc_lo
; %bb.15:
	s_or_b32 exec_lo, exec_lo, s2
.LBB6_16:
	s_and_not1_saveexec_b32 s0, s0
; %bb.17:
	v_mov_b32_e32 v30, 8
; %bb.18:
	s_or_b32 exec_lo, exec_lo, s0
.LBB6_19:
	s_delay_alu instid0(SALU_CYCLE_1) | instskip(NEXT) | instid1(VALU_DEP_1)
	s_or_b32 exec_lo, exec_lo, s1
	v_dual_mov_b32 v19, -1 :: v_dual_bitop2_b32 v8, 36, v30 bitop3:0x40
	s_delay_alu instid0(VALU_DEP_1)
	v_cmp_ne_u32_e32 vcc_lo, 0, v8
	s_and_saveexec_b32 s0, vcc_lo
	s_cbranch_execz .LBB6_21
; %bb.20:
	s_trap 2
	ds_load_b32 v19, v0
.LBB6_21:
	s_or_b32 exec_lo, exec_lo, s0
	v_and_b32_e32 v8, 24, v30
	s_mov_b32 s1, exec_lo
	s_delay_alu instid0(VALU_DEP_1)
	v_cmpx_ne_u32_e32 0, v8
	s_cbranch_execz .LBB6_23
; %bb.22:
	s_trap 2
	s_wait_dscnt 0x0
	ds_load_b32 v19, v0
.LBB6_23:
	s_or_b32 exec_lo, exec_lo, s1
	s_wait_loadcnt 0x1
	v_lshrrev_b64 v[8:9], 31, v[6:7]
	v_mov_b64_e32 v[28:29], 0
	v_mov_b64_e32 v[6:7], 0
                                        ; implicit-def: $vgpr26_vgpr27
                                        ; implicit-def: $vgpr34
                                        ; implicit-def: $vgpr114_vgpr115
                                        ; implicit-def: $vgpr36_vgpr37
                                        ; implicit-def: $vgpr50_vgpr51
                                        ; implicit-def: $vgpr32_vgpr33
	s_delay_alu instid0(VALU_DEP_3)
	v_and_b32_e32 v20, 3, v8
	s_and_saveexec_b32 s0, vcc_lo
	s_cbranch_execz .LBB6_33
; %bb.24:
	s_trap 2
	ds_load_b64 v[6:7], v0
	v_and_b32_e32 v8, 0xffff, v20
	s_mov_b32 s1, exec_lo
                                        ; implicit-def: $vgpr26_vgpr27
	s_wait_dscnt 0x0
	v_readfirstlane_b32 s2, v6
	v_readfirstlane_b32 s3, v7
	flat_load_b64 v[6:7], v19, s[2:3] scale_offset
	s_wait_loadcnt_dscnt 0x0
	v_mad_nc_u64_u32 v[8:9], 0xa8, v8, v[6:7]
	flat_load_b32 v6, v[8:9] offset:640
	s_wait_loadcnt_dscnt 0x0
	v_cmpx_eq_u32_e32 1, v6
	s_cbranch_execz .LBB6_26
; %bb.25:
	flat_load_b64 v[26:27], v[8:9] offset:648
	v_or_b32_e32 v30, 0x2000, v30
	s_wait_loadcnt_dscnt 0x0
	flat_load_b64 v[6:7], v[26:27]
	s_trap 2
	s_wait_loadcnt_dscnt 0x0
	ds_store_b64 v0, v[6:7]
	flat_load_b64 v[6:7], v[26:27] offset:8
	s_wait_loadcnt_dscnt 0x0
	ds_store_b64 v0, v[6:7]
	flat_load_b64 v[6:7], v[26:27] offset:16
	s_wait_loadcnt_dscnt 0x0
	ds_store_b64 v0, v[6:7]
.LBB6_26:
	s_wait_xcnt 0x0
	s_or_b32 exec_lo, exec_lo, s1
	flat_load_b64 v[6:7], v[8:9] offset:608
	s_mov_b32 s1, exec_lo
                                        ; implicit-def: $vgpr32_vgpr33
	s_wait_loadcnt_dscnt 0x0
	v_add_nc_u64_e32 v[114:115], 3, v[6:7]
	v_and_b32_e32 v6, 32, v30
	s_delay_alu instid0(VALU_DEP_2) | instskip(SKIP_1) | instid1(VALU_DEP_2)
	v_and_b32_e32 v114, -4, v114
	s_wait_xcnt 0x0
	v_cmpx_ne_u32_e32 0, v6
	s_cbranch_execz .LBB6_28
; %bb.27:
	flat_load_b64 v[32:33], v[8:9] offset:560
	global_wb scope:SCOPE_SYS
	s_wait_storecnt 0x0
	s_wait_xcnt 0x0
	s_wait_loadcnt_dscnt 0x0
	flat_store_b64 v[32:33], v[114:115] scope:SCOPE_SYS
.LBB6_28:
	s_wait_xcnt 0x0
	s_or_b32 exec_lo, exec_lo, s1
	v_add_nc_u64_e32 v[28:29], 0x1f8, v[8:9]
	v_mov_b64_e32 v[6:7], 0
	v_and_b32_e32 v21, 4, v30
	s_mov_b32 s1, exec_lo
                                        ; implicit-def: $vgpr34
                                        ; implicit-def: $vgpr36_vgpr37
                                        ; implicit-def: $vgpr50_vgpr51
	s_delay_alu instid0(VALU_DEP_1)
	v_cmpx_ne_u32_e32 0, v21
	s_cbranch_execz .LBB6_32
; %bb.29:
	v_and_b32_e32 v6, 0x800, v30
	s_mov_b32 s2, exec_lo
	s_delay_alu instid0(VALU_DEP_1)
	v_cmpx_eq_u32_e32 0, v6
	s_cbranch_execz .LBB6_31
; %bb.30:
	s_trap 2
	ds_store_b64 v0, v[28:29]
.LBB6_31:
	s_or_b32 exec_lo, exec_lo, s2
	flat_load_b64 v[32:33], v[8:9] offset:552
	s_wait_loadcnt_dscnt 0x0
	flat_load_b64 v[50:51], v[32:33] scope:SCOPE_SYS
	s_clause 0x2
	flat_load_b32 v21, v[8:9] offset:576
	flat_load_b64 v[6:7], v[8:9] offset:600
	flat_load_b64 v[36:37], v[8:9] offset:520
	s_wait_xcnt 0x0
	v_or_b32_e32 v8, 0x100, v30
	s_wait_loadcnt_dscnt 0x101
	v_cmp_eq_u64_e32 vcc_lo, 0, v[6:7]
	s_delay_alu instid0(VALU_DEP_2)
	v_dual_ashrrev_i32 v34, 1, v21 :: v_dual_cndmask_b32 v30, v8, v30, vcc_lo
.LBB6_32:
	s_or_b32 exec_lo, exec_lo, s1
.LBB6_33:
	s_delay_alu instid0(SALU_CYCLE_1) | instskip(NEXT) | instid1(VALU_DEP_1)
	s_or_b32 exec_lo, exec_lo, s0
	v_and_b32_e32 v8, 24, v30
	s_mov_b32 s0, exec_lo
                                        ; implicit-def: $vgpr38_vgpr39
	s_delay_alu instid0(VALU_DEP_1)
	v_cmpx_ne_u32_e32 0, v8
	s_cbranch_execz .LBB6_41
; %bb.34:
	s_trap 2
	ds_load_b64 v[6:7], v0
	v_and_b32_e32 v8, 0xffff, v20
	s_mov_b32 s1, exec_lo
                                        ; implicit-def: $vgpr38_vgpr39
	s_wait_dscnt 0x0
	v_readfirstlane_b32 s2, v6
	v_readfirstlane_b32 s3, v7
	flat_load_b64 v[6:7], v19, s[2:3] scale_offset
	s_wait_xcnt 0x0
	v_or_b32_e32 v19, 0x100, v30
	s_wait_loadcnt_dscnt 0x0
	v_mad_nc_u64_u32 v[28:29], 0xa8, v8, v[6:7]
	flat_load_b128 v[6:9], v[28:29] offset:96
	s_wait_loadcnt_dscnt 0x0
	v_cmp_eq_u64_e32 vcc_lo, 0, v[6:7]
	v_cndmask_b32_e32 v30, v19, v30, vcc_lo
	s_delay_alu instid0(VALU_DEP_1) | instskip(SKIP_1) | instid1(VALU_DEP_1)
	v_and_b32_e32 v19, 16, v30
	s_wait_xcnt 0x0
	v_cmpx_ne_u32_e32 0, v19
	s_cbranch_execz .LBB6_36
; %bb.35:
	s_clause 0x2
	flat_load_b64 v[32:33], v[28:29] offset:48
	flat_load_b64 v[38:39], v[28:29] offset:120
	;; [unrolled: 1-line block ×3, first 2 shown]
.LBB6_36:
	s_wait_xcnt 0x0
	s_or_b32 exec_lo, exec_lo, s1
	v_add_nc_u64_e32 v[114:115], 3, v[8:9]
	v_and_b32_e32 v8, 8, v30
	s_mov_b32 s1, exec_lo
	s_delay_alu instid0(VALU_DEP_2) | instskip(NEXT) | instid1(VALU_DEP_2)
	v_and_b32_e32 v114, -4, v114
	v_cmpx_ne_u32_e32 0, v8
	s_cbranch_execz .LBB6_40
; %bb.37:
	v_and_b32_e32 v8, 0x800, v30
	s_mov_b32 s2, exec_lo
	s_delay_alu instid0(VALU_DEP_1)
	v_cmpx_eq_u32_e32 0, v8
	s_cbranch_execz .LBB6_39
; %bb.38:
	s_trap 2
	ds_store_b64 v0, v[28:29]
.LBB6_39:
	s_or_b32 exec_lo, exec_lo, s2
	s_wait_loadcnt_dscnt 0x202
	flat_load_b64 v[32:33], v[28:29] offset:56
	s_wait_loadcnt_dscnt 0x0
	flat_load_b64 v[50:51], v[32:33] scope:SCOPE_SYS
	s_clause 0x1
	flat_load_b32 v8, v[28:29] offset:72
	flat_load_b64 v[36:37], v[28:29] offset:16
	s_wait_loadcnt_dscnt 0x101
	v_ashrrev_i32_e32 v34, 1, v8
.LBB6_40:
	s_wait_xcnt 0x0
	s_or_b32 exec_lo, exec_lo, s1
.LBB6_41:
	s_delay_alu instid0(SALU_CYCLE_1)
	s_or_b32 exec_lo, exec_lo, s0
	v_cmp_eq_u32_e64 s0, 0, v0
	s_and_saveexec_b32 s1, s0
	s_cbranch_execz .LBB6_43
; %bb.42:
	flat_load_b64 v[8:9], v[2:3] offset:32
	ds_store_2addr_b64 v0, v[12:13], v[10:11] offset1:1
	s_trap 2
	s_wait_loadcnt_dscnt 0x1
	ds_store_b64 v0, v[8:9]
	ds_store_b64 v0, v[16:17]
.LBB6_43:
	s_wait_xcnt 0x0
	s_or_b32 exec_lo, exec_lo, s1
	v_mov_b64_e32 v[48:49], 0
	s_wait_loadcnt 0x0
	v_and_b32_e32 v78, 0xffff, v18
	s_mov_b32 s43, exec_lo
	v_cmpx_lt_i64_e32 0, v[4:5]
	s_cbranch_execz .LBB6_1620
; %bb.44:
	flat_load_b32 v8, v[2:3] offset:4
	s_wait_xcnt 0x0
	v_dual_mov_b32 v3, 0 :: v_dual_bitop2_b32 v9, 31, v31 bitop3:0x40
	v_dual_ashrrev_i32 v35, 31, v34 :: v_dual_lshrrev_b32 v52, 5, v1
	v_dual_ashrrev_i32 v10, 31, v0 :: v_dual_lshlrev_b32 v11, 1, v1
	s_ashr_i32 s7, s6, 31
	v_and_b32_e32 v2, 0x1fffff00, v14
	s_lshr_b32 s7, s7, 29
	v_mov_b32_e32 v53, v3
	s_add_co_i32 s7, s6, s7
	v_cmp_eq_u32_e64 s6, 0, v9
	v_dual_lshrrev_b32 v9, 27, v10 :: v_dual_mov_b32 v69, v3
	v_lshlrev_b32_e32 v70, 9, v52
	s_ashr_i32 s17, s16, 31
	v_mov_b64_e32 v[112:113], v[2:3]
	v_mul_u64_e32 v[66:67], s[16:17], v[2:3]
	v_and_b32_e32 v80, 0x3fc0, v11
	v_add_nc_u32_e32 v84, 0xfffffe00, v70
	v_add_nc_u32_e32 v2, v0, v9
	s_add_co_i32 s44, s16, s16
	s_not_b32 s10, s16
	v_subrev_nc_u32_e32 v86, 64, v80
	s_delay_alu instid0(VALU_DEP_2)
	v_dual_ashrrev_i32 v85, 31, v84 :: v_dual_ashrrev_i32 v90, 5, v2
	v_and_b32_e32 v2, 0xffffffe0, v2
	s_ashr_i32 s11, s7, 4
	s_cmp_gt_i32 s16, 0
	v_ashrrev_i32_e32 v87, 31, v86
	s_cselect_b32 s10, s10, -1
	v_sub_nc_u32_e32 v91, v0, v2
	v_dual_lshlrev_b32 v2, 11, v90 :: v_dual_lshlrev_b32 v9, 10, v90
	s_ashr_i32 s7, s7, 31
	s_add_co_i32 s24, s10, s44
	s_lshr_b32 s7, s7, 28
	s_delay_alu instid0(VALU_DEP_1)
	v_lshl_add_u32 v98, v91, 4, v2
	s_add_co_i32 s11, s11, s7
	s_ashr_i32 s25, s24, 31
	s_ashr_i32 s45, s11, 4
	s_cmp_gt_i32 s16, 2
	v_dual_sub_nc_u32 v102, v98, v9 :: v_dual_ashrrev_i32 v99, 31, v98
	s_cselect_b32 s46, -1, 0
	s_add_co_i32 s13, s16, 1
	v_cmp_ge_i32_e32 vcc_lo, v0, v1
	v_mov_b64_e32 v[54:55], 0
	s_wait_dscnt 0x2
	v_cmp_eq_u64_e64 s4, 0, v[38:39]
	v_cmp_ne_u64_e64 s5, 0, v[38:39]
	v_mov_b64_e32 v[64:65], 0
	v_mov_b64_e32 v[48:49], 0
	v_add_nc_u64_e32 v[96:97], 0x200, v[84:85]
	v_cmp_eq_u32_e64 s1, 32, v1
	v_cmp_ne_u32_e64 s2, 32, v1
	v_cmp_ne_u32_e64 s3, v1, v78
	v_dual_mov_b32 v79, 1 :: v_dual_mov_b32 v88, 0x90
	v_dual_mov_b32 v89, 0x88 :: v_dual_lshlrev_b32 v68, 11, v52
	v_dual_mov_b32 v71, v3 :: v_dual_mov_b32 v81, v3
	v_dual_mov_b32 v83, v3 :: v_dual_lshlrev_b32 v82, 10, v52
	v_cmp_gt_i32_e64 s7, 1, v91
	v_cmp_lt_i32_e64 s11, v91, v15
	v_cmp_le_i32_e64 s12, v91, v15
	v_ashrrev_i32_e32 v103, 31, v102
	s_mov_b32 s19, 0
	s_mov_b64 s[20:21], 0xffffffff
	s_add_nc_u64 s[22:23], s[16:17], -1
	s_mov_b32 s59, 0
	s_trap 2
	s_wait_loadcnt_dscnt 0x0
	v_and_b32_e32 v8, 1, v8
	v_add_nc_u64_e32 v[100:101], 64, v[86:87]
	s_delay_alu instid0(VALU_DEP_2)
	v_cmp_eq_u32_e64 s10, 1, v8
	s_xor_b32 s47, s10, -1
	s_cmp_ge_i32 s13, s16
	s_cselect_b32 s14, s16, 0
	s_add_co_i32 s56, s16, -2
	s_sub_co_i32 s28, s13, s14
	s_xor_b32 s57, vcc_lo, -1
	s_ashr_i32 s26, s17, 31
	s_sub_co_i32 s58, 0, s16
	s_ashr_i32 s29, s28, 31
	s_branch .LBB6_47
.LBB6_45:                               ;   in Loop: Header=BB6_47 Depth=1
	s_or_b32 exec_lo, exec_lo, s15
.LBB6_46:                               ;   in Loop: Header=BB6_47 Depth=1
	s_delay_alu instid0(SALU_CYCLE_1) | instskip(SKIP_1) | instid1(VALU_DEP_1)
	s_or_b32 exec_lo, exec_lo, s14
	v_add_nc_u64_e32 v[64:65], v[64:65], v[66:67]
	v_cmp_ge_i64_e32 vcc_lo, v[64:65], v[4:5]
	s_or_b32 s59, vcc_lo, s59
	s_delay_alu instid0(SALU_CYCLE_1)
	s_and_not1_b32 exec_lo, exec_lo, s59
	s_cbranch_execz .LBB6_1619
.LBB6_47:                               ; =>This Loop Header: Depth=1
                                        ;     Child Loop BB6_57 Depth 2
                                        ;       Child Loop BB6_65 Depth 3
                                        ;       Child Loop BB6_89 Depth 3
	;; [unrolled: 1-line block ×9, first 2 shown]
                                        ;     Child Loop BB6_201 Depth 2
                                        ;       Child Loop BB6_207 Depth 3
                                        ;       Child Loop BB6_231 Depth 3
	;; [unrolled: 1-line block ×3, first 2 shown]
                                        ;     Child Loop BB6_275 Depth 2
                                        ;       Child Loop BB6_278 Depth 3
                                        ;         Child Loop BB6_286 Depth 4
                                        ;         Child Loop BB6_314 Depth 4
	;; [unrolled: 1-line block ×9, first 2 shown]
                                        ;       Child Loop BB6_556 Depth 3
                                        ;         Child Loop BB6_562 Depth 4
                                        ;         Child Loop BB6_590 Depth 4
                                        ;         Child Loop BB6_609 Depth 4
                                        ;     Child Loop BB6_631 Depth 2
                                        ;       Child Loop BB6_639 Depth 3
                                        ;       Child Loop BB6_667 Depth 3
	;; [unrolled: 1-line block ×5, first 2 shown]
                                        ;         Child Loop BB6_815 Depth 4
                                        ;       Child Loop BB6_825 Depth 3
                                        ;       Child Loop BB6_861 Depth 3
                                        ;         Child Loop BB6_866 Depth 4
                                        ;       Child Loop BB6_879 Depth 3
                                        ;       Child Loop BB6_948 Depth 3
	;; [unrolled: 1-line block ×6, first 2 shown]
                                        ;     Child Loop BB6_1076 Depth 2
                                        ;       Child Loop BB6_1082 Depth 3
                                        ;       Child Loop BB6_1110 Depth 3
	;; [unrolled: 1-line block ×3, first 2 shown]
                                        ;     Child Loop BB6_1151 Depth 2
                                        ;       Child Loop BB6_1154 Depth 3
                                        ;         Child Loop BB6_1162 Depth 4
                                        ;         Child Loop BB6_1190 Depth 4
	;; [unrolled: 1-line block ×5, first 2 shown]
                                        ;           Child Loop BB6_1242 Depth 5
                                        ;         Child Loop BB6_1251 Depth 4
                                        ;         Child Loop BB6_1256 Depth 4
                                        ;           Child Loop BB6_1257 Depth 5
                                        ;         Child Loop BB6_1269 Depth 4
                                        ;         Child Loop BB6_1274 Depth 4
	;; [unrolled: 1-line block ×6, first 2 shown]
                                        ;       Child Loop BB6_1335 Depth 3
                                        ;         Child Loop BB6_1341 Depth 4
                                        ;         Child Loop BB6_1369 Depth 4
	;; [unrolled: 1-line block ×3, first 2 shown]
                                        ;     Child Loop BB6_1413 Depth 2
                                        ;       Child Loop BB6_1421 Depth 3
                                        ;       Child Loop BB6_1445 Depth 3
	;; [unrolled: 1-line block ×9, first 2 shown]
                                        ;     Child Loop BB6_1553 Depth 2
                                        ;       Child Loop BB6_1559 Depth 3
                                        ;       Child Loop BB6_1583 Depth 3
	;; [unrolled: 1-line block ×3, first 2 shown]
	v_sub_nc_u64_e32 v[116:117], v[4:5], v[64:65]
	s_mov_b32 s40, exec_lo
	s_delay_alu instid0(VALU_DEP_1)
	v_cmpx_lt_i64_e64 v[116:117], v[66:67]
	s_cbranch_execz .LBB6_53
; %bb.48:                               ;   in Loop: Header=BB6_47 Depth=1
	v_add_nc_u64_e32 v[8:9], s[22:23], v[116:117]
	s_delay_alu instid0(VALU_DEP_1) | instskip(NEXT) | instid1(VALU_DEP_1)
	v_dual_mov_b32 v10, v3 :: v_dual_bitop2_b32 v11, s17, v9 bitop3:0x54
	v_cmp_ne_u64_e32 vcc_lo, 0, v[10:11]
                                        ; implicit-def: $vgpr10_vgpr11
	s_and_saveexec_b32 s13, vcc_lo
	s_delay_alu instid0(SALU_CYCLE_1)
	s_xor_b32 s41, exec_lo, s13
	s_cbranch_execz .LBB6_50
; %bb.49:                               ;   in Loop: Header=BB6_47 Depth=1
	s_mov_b32 s27, s26
	v_dual_mov_b32 v15, v3 :: v_dual_ashrrev_i32 v10, 31, v9
	s_add_nc_u64 s[14:15], s[16:17], s[26:27]
	v_mov_b32_e32 v19, v3
	s_xor_b64 s[14:15], s[14:15], s[26:27]
	s_delay_alu instid0(VALU_DEP_2) | instskip(SKIP_3) | instid1(VALU_DEP_1)
	v_mov_b32_e32 v11, v10
	s_cvt_f32_u32 s13, s14
	s_cvt_f32_u32 s18, s15
	s_sub_nc_u64 s[62:63], 0, s[14:15]
	v_add_nc_u64_e32 v[8:9], v[8:9], v[10:11]
	s_delay_alu instid0(SALU_CYCLE_1) | instskip(NEXT) | instid1(SALU_CYCLE_3)
	s_fmamk_f32 s13, s18, 0x4f800000, s13
	v_s_rcp_f32 s13, s13
	s_delay_alu instid0(VALU_DEP_1) | instskip(NEXT) | instid1(VALU_DEP_2)
	v_xor_b32_e32 v2, v8, v10
	v_xor_b32_e32 v14, v9, v10
	;; [unrolled: 1-line block ×3, first 2 shown]
	s_delay_alu instid0(TRANS32_DEP_1) | instskip(NEXT) | instid1(SALU_CYCLE_3)
	s_mul_f32 s13, s13, 0x5f7ffffc
	s_mul_f32 s18, s13, 0x2f800000
	s_delay_alu instid0(SALU_CYCLE_3) | instskip(NEXT) | instid1(SALU_CYCLE_3)
	s_trunc_f32 s18, s18
	s_fmamk_f32 s13, s18, 0xcf800000, s13
	s_cvt_u32_f32 s61, s18
	s_delay_alu instid0(SALU_CYCLE_2) | instskip(NEXT) | instid1(SALU_CYCLE_3)
	s_cvt_u32_f32 s60, s13
	s_mul_u64 s[72:73], s[62:63], s[60:61]
	s_delay_alu instid0(SALU_CYCLE_1)
	s_mul_hi_u32 s75, s60, s73
	s_mul_i32 s74, s60, s73
	s_mul_hi_u32 s18, s60, s72
	s_mul_i32 s27, s61, s72
	s_add_nc_u64 s[74:75], s[18:19], s[74:75]
	s_mul_hi_u32 s13, s61, s72
	s_mul_hi_u32 s76, s61, s73
	s_add_co_u32 s18, s74, s27
	s_add_co_ci_u32 s18, s75, s13
	s_mul_i32 s72, s61, s73
	s_add_co_ci_u32 s73, s76, 0
	s_delay_alu instid0(SALU_CYCLE_1) | instskip(NEXT) | instid1(SALU_CYCLE_1)
	s_add_nc_u64 s[72:73], s[18:19], s[72:73]
	s_add_co_u32 s60, s60, s72
	s_cselect_b32 s13, -1, 0
	s_delay_alu instid0(SALU_CYCLE_1) | instskip(SKIP_1) | instid1(SALU_CYCLE_1)
	s_cmp_lg_u32 s13, 0
	s_add_co_ci_u32 s61, s61, s73
	s_mul_u64 s[62:63], s[62:63], s[60:61]
	s_delay_alu instid0(SALU_CYCLE_1)
	s_mul_hi_u32 s73, s60, s63
	s_mul_i32 s72, s60, s63
	s_mul_hi_u32 s18, s60, s62
	s_mul_i32 s27, s61, s62
	s_add_nc_u64 s[72:73], s[18:19], s[72:73]
	s_mul_hi_u32 s13, s61, s62
	s_mul_hi_u32 s74, s61, s63
	s_add_co_u32 s18, s72, s27
	s_add_co_ci_u32 s18, s73, s13
	s_mul_i32 s62, s61, s63
	s_add_co_ci_u32 s63, s74, 0
	s_delay_alu instid0(SALU_CYCLE_1) | instskip(NEXT) | instid1(SALU_CYCLE_1)
	s_add_nc_u64 s[62:63], s[18:19], s[62:63]
	s_add_co_u32 s60, s60, s62
	s_cselect_b32 s13, -1, 0
	v_mul_hi_u32 v18, v2, s60
	s_cmp_lg_u32 s13, 0
	s_add_co_ci_u32 s18, s61, s63
	s_and_b64 s[62:63], s[60:61], s[20:21]
	v_mul_u64_e32 v[12:13], s[18:19], v[2:3]
	v_mul_u64_e32 v[8:9], s[62:63], v[14:15]
	;; [unrolled: 1-line block ×3, first 2 shown]
	s_delay_alu instid0(VALU_DEP_3) | instskip(NEXT) | instid1(VALU_DEP_1)
	v_add_nc_u64_e32 v[12:13], v[18:19], v[12:13]
	v_add_co_u32 v8, vcc_lo, v12, v8
	s_delay_alu instid0(VALU_DEP_2) | instskip(NEXT) | instid1(VALU_DEP_4)
	v_add_co_ci_u32_e32 v18, vcc_lo, v13, v9, vcc_lo
	v_add_co_ci_u32_e32 v17, vcc_lo, 0, v17, vcc_lo
	s_delay_alu instid0(VALU_DEP_1) | instskip(NEXT) | instid1(VALU_DEP_1)
	v_add_nc_u64_e32 v[8:9], v[18:19], v[16:17]
	v_mul_u64_e32 v[12:13], s[14:15], v[8:9]
	s_delay_alu instid0(VALU_DEP_1) | instskip(NEXT) | instid1(VALU_DEP_2)
	v_sub_nc_u32_e32 v11, v14, v13
	v_sub_co_u32 v2, vcc_lo, v2, v12
	s_delay_alu instid0(VALU_DEP_1) | instskip(NEXT) | instid1(VALU_DEP_3)
	v_sub_co_ci_u32_e64 v16, null, v14, v13, vcc_lo
	v_subrev_co_ci_u32_e64 v11, null, s15, v11, vcc_lo
	s_delay_alu instid0(VALU_DEP_3) | instskip(SKIP_1) | instid1(VALU_DEP_3)
	v_sub_co_u32 v12, s13, v2, s14
	v_add_nc_u64_e32 v[14:15], 1, v[8:9]
	v_subrev_co_ci_u32_e64 v11, null, 0, v11, s13
	s_delay_alu instid0(VALU_DEP_3) | instskip(SKIP_1) | instid1(VALU_DEP_3)
	v_cmp_le_u32_e32 vcc_lo, s14, v12
	v_cndmask_b32_e64 v12, 0, -1, vcc_lo
	v_cmp_le_u32_e32 vcc_lo, s15, v11
	v_cndmask_b32_e64 v13, 0, -1, vcc_lo
	;; [unrolled: 2-line block ×4, first 2 shown]
	v_cmp_eq_u32_e32 vcc_lo, s15, v11
	v_cndmask_b32_e32 v11, v13, v12, vcc_lo
	v_cmp_eq_u32_e32 vcc_lo, s15, v16
	v_add_nc_u64_e32 v[12:13], 2, v[8:9]
	v_cndmask_b32_e32 v2, v17, v2, vcc_lo
	s_delay_alu instid0(VALU_DEP_4) | instskip(NEXT) | instid1(VALU_DEP_2)
	v_cmp_ne_u32_e32 vcc_lo, 0, v11
	v_cmp_ne_u32_e64 s13, 0, v2
	s_delay_alu instid0(VALU_DEP_4) | instskip(NEXT) | instid1(VALU_DEP_1)
	v_dual_cndmask_b32 v11, v15, v13 :: v_dual_cndmask_b32 v2, v14, v12
	v_dual_cndmask_b32 v9, v9, v11, s13 :: v_dual_cndmask_b32 v2, v8, v2, s13
	s_delay_alu instid0(VALU_DEP_1) | instskip(NEXT) | instid1(VALU_DEP_2)
	v_dual_mov_b32 v11, v10 :: v_dual_bitop2_b32 v9, v9, v10 bitop3:0x14
	v_xor_b32_e32 v8, v2, v10
	s_delay_alu instid0(VALU_DEP_1)
	v_sub_nc_u64_e32 v[10:11], v[8:9], v[10:11]
                                        ; implicit-def: $vgpr8_vgpr9
.LBB6_50:                               ;   in Loop: Header=BB6_47 Depth=1
	s_and_not1_saveexec_b32 s13, s41
	s_cbranch_execz .LBB6_52
; %bb.51:                               ;   in Loop: Header=BB6_47 Depth=1
	v_cvt_f32_u32_e32 v2, s16
	s_delay_alu instid0(VALU_DEP_1) | instskip(SKIP_1) | instid1(TRANS32_DEP_1)
	v_rcp_iflag_f32_e32 v2, v2
	v_nop
	v_mul_f32_e32 v2, 0x4f7ffffe, v2
	s_delay_alu instid0(VALU_DEP_1) | instskip(NEXT) | instid1(VALU_DEP_1)
	v_cvt_u32_f32_e32 v2, v2
	v_mul_lo_u32 v9, s58, v2
	s_delay_alu instid0(VALU_DEP_1) | instskip(NEXT) | instid1(VALU_DEP_1)
	v_mul_hi_u32 v9, v2, v9
	v_add_nc_u32_e32 v2, v2, v9
	s_delay_alu instid0(VALU_DEP_1) | instskip(NEXT) | instid1(VALU_DEP_1)
	v_mul_hi_u32 v2, v8, v2
	v_mul_lo_u32 v9, v2, s16
	s_delay_alu instid0(VALU_DEP_1) | instskip(NEXT) | instid1(VALU_DEP_1)
	v_dual_sub_nc_u32 v8, v8, v9 :: v_dual_add_nc_u32 v9, 1, v2
	v_subrev_nc_u32_e32 v10, s16, v8
	v_cmp_le_u32_e32 vcc_lo, s16, v8
	s_delay_alu instid0(VALU_DEP_2) | instskip(NEXT) | instid1(VALU_DEP_1)
	v_dual_cndmask_b32 v8, v8, v10, vcc_lo :: v_dual_cndmask_b32 v2, v2, v9, vcc_lo
	v_cmp_le_u32_e32 vcc_lo, s16, v8
	s_delay_alu instid0(VALU_DEP_2) | instskip(NEXT) | instid1(VALU_DEP_1)
	v_add_nc_u32_e32 v9, 1, v2
	v_cndmask_b32_e32 v2, v2, v9, vcc_lo
	s_delay_alu instid0(VALU_DEP_1)
	v_mov_b64_e32 v[10:11], v[2:3]
.LBB6_52:                               ;   in Loop: Header=BB6_47 Depth=1
	s_or_b32 exec_lo, exec_lo, s13
	s_delay_alu instid0(VALU_DEP_1) | instskip(NEXT) | instid1(VALU_DEP_1)
	v_add_nc_u64_e32 v[112:113], 7, v[10:11]
	v_and_b32_e32 v112, -8, v112
.LBB6_53:                               ;   in Loop: Header=BB6_47 Depth=1
	s_or_b32 exec_lo, exec_lo, s40
	s_delay_alu instid0(VALU_DEP_1) | instskip(SKIP_2) | instid1(VALU_DEP_3)
	v_mul_u64_e32 v[12:13], s[24:25], v[112:113]
	v_add_nc_u64_e32 v[118:119], v[64:65], v[24:25]
	v_mov_b32_e32 v10, 0
	v_sub_nc_u64_e32 v[8:9], v[116:117], v[12:13]
	s_delay_alu instid0(VALU_DEP_1) | instskip(NEXT) | instid1(VALU_DEP_1)
	v_min_i64 v[8:9], v[112:113], v[8:9]
	v_max_i32_e32 v40, 0, v8
	v_cmp_lt_i32_e32 vcc_lo, 0, v8
	s_delay_alu instid0(VALU_DEP_2) | instskip(SKIP_1) | instid1(VALU_DEP_1)
	v_add_nc_u32_e32 v2, 31, v40
	s_and_b32 s13, s57, vcc_lo
	v_lshrrev_b32_e32 v2, 1, v2
	s_delay_alu instid0(VALU_DEP_1) | instskip(NEXT) | instid1(VALU_DEP_1)
	v_and_b32_e32 v9, 0x3ffffff0, v2
	v_dual_mov_b32 v2, 0 :: v_dual_max_i32 v8, s45, v9
	s_and_saveexec_b32 s14, s13
	s_cbranch_execz .LBB6_197
; %bb.54:                               ;   in Loop: Header=BB6_47 Depth=1
	v_mov_b32_e32 v10, 0
	s_mov_b32 s27, 1
	s_mov_b32 s18, -1
	s_mov_b32 s15, 0
	s_branch .LBB6_57
.LBB6_55:                               ;   in Loop: Header=BB6_57 Depth=2
	s_wait_xcnt 0x0
	s_or_b32 exec_lo, exec_lo, s40
	v_add_nc_u64_e32 v[114:115], 2, v[114:115]
	global_wb scope:SCOPE_SYS
	s_wait_storecnt 0x0
	s_wait_loadcnt_dscnt 0x0
	flat_store_b64 v[32:33], v[114:115] scope:SCOPE_SYS
.LBB6_56:                               ;   in Loop: Header=BB6_57 Depth=2
	s_wait_xcnt 0x0
	s_or_b32 exec_lo, exec_lo, s13
	v_dual_add_nc_u32 v10, v8, v10 :: v_dual_mov_b32 v2, s27
	s_xor_b32 s13, s18, -1
	s_mov_b32 s18, 0
	s_mov_b32 s27, 2
	s_delay_alu instid0(VALU_DEP_1) | instskip(SKIP_1) | instid1(SALU_CYCLE_1)
	v_cmp_ge_i32_e32 vcc_lo, v10, v40
	s_or_b32 s13, s13, vcc_lo
	s_and_b32 s13, exec_lo, s13
	s_delay_alu instid0(SALU_CYCLE_1) | instskip(NEXT) | instid1(SALU_CYCLE_1)
	s_or_b32 s15, s13, s15
	s_and_not1_b32 exec_lo, exec_lo, s15
	s_cbranch_execz .LBB6_196
.LBB6_57:                               ;   Parent Loop BB6_47 Depth=1
                                        ; =>  This Loop Header: Depth=2
                                        ;       Child Loop BB6_65 Depth 3
                                        ;       Child Loop BB6_89 Depth 3
	;; [unrolled: 1-line block ×9, first 2 shown]
	s_and_saveexec_b32 s13, s0
	s_cbranch_execz .LBB6_59
; %bb.58:                               ;   in Loop: Header=BB6_57 Depth=2
	s_trap 2
	ds_load_b64 v[14:15], v0
	v_ashrrev_i32_e32 v11, 31, v10
	s_wait_dscnt 0x0
	v_lshl_add_u64 v[14:15], v[118:119], 1, v[14:15]
	s_delay_alu instid0(VALU_DEP_1) | instskip(NEXT) | instid1(VALU_DEP_1)
	v_lshl_add_u64 v[14:15], v[12:13], 1, v[14:15]
	v_lshl_add_u64 v[14:15], v[10:11], 1, v[14:15]
	ds_store_b64 v0, v[14:15]
	ds_store_b64 v0, v[54:55]
.LBB6_59:                               ;   in Loop: Header=BB6_57 Depth=2
	s_or_b32 exec_lo, exec_lo, s13
	v_sub_nc_u32_e32 v2, v40, v10
	v_and_b32_e32 v9, 8, v30
	s_mov_b32 s40, exec_lo
	s_delay_alu instid0(VALU_DEP_2) | instskip(NEXT) | instid1(VALU_DEP_2)
	v_min_i32_e32 v8, v8, v2
	v_cmpx_ne_u32_e32 0, v9
	s_cbranch_execz .LBB6_81
; %bb.60:                               ;   in Loop: Header=BB6_57 Depth=2
	s_wait_loadcnt_dscnt 0x1
	v_add_nc_u64_e32 v[16:17], 8, v[50:51]
	v_add_nc_u64_e32 v[14:15], 2, v[114:115]
	s_mov_b32 s41, exec_lo
	s_delay_alu instid0(VALU_DEP_1)
	v_cmpx_lt_u64_e64 v[16:17], v[14:15]
	s_cbranch_execz .LBB6_72
; %bb.61:                               ;   in Loop: Header=BB6_57 Depth=2
	v_and_b32_e32 v2, 64, v30
	s_mov_b32 s60, 0
	s_mov_b32 s72, 0
                                        ; implicit-def: $sgpr61
                                        ; implicit-def: $sgpr62
                                        ; implicit-def: $sgpr63
	s_delay_alu instid0(VALU_DEP_1)
	v_cmp_eq_u32_e32 vcc_lo, 0, v2
	s_branch .LBB6_65
.LBB6_62:                               ;   in Loop: Header=BB6_65 Depth=3
	s_wait_loadcnt_dscnt 0x0
	v_add_nc_u64_e32 v[16:17], 8, v[50:51]
	s_or_b32 s75, s75, exec_lo
	s_delay_alu instid0(VALU_DEP_1)
	v_cmp_ge_u64_e64 s13, v[16:17], v[14:15]
	s_or_not1_b32 s74, s13, exec_lo
.LBB6_63:                               ;   in Loop: Header=BB6_65 Depth=3
	s_or_b32 exec_lo, exec_lo, s77
	s_delay_alu instid0(SALU_CYCLE_1)
	s_and_not1_b32 s13, s63, exec_lo
	s_and_b32 s63, s75, exec_lo
	s_and_not1_b32 s62, s62, exec_lo
	s_and_b32 s74, s74, exec_lo
	s_or_b32 s63, s13, s63
	s_or_b32 s62, s62, s74
.LBB6_64:                               ;   in Loop: Header=BB6_65 Depth=3
	s_or_b32 exec_lo, exec_lo, s73
	s_delay_alu instid0(SALU_CYCLE_1) | instskip(NEXT) | instid1(SALU_CYCLE_1)
	s_and_b32 s13, exec_lo, s62
	s_or_b32 s60, s13, s60
	s_and_not1_b32 s13, s61, exec_lo
	s_and_b32 s61, s63, exec_lo
	s_delay_alu instid0(SALU_CYCLE_1)
	s_or_b32 s61, s13, s61
	s_and_not1_b32 exec_lo, exec_lo, s60
	s_cbranch_execz .LBB6_69
.LBB6_65:                               ;   Parent Loop BB6_47 Depth=1
                                        ;     Parent Loop BB6_57 Depth=2
                                        ; =>    This Inner Loop Header: Depth=3
	s_sleep 1
	s_wait_loadcnt_dscnt 0x0
	flat_load_b64 v[50:51], v[32:33] scope:SCOPE_SYS
	s_or_b32 s63, s63, exec_lo
	s_or_b32 s62, s62, exec_lo
                                        ; implicit-def: $vgpr2
	s_wait_xcnt 0x0
	s_and_saveexec_b32 s73, vcc_lo
	s_cbranch_execz .LBB6_64
; %bb.66:                               ;   in Loop: Header=BB6_65 Depth=3
	s_cmp_lt_i32 s72, 0x270f
	s_mov_b32 s74, -1
	s_cselect_b32 s76, -1, 0
	s_cmp_gt_i32 s72, 0x270e
	s_cbranch_scc0 .LBB6_68
; %bb.67:                               ;   in Loop: Header=BB6_65 Depth=3
	s_trap 2
	ds_load_b64 v[16:17], v0
	s_and_not1_b32 s72, s76, exec_lo
	s_mov_b32 s75, 0
	s_wait_storecnt 0x0
	s_wait_loadcnt_dscnt 0x0
	flat_load_b32 v2, v[16:17] scope:SCOPE_SYS
	s_wait_loadcnt_dscnt 0x0
	global_inv scope:SCOPE_SYS
	v_cmp_eq_u32_e64 s13, 0, v2
	s_and_b32 s13, s13, exec_lo
	s_delay_alu instid0(SALU_CYCLE_1)
	s_or_b32 s76, s72, s13
	s_mov_b32 s72, 0
	s_and_saveexec_b32 s77, s76
	s_cbranch_execz .LBB6_63
	s_branch .LBB6_62
.LBB6_68:                               ;   in Loop: Header=BB6_65 Depth=3
	s_add_co_i32 s72, s72, 1
	s_mov_b32 s75, -1
                                        ; implicit-def: $vgpr2
	s_and_saveexec_b32 s77, s76
	s_cbranch_execz .LBB6_63
	s_branch .LBB6_62
.LBB6_69:                               ;   in Loop: Header=BB6_57 Depth=2
	s_or_b32 exec_lo, exec_lo, s60
	s_xor_b32 s13, s61, -1
	s_delay_alu instid0(SALU_CYCLE_1) | instskip(NEXT) | instid1(SALU_CYCLE_1)
	s_and_saveexec_b32 s60, s13
	s_xor_b32 s13, exec_lo, s60
	s_cbranch_execz .LBB6_71
; %bb.70:                               ;   in Loop: Header=BB6_57 Depth=2
	v_or_b32_e32 v30, 64, v30
	s_wait_storecnt 0x0
	s_wait_loadcnt_dscnt 0x0
	ds_store_b32 v0, v2
	s_trap 2
.LBB6_71:                               ;   in Loop: Header=BB6_57 Depth=2
	s_or_b32 exec_lo, exec_lo, s13
.LBB6_72:                               ;   in Loop: Header=BB6_57 Depth=2
	s_delay_alu instid0(SALU_CYCLE_1) | instskip(SKIP_4) | instid1(VALU_DEP_1)
	s_or_b32 exec_lo, exec_lo, s41
	v_and_b32_e32 v2, 0x100, v30
	s_mov_b32 s41, 0
	s_mov_b32 s13, exec_lo
	;;#ASMSTART
	s_wakeup
	;;#ASMEND
                                        ; implicit-def: $vgpr16_vgpr17
	v_cmpx_ne_u32_e32 0, v2
	s_xor_b32 s13, exec_lo, s13
	s_cbranch_execz .LBB6_93
; %bb.73:                               ;   in Loop: Header=BB6_57 Depth=2
	v_dual_ashrrev_i32 v9, 31, v8 :: v_dual_bitop2_b32 v2, 7, v114 bitop3:0x40
	s_mov_b32 s41, -1
	s_mov_b32 s60, exec_lo
	s_delay_alu instid0(VALU_DEP_1) | instskip(NEXT) | instid1(VALU_DEP_2)
	v_mad_nc_u64_u32 v[18:19], v2, 24, v[6:7]
	v_lshlrev_b64_e32 v[16:17], 1, v[8:9]
	s_clause 0x1
	flat_load_b32 v11, v[18:19]
	flat_store_b64 v[18:19], v[16:17] offset:8
                                        ; implicit-def: $vgpr16_vgpr17
	s_wait_loadcnt_dscnt 0x1
	v_cmpx_eq_u32_e32 1, v11
	s_cbranch_execz .LBB6_75
; %bb.74:                               ;   in Loop: Header=BB6_57 Depth=2
	flat_load_b32 v16, v[18:19] offset:4 scope:SCOPE_SYS
	s_xor_b32 s41, exec_lo, -1
	s_wait_loadcnt_dscnt 0x0
	v_ashrrev_i32_e32 v17, 31, v16
	s_delay_alu instid0(VALU_DEP_1)
	v_lshrrev_b64 v[16:17], 1, v[16:17]
.LBB6_75:                               ;   in Loop: Header=BB6_57 Depth=2
	s_wait_xcnt 0x0
	s_or_b32 exec_lo, exec_lo, s60
	s_delay_alu instid0(SALU_CYCLE_1)
	s_and_b32 s41, s41, exec_lo
                                        ; implicit-def: $vgpr114_vgpr115
	s_and_not1_saveexec_b32 s13, s13
	s_cbranch_execnz .LBB6_94
.LBB6_76:                               ;   in Loop: Header=BB6_57 Depth=2
	s_or_b32 exec_lo, exec_lo, s13
	s_and_saveexec_b32 s13, s41
.LBB6_77:                               ;   in Loop: Header=BB6_57 Depth=2
	v_mul_u64_e32 v[16:17], v[2:3], v[34:35]
.LBB6_78:                               ;   in Loop: Header=BB6_57 Depth=2
	s_or_b32 exec_lo, exec_lo, s13
	v_and_b32_e32 v2, 0x2000, v30
	s_delay_alu instid0(VALU_DEP_2)
	v_lshl_add_u64 v[16:17], v[16:17], 1, v[36:37]
	s_mov_b32 s13, exec_lo
	ds_store_b64 v0, v[16:17] offset:784
	v_cmpx_ne_u32_e32 0, v2
	s_cbranch_execz .LBB6_80
; %bb.79:                               ;   in Loop: Header=BB6_57 Depth=2
	ds_load_b64 v[16:17], v0 offset:872
	s_wait_dscnt 0x0
	v_add_nc_u64_e32 v[16:17], 1, v[16:17]
	ds_store_b64 v0, v[16:17] offset:872
.LBB6_80:                               ;   in Loop: Header=BB6_57 Depth=2
	s_or_b32 exec_lo, exec_lo, s13
	v_mov_b64_e32 v[114:115], v[14:15]
.LBB6_81:                               ;   in Loop: Header=BB6_57 Depth=2
	s_or_b32 exec_lo, exec_lo, s40
	s_and_saveexec_b32 s13, s2
	s_cbranch_execz .LBB6_102
; %bb.82:                               ;   in Loop: Header=BB6_57 Depth=2
	s_and_saveexec_b32 s40, s3
	s_delay_alu instid0(SALU_CYCLE_1)
	s_xor_b32 s40, exec_lo, s40
	s_cbranch_execz .LBB6_99
; %bb.83:                               ;   in Loop: Header=BB6_57 Depth=2
	s_and_saveexec_b32 s41, s6
	s_cbranch_execz .LBB6_98
; %bb.84:                               ;   in Loop: Header=BB6_57 Depth=2
	s_mov_b32 s61, exec_lo
	s_mov_b32 s60, exec_lo
	v_mbcnt_lo_u32_b32 v2, s61, 0
	global_wb scope:SCOPE_DEV
	s_wait_storecnt 0x0
	s_wait_loadcnt_dscnt 0x0
	global_inv scope:SCOPE_DEV
	v_cmpx_eq_u32_e32 0, v2
	s_cbranch_execz .LBB6_86
; %bb.85:                               ;   in Loop: Header=BB6_57 Depth=2
	s_bcnt1_i32_b32 s61, s61
	s_delay_alu instid0(SALU_CYCLE_1)
	v_mov_b32_e32 v2, s61
	s_wait_loadcnt 0x0
	ds_add_u64 v0, v[2:3]
	s_trap 2
.LBB6_86:                               ;   in Loop: Header=BB6_57 Depth=2
	s_or_b32 exec_lo, exec_lo, s60
	s_trap 2
	ds_load_b64 v[14:15], v0
	s_wait_dscnt 0x0
	v_add_nc_u64_e32 v[48:49], v[48:49], v[52:53]
	s_mov_b32 s60, exec_lo
	s_delay_alu instid0(VALU_DEP_1)
	v_cmpx_lt_u64_e64 v[14:15], v[48:49]
	s_cbranch_execz .LBB6_97
; %bb.87:                               ;   in Loop: Header=BB6_57 Depth=2
	s_mov_b32 s61, 0
	s_mov_b32 s72, 0
                                        ; implicit-def: $sgpr62
                                        ; implicit-def: $sgpr63
	s_branch .LBB6_89
.LBB6_88:                               ;   in Loop: Header=BB6_89 Depth=3
	s_or_b32 exec_lo, exec_lo, s74
	s_delay_alu instid0(SALU_CYCLE_1) | instskip(NEXT) | instid1(SALU_CYCLE_1)
	s_and_b32 s73, exec_lo, s75
	s_or_b32 s61, s73, s61
	s_and_not1_b32 s62, s62, exec_lo
	s_and_b32 s73, s63, exec_lo
	s_delay_alu instid0(SALU_CYCLE_1)
	s_or_b32 s62, s62, s73
	s_and_not1_b32 exec_lo, exec_lo, s61
	s_cbranch_execz .LBB6_95
.LBB6_89:                               ;   Parent Loop BB6_47 Depth=1
                                        ;     Parent Loop BB6_57 Depth=2
                                        ; =>    This Inner Loop Header: Depth=3
	s_add_co_i32 s72, s72, 1
	s_delay_alu instid0(SALU_CYCLE_1) | instskip(SKIP_1) | instid1(SALU_CYCLE_1)
	s_cmp_lg_u32 s72, 0x2710
	s_cselect_b32 s73, -1, 0
	s_and_b32 vcc_lo, exec_lo, s73
	s_cbranch_vccz .LBB6_91
; %bb.90:                               ;   in Loop: Header=BB6_89 Depth=3
	s_mov_b32 s75, -1
	s_or_b32 s63, s63, exec_lo
	s_and_saveexec_b32 s74, s73
	s_cbranch_execz .LBB6_88
	s_branch .LBB6_92
.LBB6_91:                               ;   in Loop: Header=BB6_89 Depth=3
	s_trap 2
	ds_load_b64 v[14:15], v0
	s_and_not1_b32 s73, s73, exec_lo
	s_mov_b32 s72, 0
	s_wait_loadcnt_dscnt 0x0
	flat_load_b32 v2, v[14:15] scope:SCOPE_SYS
	s_wait_loadcnt_dscnt 0x0
	global_inv scope:SCOPE_SYS
	v_cmp_eq_u32_e32 vcc_lo, 0, v2
	s_and_b32 s74, vcc_lo, exec_lo
	s_delay_alu instid0(SALU_CYCLE_1)
	s_or_b32 s73, s73, s74
	s_mov_b32 s75, -1
	s_or_b32 s63, s63, exec_lo
	s_and_saveexec_b32 s74, s73
	s_cbranch_execz .LBB6_88
.LBB6_92:                               ;   in Loop: Header=BB6_89 Depth=3
	s_sleep 1
	s_trap 2
	ds_load_b64 v[14:15], v0
	s_wait_dscnt 0x0
	s_and_not1_b32 s63, s63, exec_lo
	v_cmp_ge_u64_e32 vcc_lo, v[14:15], v[48:49]
	s_or_not1_b32 s75, vcc_lo, exec_lo
	s_branch .LBB6_88
.LBB6_93:                               ;   in Loop: Header=BB6_57 Depth=2
	s_and_not1_saveexec_b32 s13, s13
	s_cbranch_execz .LBB6_76
.LBB6_94:                               ;   in Loop: Header=BB6_57 Depth=2
	v_and_b32_e32 v2, 7, v114
	s_or_b32 s41, s41, exec_lo
	s_or_b32 exec_lo, exec_lo, s13
	s_and_saveexec_b32 s13, s41
	s_cbranch_execnz .LBB6_77
	s_branch .LBB6_78
.LBB6_95:                               ;   in Loop: Header=BB6_57 Depth=2
	s_or_b32 exec_lo, exec_lo, s61
	s_and_saveexec_b32 s61, s62
	s_delay_alu instid0(SALU_CYCLE_1)
	s_xor_b32 s61, exec_lo, s61
	s_cbranch_execz .LBB6_97
; %bb.96:                               ;   in Loop: Header=BB6_57 Depth=2
	ds_store_b32 v0, v79
	s_trap 2
.LBB6_97:                               ;   in Loop: Header=BB6_57 Depth=2
	s_or_b32 exec_lo, exec_lo, s60
	;;#ASMSTART
	s_wakeup
	;;#ASMEND
.LBB6_98:                               ;   in Loop: Header=BB6_57 Depth=2
	s_or_b32 exec_lo, exec_lo, s41
.LBB6_99:                               ;   in Loop: Header=BB6_57 Depth=2
	s_and_not1_saveexec_b32 s40, s40
	s_cbranch_execz .LBB6_101
; %bb.100:                              ;   in Loop: Header=BB6_57 Depth=2
	global_wb scope:SCOPE_DEV
	s_wait_storecnt 0x0
	s_wait_loadcnt_dscnt 0x0
	global_inv scope:SCOPE_DEV
	s_barrier_signal -1
	s_barrier_wait -1
.LBB6_101:                              ;   in Loop: Header=BB6_57 Depth=2
	s_or_b32 exec_lo, exec_lo, s40
.LBB6_102:                              ;   in Loop: Header=BB6_57 Depth=2
	s_delay_alu instid0(SALU_CYCLE_1) | instskip(SKIP_4) | instid1(VALU_DEP_1)
	s_or_b32 exec_lo, exec_lo, s13
	s_trap 2
	ds_load_b32 v9, v0
	v_and_b32_e32 v2, 0x4000, v30
	s_xor_b32 s13, s1, -1
	v_cmp_ne_u32_e32 vcc_lo, 0, v2
	s_and_b32 s40, s13, vcc_lo
	s_delay_alu instid0(SALU_CYCLE_1)
	s_and_saveexec_b32 s13, s40
	s_cbranch_execz .LBB6_121
; %bb.103:                              ;   in Loop: Header=BB6_57 Depth=2
	s_and_saveexec_b32 s40, s3
	s_delay_alu instid0(SALU_CYCLE_1)
	s_xor_b32 s40, exec_lo, s40
	s_cbranch_execz .LBB6_118
; %bb.104:                              ;   in Loop: Header=BB6_57 Depth=2
	s_and_saveexec_b32 s41, s6
	s_cbranch_execz .LBB6_117
; %bb.105:                              ;   in Loop: Header=BB6_57 Depth=2
	s_mov_b32 s61, exec_lo
	s_mov_b32 s60, exec_lo
	v_mbcnt_lo_u32_b32 v2, s61, 0
	global_wb scope:SCOPE_DEV
	s_wait_storecnt 0x0
	s_wait_loadcnt_dscnt 0x0
	global_inv scope:SCOPE_DEV
	v_cmpx_eq_u32_e32 0, v2
	s_cbranch_execz .LBB6_107
; %bb.106:                              ;   in Loop: Header=BB6_57 Depth=2
	s_bcnt1_i32_b32 s61, s61
	s_delay_alu instid0(SALU_CYCLE_1)
	v_mov_b32_e32 v2, s61
	s_wait_loadcnt 0x0
	ds_add_u64 v0, v[2:3]
	s_trap 2
.LBB6_107:                              ;   in Loop: Header=BB6_57 Depth=2
	s_or_b32 exec_lo, exec_lo, s60
	s_trap 2
	ds_load_b64 v[14:15], v0
	s_wait_dscnt 0x0
	v_add_nc_u64_e32 v[48:49], v[48:49], v[52:53]
	s_mov_b32 s60, exec_lo
	s_delay_alu instid0(VALU_DEP_1)
	v_cmpx_lt_u64_e64 v[14:15], v[48:49]
	s_cbranch_execz .LBB6_116
; %bb.108:                              ;   in Loop: Header=BB6_57 Depth=2
	s_mov_b32 s61, 0
	s_mov_b32 s72, 0
                                        ; implicit-def: $sgpr62
                                        ; implicit-def: $sgpr63
	s_branch .LBB6_110
.LBB6_109:                              ;   in Loop: Header=BB6_110 Depth=3
	s_or_b32 exec_lo, exec_lo, s74
	s_delay_alu instid0(SALU_CYCLE_1) | instskip(NEXT) | instid1(SALU_CYCLE_1)
	s_and_b32 s73, exec_lo, s75
	s_or_b32 s61, s73, s61
	s_and_not1_b32 s62, s62, exec_lo
	s_and_b32 s73, s63, exec_lo
	s_delay_alu instid0(SALU_CYCLE_1)
	s_or_b32 s62, s62, s73
	s_and_not1_b32 exec_lo, exec_lo, s61
	s_cbranch_execz .LBB6_114
.LBB6_110:                              ;   Parent Loop BB6_47 Depth=1
                                        ;     Parent Loop BB6_57 Depth=2
                                        ; =>    This Inner Loop Header: Depth=3
	s_add_co_i32 s72, s72, 1
	s_delay_alu instid0(SALU_CYCLE_1) | instskip(SKIP_1) | instid1(SALU_CYCLE_1)
	s_cmp_lg_u32 s72, 0x2710
	s_cselect_b32 s73, -1, 0
	s_and_b32 vcc_lo, exec_lo, s73
	s_cbranch_vccz .LBB6_112
; %bb.111:                              ;   in Loop: Header=BB6_110 Depth=3
	s_mov_b32 s75, -1
	s_or_b32 s63, s63, exec_lo
	s_and_saveexec_b32 s74, s73
	s_cbranch_execz .LBB6_109
	s_branch .LBB6_113
.LBB6_112:                              ;   in Loop: Header=BB6_110 Depth=3
	s_trap 2
	ds_load_b64 v[14:15], v0
	s_and_not1_b32 s73, s73, exec_lo
	s_mov_b32 s72, 0
	s_wait_loadcnt_dscnt 0x0
	flat_load_b32 v2, v[14:15] scope:SCOPE_SYS
	s_wait_loadcnt_dscnt 0x0
	global_inv scope:SCOPE_SYS
	v_cmp_eq_u32_e32 vcc_lo, 0, v2
	s_and_b32 s74, vcc_lo, exec_lo
	s_delay_alu instid0(SALU_CYCLE_1)
	s_or_b32 s73, s73, s74
	s_mov_b32 s75, -1
	s_or_b32 s63, s63, exec_lo
	s_and_saveexec_b32 s74, s73
	s_cbranch_execz .LBB6_109
.LBB6_113:                              ;   in Loop: Header=BB6_110 Depth=3
	s_sleep 1
	s_trap 2
	ds_load_b64 v[14:15], v0
	s_wait_dscnt 0x0
	s_and_not1_b32 s63, s63, exec_lo
	v_cmp_ge_u64_e32 vcc_lo, v[14:15], v[48:49]
	s_or_not1_b32 s75, vcc_lo, exec_lo
	s_branch .LBB6_109
.LBB6_114:                              ;   in Loop: Header=BB6_57 Depth=2
	s_or_b32 exec_lo, exec_lo, s61
	s_and_saveexec_b32 s61, s62
	s_delay_alu instid0(SALU_CYCLE_1)
	s_xor_b32 s61, exec_lo, s61
	s_cbranch_execz .LBB6_116
; %bb.115:                              ;   in Loop: Header=BB6_57 Depth=2
	ds_store_b32 v0, v79
	s_trap 2
.LBB6_116:                              ;   in Loop: Header=BB6_57 Depth=2
	s_or_b32 exec_lo, exec_lo, s60
	;;#ASMSTART
	s_wakeup
	;;#ASMEND
.LBB6_117:                              ;   in Loop: Header=BB6_57 Depth=2
	s_or_b32 exec_lo, exec_lo, s41
.LBB6_118:                              ;   in Loop: Header=BB6_57 Depth=2
	s_and_not1_saveexec_b32 s40, s40
	s_cbranch_execz .LBB6_120
; %bb.119:                              ;   in Loop: Header=BB6_57 Depth=2
	global_wb scope:SCOPE_DEV
	s_wait_storecnt 0x0
	s_wait_loadcnt_dscnt 0x0
	global_inv scope:SCOPE_DEV
	s_barrier_signal -1
	s_barrier_wait -1
.LBB6_120:                              ;   in Loop: Header=BB6_57 Depth=2
	s_or_b32 exec_lo, exec_lo, s40
.LBB6_121:                              ;   in Loop: Header=BB6_57 Depth=2
	s_delay_alu instid0(SALU_CYCLE_1)
	s_or_b32 exec_lo, exec_lo, s13
	s_trap 2
	ds_load_b64 v[14:15], v0
	s_wait_dscnt 0x0
	v_cmp_eq_u64_e32 vcc_lo, 0, v[14:15]
	s_cbranch_vccnz .LBB6_129
; %bb.122:                              ;   in Loop: Header=BB6_57 Depth=2
	s_trap 2
	ds_load_b64 v[16:17], v0
	s_wait_dscnt 0x0
	v_cmp_eq_u64_e32 vcc_lo, 0, v[16:17]
	s_cbranch_vccnz .LBB6_129
; %bb.123:                              ;   in Loop: Header=BB6_57 Depth=2
	s_mov_b32 s13, -1
	s_and_saveexec_b32 s40, s7
	s_cbranch_execz .LBB6_125
; %bb.124:                              ;   in Loop: Header=BB6_57 Depth=2
	ds_load_b32 v2, v0 offset:720
	s_wait_dscnt 0x0
	v_and_b32_e32 v2, 15, v2
	s_delay_alu instid0(VALU_DEP_1)
	v_cmp_eq_u32_e32 vcc_lo, 0, v2
	s_or_not1_b32 s13, vcc_lo, exec_lo
.LBB6_125:                              ;   in Loop: Header=BB6_57 Depth=2
	s_or_b32 exec_lo, exec_lo, s40
	s_and_saveexec_b32 s40, s11
	s_cbranch_execz .LBB6_127
; %bb.126:                              ;   in Loop: Header=BB6_57 Depth=2
	ds_load_b32 v2, v0 offset:784
	s_wait_dscnt 0x0
	v_and_b32_e32 v2, 15, v2
	s_delay_alu instid0(VALU_DEP_1) | instskip(SKIP_3) | instid1(SALU_CYCLE_1)
	v_cmp_eq_u32_e32 vcc_lo, 0, v2
	s_and_b32 s41, s13, vcc_lo
	s_and_not1_b32 s13, s13, exec_lo
	s_and_b32 s41, s41, exec_lo
	s_or_b32 s13, s13, s41
.LBB6_127:                              ;   in Loop: Header=BB6_57 Depth=2
	s_or_b32 exec_lo, exec_lo, s40
	v_cmp_eq_u32_e32 vcc_lo, 0, v9
	s_xor_b32 s13, s13, -1
	s_mov_b32 s41, -1
	v_cndmask_b32_e64 v11, 0, 1, s13
	v_cndmask_b32_e32 v2, 0, v8, vcc_lo
	s_delay_alu instid0(VALU_DEP_2) | instskip(NEXT) | instid1(VALU_DEP_2)
	v_cmp_ne_u32_e32 vcc_lo, 0, v11
	v_dual_mov_b32 v11, 0 :: v_dual_lshlrev_b32 v9, 1, v2
	s_cbranch_vccz .LBB6_134
; %bb.128:                              ;   in Loop: Header=BB6_57 Depth=2
	v_dual_mov_b32 v41, v0 :: v_dual_mov_b32 v18, v90
	s_and_saveexec_b32 s13, s41
	s_cbranch_execnz .LBB6_147
	s_branch .LBB6_155
.LBB6_129:                              ;   in Loop: Header=BB6_57 Depth=2
	s_mov_b32 s13, 0
	s_and_saveexec_b32 s40, s2
	s_cbranch_execnz .LBB6_156
.LBB6_130:                              ;   in Loop: Header=BB6_57 Depth=2
	s_or_b32 exec_lo, exec_lo, s40
                                        ; implicit-def: $vgpr2
	s_and_saveexec_b32 s40, s10
	s_delay_alu instid0(SALU_CYCLE_1)
	s_xor_b32 s40, exec_lo, s40
	s_cbranch_execz .LBB6_174
.LBB6_131:                              ;   in Loop: Header=BB6_57 Depth=2
	v_and_b32_e32 v2, 16, v30
	s_delay_alu instid0(VALU_DEP_1) | instskip(SKIP_2) | instid1(SALU_CYCLE_1)
	v_cmp_ne_u32_e32 vcc_lo, 0, v2
	v_and_b32_e32 v2, 16, v30
	s_and_b32 s41, vcc_lo, s13
	s_and_saveexec_b32 s13, s41
	s_cbranch_execz .LBB6_133
; %bb.132:                              ;   in Loop: Header=BB6_57 Depth=2
	v_mov_b32_e32 v2, 1
	global_wb scope:SCOPE_SYS
	s_wait_storecnt 0x0
	s_wait_loadcnt_dscnt 0x0
	global_inv scope:SCOPE_SYS
.LBB6_133:                              ;   in Loop: Header=BB6_57 Depth=2
	s_or_b32 exec_lo, exec_lo, s13
	s_and_not1_saveexec_b32 s13, s40
	s_cbranch_execz .LBB6_193
	s_branch .LBB6_175
.LBB6_134:                              ;   in Loop: Header=BB6_57 Depth=2
	s_delay_alu instid0(VALU_DEP_1) | instskip(SKIP_1) | instid1(VALU_DEP_1)
	v_ashrrev_i32_e32 v11, 31, v9
	s_mov_b32 s13, exec_lo
	v_lshrrev_b32_e32 v11, 21, v11
	s_delay_alu instid0(VALU_DEP_1) | instskip(NEXT) | instid1(VALU_DEP_1)
	v_add_nc_u32_e32 v11, v9, v11
	v_ashrrev_i32_e32 v11, 11, v11
	s_delay_alu instid0(VALU_DEP_1) | instskip(NEXT) | instid1(VALU_DEP_1)
	v_sub_nc_u32_e32 v22, v11, v90
	v_cmpx_lt_i32_e32 0, v22
	s_cbranch_execz .LBB6_138
; %bb.135:                              ;   in Loop: Header=BB6_57 Depth=2
	v_mov_b64_e32 v[18:19], v[16:17]
	v_mov_b64_e32 v[20:21], v[14:15]
	s_mov_b32 s40, 0
.LBB6_136:                              ;   Parent Loop BB6_47 Depth=1
                                        ;     Parent Loop BB6_57 Depth=2
                                        ; =>    This Inner Loop Header: Depth=3
	s_delay_alu instid0(VALU_DEP_1)
	v_add_nc_u64_e32 v[46:47], v[98:99], v[20:21]
	v_sub_nc_u32_e32 v22, v22, v52
	v_add_nc_u64_e32 v[20:21], v[20:21], v[68:69]
	s_clause 0x3
	global_load_b128 v[42:45], v[46:47], off th:TH_LOAD_NT
	global_load_b128 v[56:59], v[46:47], off offset:512 th:TH_LOAD_NT
	global_load_b128 v[60:63], v[46:47], off offset:1024 th:TH_LOAD_NT
	;; [unrolled: 1-line block ×3, first 2 shown]
	s_wait_xcnt 0x0
	v_add_nc_u64_e32 v[46:47], v[98:99], v[18:19]
	v_cmp_gt_i32_e32 vcc_lo, 1, v22
	v_add_nc_u64_e32 v[18:19], v[18:19], v[68:69]
	s_wait_loadcnt 0x3
	global_store_b128 v[46:47], v[42:45], off th:TH_STORE_NT
	s_wait_loadcnt 0x2
	global_store_b128 v[46:47], v[56:59], off offset:512 th:TH_STORE_NT
	s_wait_loadcnt 0x1
	global_store_b128 v[46:47], v[60:63], off offset:1024 th:TH_STORE_NT
	;; [unrolled: 2-line block ×3, first 2 shown]
	s_or_b32 s40, vcc_lo, s40
	s_wait_xcnt 0x0
	s_and_not1_b32 exec_lo, exec_lo, s40
	s_cbranch_execnz .LBB6_136
; %bb.137:                              ;   in Loop: Header=BB6_57 Depth=2
	s_or_b32 exec_lo, exec_lo, s40
.LBB6_138:                              ;   in Loop: Header=BB6_57 Depth=2
	s_delay_alu instid0(SALU_CYCLE_1) | instskip(SKIP_3) | instid1(VALU_DEP_1)
	s_or_b32 exec_lo, exec_lo, s13
	v_dual_mov_b32 v11, 0 :: v_dual_lshlrev_b32 v20, 11, v11
	s_mov_b32 s41, 0
	s_mov_b32 s40, exec_lo
                                        ; implicit-def: $vgpr41
                                        ; implicit-def: $vgpr18
	v_cmpx_ne_u32_e64 v9, v20
	s_cbranch_execz .LBB6_146
; %bb.139:                              ;   in Loop: Header=BB6_57 Depth=2
	v_dual_lshlrev_b32 v11, 5, v22 :: v_dual_sub_nc_u32 v19, v9, v20
	s_mov_b32 s41, exec_lo
	s_delay_alu instid0(VALU_DEP_1) | instskip(NEXT) | instid1(VALU_DEP_2)
	v_sub_nc_u32_e32 v11, v91, v11
	v_ashrrev_i32_e32 v21, 31, v19
	s_delay_alu instid0(VALU_DEP_1) | instskip(NEXT) | instid1(VALU_DEP_1)
	v_dual_ashrrev_i32 v18, 31, v11 :: v_dual_lshrrev_b32 v21, 23, v21
	v_lshrrev_b32_e32 v18, 27, v18
	s_delay_alu instid0(VALU_DEP_1) | instskip(NEXT) | instid1(VALU_DEP_1)
	v_add_nc_u32_e32 v18, v11, v18
	v_dual_add_nc_u32 v41, v19, v21 :: v_dual_ashrrev_i32 v42, 5, v18
	v_and_b32_e32 v22, 0xffffffe0, v18
	s_delay_alu instid0(VALU_DEP_2) | instskip(NEXT) | instid1(VALU_DEP_2)
	v_and_b32_e32 v21, 0xfffffe00, v41
	v_dual_ashrrev_i32 v41, 9, v41 :: v_dual_sub_nc_u32 v22, v11, v22
	s_delay_alu instid0(VALU_DEP_1) | instskip(NEXT) | instid1(VALU_DEP_1)
	v_dual_sub_nc_u32 v23, v19, v21 :: v_dual_lshlrev_b32 v11, 4, v22
	v_cmp_lt_i32_e32 vcc_lo, 15, v23
	s_delay_alu instid0(VALU_DEP_2) | instskip(NEXT) | instid1(VALU_DEP_4)
	v_lshl_add_u32 v18, v42, 9, v11
	v_add_co_ci_u32_e64 v41, null, 0, v41, vcc_lo
	s_delay_alu instid0(VALU_DEP_2) | instskip(NEXT) | instid1(VALU_DEP_2)
	v_sub_nc_u32_e32 v11, v19, v18
	v_sub_nc_u32_e32 v42, v41, v42
	s_delay_alu instid0(VALU_DEP_2)
	v_cmpx_lt_i32_e32 15, v11
	s_cbranch_execz .LBB6_143
; %bb.140:                              ;   in Loop: Header=BB6_57 Depth=2
	v_add_nc_u32_e32 v18, v18, v20
	s_mov_b32 s60, 0
	s_delay_alu instid0(VALU_DEP_1)
	v_ashrrev_i32_e32 v19, 31, v18
.LBB6_141:                              ;   Parent Loop BB6_47 Depth=1
                                        ;     Parent Loop BB6_57 Depth=2
                                        ; =>    This Inner Loop Header: Depth=3
	s_delay_alu instid0(VALU_DEP_1) | instskip(SKIP_3) | instid1(VALU_DEP_3)
	v_add_nc_u64_e32 v[44:45], v[14:15], v[18:19]
	v_dual_sub_nc_u32 v11, v11, v70 :: v_dual_sub_nc_u32 v42, v42, v52
	v_add_nc_u64_e32 v[56:57], v[16:17], v[18:19]
	v_add_nc_u64_e32 v[18:19], v[18:19], v[70:71]
	v_cmp_gt_i32_e64 s13, 16, v11
	global_load_b128 v[44:47], v[44:45], off th:TH_LOAD_NT
	s_or_b32 s60, s13, s60
	s_wait_loadcnt 0x0
	global_store_b128 v[56:57], v[44:47], off th:TH_STORE_NT
	s_wait_xcnt 0x0
	s_and_not1_b32 exec_lo, exec_lo, s60
	s_cbranch_execnz .LBB6_141
; %bb.142:                              ;   in Loop: Header=BB6_57 Depth=2
	s_or_b32 exec_lo, exec_lo, s60
.LBB6_143:                              ;   in Loop: Header=BB6_57 Depth=2
	s_delay_alu instid0(SALU_CYCLE_1) | instskip(SKIP_3) | instid1(VALU_DEP_1)
	s_or_b32 exec_lo, exec_lo, s41
	v_dual_mov_b32 v11, 0 :: v_dual_bitop2_b32 v19, 14, v9 bitop3:0x40
	s_mov_b32 s41, 0
	s_mov_b32 s60, exec_lo
                                        ; implicit-def: $vgpr41
                                        ; implicit-def: $vgpr18
	v_cndmask_b32_e32 v9, v23, v19, vcc_lo
	s_delay_alu instid0(VALU_DEP_1)
	v_cmpx_ne_u32_e32 0, v9
	s_cbranch_execz .LBB6_145
; %bb.144:                              ;   in Loop: Header=BB6_57 Depth=2
	v_cmp_lt_i32_e64 s13, 0, v42
	s_mov_b32 s41, exec_lo
	v_dual_sub_nc_u32 v18, v23, v19 :: v_dual_cndmask_b32 v11, 0, v52, s13
	s_delay_alu instid0(VALU_DEP_1) | instskip(NEXT) | instid1(VALU_DEP_2)
	v_cndmask_b32_e32 v18, 0, v18, vcc_lo
	v_sub_nc_u32_e32 v11, v11, v42
	s_delay_alu instid0(VALU_DEP_1) | instskip(NEXT) | instid1(VALU_DEP_1)
	v_lshl_add_u32 v41, v11, 5, v22
	v_ashrrev_i32_e32 v11, 31, v41
	s_delay_alu instid0(VALU_DEP_1) | instskip(NEXT) | instid1(VALU_DEP_1)
	v_lshrrev_b32_e32 v11, 27, v11
	v_add_nc_u32_e32 v19, v41, v11
	v_add3_u32 v11, v21, v20, v18
	s_delay_alu instid0(VALU_DEP_2)
	v_ashrrev_i32_e32 v18, 5, v19
.LBB6_145:                              ;   in Loop: Header=BB6_57 Depth=2
	s_or_b32 exec_lo, exec_lo, s60
	s_delay_alu instid0(SALU_CYCLE_1)
	s_and_b32 s41, s41, exec_lo
.LBB6_146:                              ;   in Loop: Header=BB6_57 Depth=2
	s_or_b32 exec_lo, exec_lo, s40
	s_and_saveexec_b32 s13, s41
	s_cbranch_execz .LBB6_155
.LBB6_147:                              ;   in Loop: Header=BB6_57 Depth=2
	v_ashrrev_i32_e32 v19, 31, v9
	s_mov_b32 s40, exec_lo
	s_delay_alu instid0(VALU_DEP_1) | instskip(NEXT) | instid1(VALU_DEP_1)
	v_lshrrev_b32_e32 v19, 23, v19
	v_add_nc_u32_e32 v19, v9, v19
	s_delay_alu instid0(VALU_DEP_1) | instskip(NEXT) | instid1(VALU_DEP_1)
	v_dual_ashrrev_i32 v44, 9, v19 :: v_dual_ashrrev_i32 v19, 31, v41
	v_dual_sub_nc_u32 v42, v44, v18 :: v_dual_lshrrev_b32 v43, 27, v19
	s_delay_alu instid0(VALU_DEP_1)
	v_cmpx_lt_i32_e32 0, v42
	s_cbranch_execz .LBB6_151
; %bb.148:                              ;   in Loop: Header=BB6_57 Depth=2
	s_delay_alu instid0(VALU_DEP_2) | instskip(SKIP_3) | instid1(VALU_DEP_3)
	v_dual_add_nc_u32 v19, v41, v43 :: v_dual_lshlrev_b32 v18, 9, v18
	v_mov_b64_e32 v[20:21], v[16:17]
	v_mov_b64_e32 v[22:23], v[14:15]
	s_mov_b32 s41, 0
	v_and_b32_e32 v19, 0x7fffffe0, v19
	s_delay_alu instid0(VALU_DEP_1) | instskip(NEXT) | instid1(VALU_DEP_1)
	v_sub_nc_u32_e32 v19, v41, v19
	v_lshlrev_b32_e32 v19, 1, v19
	s_delay_alu instid0(VALU_DEP_1) | instskip(NEXT) | instid1(VALU_DEP_1)
	v_add3_u32 v18, v19, v11, v18
	v_ashrrev_i32_e32 v19, 31, v18
.LBB6_149:                              ;   Parent Loop BB6_47 Depth=1
                                        ;     Parent Loop BB6_57 Depth=2
                                        ; =>    This Inner Loop Header: Depth=3
	s_delay_alu instid0(VALU_DEP_1)
	v_add_nc_u64_e32 v[46:47], v[18:19], v[22:23]
	v_sub_nc_u32_e32 v42, v42, v52
	v_add_nc_u64_e32 v[22:23], v[22:23], v[70:71]
	s_clause 0x7
	flat_load_u16 v45, v[46:47] th:TH_LOAD_NT
	flat_load_u16 v56, v[46:47] offset:64 th:TH_LOAD_NT
	flat_load_u16 v57, v[46:47] offset:128 th:TH_LOAD_NT
	;; [unrolled: 1-line block ×7, first 2 shown]
	s_wait_xcnt 0x0
	v_add_nc_u64_e32 v[46:47], v[18:19], v[20:21]
	v_add_nc_u64_e32 v[20:21], v[20:21], v[70:71]
	v_cmp_gt_i32_e32 vcc_lo, 1, v42
	s_wait_loadcnt_dscnt 0x707
	flat_store_b16 v[46:47], v45 th:TH_STORE_NT
	s_wait_loadcnt_dscnt 0x607
	flat_store_b16 v[46:47], v56 offset:64 th:TH_STORE_NT
	s_wait_loadcnt_dscnt 0x507
	flat_store_b16 v[46:47], v57 offset:128 th:TH_STORE_NT
	;; [unrolled: 2-line block ×7, first 2 shown]
	s_or_b32 s41, vcc_lo, s41
	s_wait_xcnt 0x0
	s_and_not1_b32 exec_lo, exec_lo, s41
	s_cbranch_execnz .LBB6_149
; %bb.150:                              ;   in Loop: Header=BB6_57 Depth=2
	s_or_b32 exec_lo, exec_lo, s41
.LBB6_151:                              ;   in Loop: Header=BB6_57 Depth=2
	s_delay_alu instid0(SALU_CYCLE_1) | instskip(SKIP_1) | instid1(VALU_DEP_1)
	s_or_b32 exec_lo, exec_lo, s40
	v_lshlrev_b32_e32 v18, 9, v44
	v_cmp_ne_u32_e32 vcc_lo, v9, v18
	s_and_b32 exec_lo, exec_lo, vcc_lo
	s_cbranch_execz .LBB6_155
; %bb.152:                              ;   in Loop: Header=BB6_57 Depth=2
	v_dual_add_nc_u32 v19, v41, v43 :: v_dual_lshlrev_b32 v20, 5, v42
	s_delay_alu instid0(VALU_DEP_1) | instskip(NEXT) | instid1(VALU_DEP_1)
	v_and_b32_e32 v19, 0xffffffe0, v19
	v_sub_nc_u32_e32 v19, v41, v19
	s_delay_alu instid0(VALU_DEP_1) | instskip(NEXT) | instid1(VALU_DEP_1)
	v_sub_nc_u32_e32 v19, v19, v20
	v_ashrrev_i32_e32 v20, 31, v19
	s_delay_alu instid0(VALU_DEP_1) | instskip(NEXT) | instid1(VALU_DEP_1)
	v_lshrrev_b32_e32 v20, 27, v20
	v_add_nc_u32_e32 v20, v19, v20
	s_delay_alu instid0(VALU_DEP_1) | instskip(NEXT) | instid1(VALU_DEP_1)
	v_and_b32_e32 v21, 0x7fffffe0, v20
	v_dual_lshlrev_b32 v20, 1, v20 :: v_dual_sub_nc_u32 v19, v19, v21
	s_delay_alu instid0(VALU_DEP_1) | instskip(NEXT) | instid1(VALU_DEP_2)
	v_and_b32_e32 v20, 0xffffffc0, v20
	v_lshlrev_b32_e32 v19, 1, v19
	s_delay_alu instid0(VALU_DEP_1) | instskip(NEXT) | instid1(VALU_DEP_1)
	v_add3_u32 v18, v20, v19, v18
	v_sub_nc_u32_e32 v9, v9, v18
	s_delay_alu instid0(VALU_DEP_1)
	v_cmp_lt_i32_e32 vcc_lo, 1, v9
	s_and_b32 exec_lo, exec_lo, vcc_lo
	s_cbranch_execz .LBB6_155
; %bb.153:                              ;   in Loop: Header=BB6_57 Depth=2
	v_add_nc_u32_e32 v18, v18, v11
	s_mov_b32 s40, 0
	s_delay_alu instid0(VALU_DEP_1)
	v_ashrrev_i32_e32 v19, 31, v18
.LBB6_154:                              ;   Parent Loop BB6_47 Depth=1
                                        ;     Parent Loop BB6_57 Depth=2
                                        ; =>    This Inner Loop Header: Depth=3
	s_delay_alu instid0(VALU_DEP_1) | instskip(SKIP_1) | instid1(VALU_DEP_1)
	v_add_nc_u64_e32 v[20:21], v[14:15], v[18:19]
	v_sub_nc_u32_e32 v9, v9, v80
	v_cmp_gt_i32_e32 vcc_lo, 2, v9
	flat_load_u16 v11, v[20:21] th:TH_LOAD_NT
	s_wait_xcnt 0x0
	v_add_nc_u64_e32 v[20:21], v[16:17], v[18:19]
	v_add_nc_u64_e32 v[18:19], v[18:19], v[80:81]
	s_or_b32 s40, vcc_lo, s40
	s_wait_loadcnt_dscnt 0x0
	flat_store_b16 v[20:21], v11 th:TH_STORE_NT
	s_wait_xcnt 0x0
	s_and_not1_b32 exec_lo, exec_lo, s40
	s_cbranch_execnz .LBB6_154
.LBB6_155:                              ;   in Loop: Header=BB6_57 Depth=2
	s_or_b32 exec_lo, exec_lo, s13
	v_cmp_lt_i32_e64 s13, 0, v2
	s_and_saveexec_b32 s40, s2
	s_cbranch_execz .LBB6_130
.LBB6_156:                              ;   in Loop: Header=BB6_57 Depth=2
	s_and_saveexec_b32 s41, s3
	s_delay_alu instid0(SALU_CYCLE_1)
	s_xor_b32 s41, exec_lo, s41
	s_cbranch_execz .LBB6_171
; %bb.157:                              ;   in Loop: Header=BB6_57 Depth=2
	s_and_saveexec_b32 s60, s6
	s_cbranch_execz .LBB6_170
; %bb.158:                              ;   in Loop: Header=BB6_57 Depth=2
	s_mov_b32 s62, exec_lo
	s_mov_b32 s61, exec_lo
	v_mbcnt_lo_u32_b32 v2, s62, 0
	global_wb scope:SCOPE_DEV
	s_wait_storecnt 0x0
	s_wait_loadcnt_dscnt 0x0
	global_inv scope:SCOPE_DEV
	v_cmpx_eq_u32_e32 0, v2
	s_cbranch_execz .LBB6_160
; %bb.159:                              ;   in Loop: Header=BB6_57 Depth=2
	s_bcnt1_i32_b32 s62, s62
	s_delay_alu instid0(SALU_CYCLE_1)
	v_mov_b32_e32 v2, s62
	s_wait_loadcnt 0x0
	ds_add_u64 v0, v[2:3]
	s_trap 2
.LBB6_160:                              ;   in Loop: Header=BB6_57 Depth=2
	s_or_b32 exec_lo, exec_lo, s61
	s_trap 2
	ds_load_b64 v[14:15], v0
	s_wait_dscnt 0x0
	v_add_nc_u64_e32 v[48:49], v[48:49], v[52:53]
	s_mov_b32 s61, exec_lo
	s_delay_alu instid0(VALU_DEP_1)
	v_cmpx_lt_u64_e64 v[14:15], v[48:49]
	s_cbranch_execz .LBB6_169
; %bb.161:                              ;   in Loop: Header=BB6_57 Depth=2
	s_mov_b32 s62, 0
	s_mov_b32 s73, 0
                                        ; implicit-def: $sgpr63
                                        ; implicit-def: $sgpr72
	s_branch .LBB6_163
.LBB6_162:                              ;   in Loop: Header=BB6_163 Depth=3
	s_or_b32 exec_lo, exec_lo, s75
	s_delay_alu instid0(SALU_CYCLE_1) | instskip(NEXT) | instid1(SALU_CYCLE_1)
	s_and_b32 s74, exec_lo, s76
	s_or_b32 s62, s74, s62
	s_and_not1_b32 s63, s63, exec_lo
	s_and_b32 s74, s72, exec_lo
	s_delay_alu instid0(SALU_CYCLE_1)
	s_or_b32 s63, s63, s74
	s_and_not1_b32 exec_lo, exec_lo, s62
	s_cbranch_execz .LBB6_167
.LBB6_163:                              ;   Parent Loop BB6_47 Depth=1
                                        ;     Parent Loop BB6_57 Depth=2
                                        ; =>    This Inner Loop Header: Depth=3
	s_add_co_i32 s73, s73, 1
	s_delay_alu instid0(SALU_CYCLE_1) | instskip(SKIP_1) | instid1(SALU_CYCLE_1)
	s_cmp_lg_u32 s73, 0x2710
	s_cselect_b32 s74, -1, 0
	s_and_b32 vcc_lo, exec_lo, s74
	s_cbranch_vccz .LBB6_165
; %bb.164:                              ;   in Loop: Header=BB6_163 Depth=3
	s_mov_b32 s76, -1
	s_or_b32 s72, s72, exec_lo
	s_and_saveexec_b32 s75, s74
	s_cbranch_execz .LBB6_162
	s_branch .LBB6_166
.LBB6_165:                              ;   in Loop: Header=BB6_163 Depth=3
	s_trap 2
	ds_load_b64 v[14:15], v0
	s_and_not1_b32 s74, s74, exec_lo
	s_mov_b32 s73, 0
	s_wait_loadcnt_dscnt 0x0
	flat_load_b32 v2, v[14:15] scope:SCOPE_SYS
	s_wait_loadcnt_dscnt 0x0
	global_inv scope:SCOPE_SYS
	v_cmp_eq_u32_e32 vcc_lo, 0, v2
	s_and_b32 s75, vcc_lo, exec_lo
	s_delay_alu instid0(SALU_CYCLE_1)
	s_or_b32 s74, s74, s75
	s_mov_b32 s76, -1
	s_or_b32 s72, s72, exec_lo
	s_and_saveexec_b32 s75, s74
	s_cbranch_execz .LBB6_162
.LBB6_166:                              ;   in Loop: Header=BB6_163 Depth=3
	s_sleep 1
	s_trap 2
	ds_load_b64 v[14:15], v0
	s_wait_dscnt 0x0
	s_and_not1_b32 s72, s72, exec_lo
	v_cmp_ge_u64_e32 vcc_lo, v[14:15], v[48:49]
	s_or_not1_b32 s76, vcc_lo, exec_lo
	s_branch .LBB6_162
.LBB6_167:                              ;   in Loop: Header=BB6_57 Depth=2
	s_or_b32 exec_lo, exec_lo, s62
	s_and_saveexec_b32 s62, s63
	s_delay_alu instid0(SALU_CYCLE_1)
	s_xor_b32 s62, exec_lo, s62
	s_cbranch_execz .LBB6_169
; %bb.168:                              ;   in Loop: Header=BB6_57 Depth=2
	ds_store_b32 v0, v79
	s_trap 2
.LBB6_169:                              ;   in Loop: Header=BB6_57 Depth=2
	s_or_b32 exec_lo, exec_lo, s61
	;;#ASMSTART
	s_wakeup
	;;#ASMEND
.LBB6_170:                              ;   in Loop: Header=BB6_57 Depth=2
	s_or_b32 exec_lo, exec_lo, s60
.LBB6_171:                              ;   in Loop: Header=BB6_57 Depth=2
	s_and_not1_saveexec_b32 s41, s41
	s_cbranch_execz .LBB6_173
; %bb.172:                              ;   in Loop: Header=BB6_57 Depth=2
	global_wb scope:SCOPE_DEV
	s_wait_storecnt 0x0
	s_wait_loadcnt_dscnt 0x0
	global_inv scope:SCOPE_DEV
	s_barrier_signal -1
	s_barrier_wait -1
.LBB6_173:                              ;   in Loop: Header=BB6_57 Depth=2
	s_or_b32 exec_lo, exec_lo, s41
	s_delay_alu instid0(SALU_CYCLE_1) | instskip(SKIP_1) | instid1(SALU_CYCLE_1)
	s_or_b32 exec_lo, exec_lo, s40
                                        ; implicit-def: $vgpr2
	s_and_saveexec_b32 s40, s10
	s_xor_b32 s40, exec_lo, s40
	s_cbranch_execnz .LBB6_131
.LBB6_174:                              ;   in Loop: Header=BB6_57 Depth=2
	s_and_not1_saveexec_b32 s13, s40
	s_cbranch_execz .LBB6_193
.LBB6_175:                              ;   in Loop: Header=BB6_57 Depth=2
	s_and_saveexec_b32 s40, s3
	s_delay_alu instid0(SALU_CYCLE_1)
	s_xor_b32 s40, exec_lo, s40
	s_cbranch_execz .LBB6_190
; %bb.176:                              ;   in Loop: Header=BB6_57 Depth=2
	s_and_saveexec_b32 s41, s6
	s_cbranch_execz .LBB6_189
; %bb.177:                              ;   in Loop: Header=BB6_57 Depth=2
	s_mov_b32 s61, exec_lo
	s_mov_b32 s60, exec_lo
	v_mbcnt_lo_u32_b32 v2, s61, 0
	;;#ASMSTART
	s_waitcnt lgkmcnt(0) vmcnt(0)
	;;#ASMEND
	s_delay_alu instid0(VALU_DEP_1)
	v_cmpx_eq_u32_e32 0, v2
	s_cbranch_execz .LBB6_179
; %bb.178:                              ;   in Loop: Header=BB6_57 Depth=2
	s_bcnt1_i32_b32 s61, s61
	s_delay_alu instid0(SALU_CYCLE_1)
	v_mov_b32_e32 v2, s61
	s_wait_storecnt 0x0
	s_wait_loadcnt_dscnt 0x0
	ds_add_u64 v0, v[2:3]
	s_trap 2
.LBB6_179:                              ;   in Loop: Header=BB6_57 Depth=2
	s_or_b32 exec_lo, exec_lo, s60
	s_trap 2
	ds_load_b64 v[14:15], v0
	s_wait_dscnt 0x0
	v_add_nc_u64_e32 v[48:49], v[48:49], v[52:53]
	s_mov_b32 s60, exec_lo
	s_delay_alu instid0(VALU_DEP_1)
	v_cmpx_lt_u64_e64 v[14:15], v[48:49]
	s_cbranch_execz .LBB6_188
; %bb.180:                              ;   in Loop: Header=BB6_57 Depth=2
	s_mov_b32 s61, 0
	s_mov_b32 s72, 0
                                        ; implicit-def: $sgpr62
                                        ; implicit-def: $sgpr63
	s_branch .LBB6_182
.LBB6_181:                              ;   in Loop: Header=BB6_182 Depth=3
	s_or_b32 exec_lo, exec_lo, s74
	s_delay_alu instid0(SALU_CYCLE_1) | instskip(NEXT) | instid1(SALU_CYCLE_1)
	s_and_b32 s73, exec_lo, s75
	s_or_b32 s61, s73, s61
	s_and_not1_b32 s62, s62, exec_lo
	s_and_b32 s73, s63, exec_lo
	s_delay_alu instid0(SALU_CYCLE_1)
	s_or_b32 s62, s62, s73
	s_and_not1_b32 exec_lo, exec_lo, s61
	s_cbranch_execz .LBB6_186
.LBB6_182:                              ;   Parent Loop BB6_47 Depth=1
                                        ;     Parent Loop BB6_57 Depth=2
                                        ; =>    This Inner Loop Header: Depth=3
	s_add_co_i32 s72, s72, 1
	s_delay_alu instid0(SALU_CYCLE_1) | instskip(SKIP_1) | instid1(SALU_CYCLE_1)
	s_cmp_lg_u32 s72, 0x2710
	s_cselect_b32 s73, -1, 0
	s_and_b32 vcc_lo, exec_lo, s73
	s_cbranch_vccz .LBB6_184
; %bb.183:                              ;   in Loop: Header=BB6_182 Depth=3
	s_mov_b32 s75, -1
	s_or_b32 s63, s63, exec_lo
	s_and_saveexec_b32 s74, s73
	s_cbranch_execz .LBB6_181
	s_branch .LBB6_185
.LBB6_184:                              ;   in Loop: Header=BB6_182 Depth=3
	s_trap 2
	ds_load_b64 v[14:15], v0
	s_and_not1_b32 s73, s73, exec_lo
	s_mov_b32 s72, 0
	s_wait_storecnt 0x0
	s_wait_loadcnt_dscnt 0x0
	flat_load_b32 v2, v[14:15] scope:SCOPE_SYS
	s_wait_loadcnt_dscnt 0x0
	global_inv scope:SCOPE_SYS
	v_cmp_eq_u32_e32 vcc_lo, 0, v2
	s_and_b32 s74, vcc_lo, exec_lo
	s_delay_alu instid0(SALU_CYCLE_1)
	s_or_b32 s73, s73, s74
	s_mov_b32 s75, -1
	s_or_b32 s63, s63, exec_lo
	s_and_saveexec_b32 s74, s73
	s_cbranch_execz .LBB6_181
.LBB6_185:                              ;   in Loop: Header=BB6_182 Depth=3
	s_sleep 1
	s_trap 2
	ds_load_b64 v[14:15], v0
	s_wait_dscnt 0x0
	s_and_not1_b32 s63, s63, exec_lo
	v_cmp_ge_u64_e32 vcc_lo, v[14:15], v[48:49]
	s_or_not1_b32 s75, vcc_lo, exec_lo
	s_branch .LBB6_181
.LBB6_186:                              ;   in Loop: Header=BB6_57 Depth=2
	s_or_b32 exec_lo, exec_lo, s61
	s_and_saveexec_b32 s61, s62
	s_delay_alu instid0(SALU_CYCLE_1)
	s_xor_b32 s61, exec_lo, s61
	s_cbranch_execz .LBB6_188
; %bb.187:                              ;   in Loop: Header=BB6_57 Depth=2
	ds_store_b32 v0, v79
	s_trap 2
.LBB6_188:                              ;   in Loop: Header=BB6_57 Depth=2
	s_or_b32 exec_lo, exec_lo, s60
	;;#ASMSTART
	s_wakeup
	;;#ASMEND
.LBB6_189:                              ;   in Loop: Header=BB6_57 Depth=2
	s_or_b32 exec_lo, exec_lo, s41
.LBB6_190:                              ;   in Loop: Header=BB6_57 Depth=2
	s_and_not1_saveexec_b32 s40, s40
	s_cbranch_execz .LBB6_192
; %bb.191:                              ;   in Loop: Header=BB6_57 Depth=2
	;;#ASMSTART
	s_waitcnt lgkmcnt(0) vmcnt(0)
	;;#ASMEND
	s_barrier_signal -1
	s_barrier_wait -1
.LBB6_192:                              ;   in Loop: Header=BB6_57 Depth=2
	s_or_b32 exec_lo, exec_lo, s40
	v_and_b32_e32 v2, 16, v30
.LBB6_193:                              ;   in Loop: Header=BB6_57 Depth=2
	s_or_b32 exec_lo, exec_lo, s13
	s_delay_alu instid0(SALU_CYCLE_1) | instskip(NEXT) | instid1(VALU_DEP_1)
	s_mov_b32 s13, exec_lo
	v_cmpx_ne_u32_e32 0, v2
	s_cbranch_execz .LBB6_56
; %bb.194:                              ;   in Loop: Header=BB6_57 Depth=2
	s_and_saveexec_b32 s40, s5
	s_cbranch_execz .LBB6_55
; %bb.195:                              ;   in Loop: Header=BB6_57 Depth=2
	global_wb scope:SCOPE_SYS
	s_wait_storecnt 0x0
	s_wait_loadcnt_dscnt 0x0
	flat_store_b32 v[38:39], v79 scope:SCOPE_SYS
	s_branch .LBB6_55
.LBB6_196:                              ;   in Loop: Header=BB6_47 Depth=1
	s_or_b32 exec_lo, exec_lo, s15
.LBB6_197:                              ;   in Loop: Header=BB6_47 Depth=1
	s_delay_alu instid0(SALU_CYCLE_1) | instskip(NEXT) | instid1(SALU_CYCLE_1)
	s_or_b32 exec_lo, exec_lo, s14
	s_mov_b32 s14, exec_lo
	v_cmpx_gt_i32_e32 2, v2
	s_cbranch_execz .LBB6_271
; %bb.198:                              ;   in Loop: Header=BB6_47 Depth=1
	v_cmp_eq_u32_e64 s18, 0, v2
	s_mov_b32 s15, 0
	s_branch .LBB6_201
.LBB6_199:                              ;   in Loop: Header=BB6_201 Depth=2
	s_wait_xcnt 0x0
	s_or_b32 exec_lo, exec_lo, s18
	v_add_nc_u64_e32 v[114:115], 2, v[114:115]
	global_wb scope:SCOPE_SYS
	s_wait_storecnt 0x0
	s_wait_loadcnt_dscnt 0x0
	flat_store_b64 v[32:33], v[114:115] scope:SCOPE_SYS
.LBB6_200:                              ;   in Loop: Header=BB6_201 Depth=2
	s_wait_xcnt 0x0
	s_or_b32 exec_lo, exec_lo, s13
	v_add_nc_u32_e32 v10, v8, v10
	s_mov_b32 s18, 0
	s_and_not1_b32 exec_lo, exec_lo, s15
	s_cbranch_execz .LBB6_270
.LBB6_201:                              ;   Parent Loop BB6_47 Depth=1
                                        ; =>  This Loop Header: Depth=2
                                        ;       Child Loop BB6_207 Depth 3
                                        ;       Child Loop BB6_231 Depth 3
	;; [unrolled: 1-line block ×3, first 2 shown]
	s_delay_alu instid0(VALU_DEP_1) | instskip(SKIP_2) | instid1(VALU_DEP_2)
	v_sub_nc_u32_e32 v2, v40, v10
	v_and_b32_e32 v9, 8, v30
	s_mov_b32 s27, exec_lo
	v_min_i32_e32 v8, v8, v2
	s_delay_alu instid0(VALU_DEP_2)
	v_cmpx_ne_u32_e32 0, v9
	s_cbranch_execz .LBB6_223
; %bb.202:                              ;   in Loop: Header=BB6_201 Depth=2
	s_wait_loadcnt_dscnt 0x1
	v_add_nc_u64_e32 v[14:15], 8, v[50:51]
	v_add_nc_u64_e32 v[12:13], 2, v[114:115]
	s_mov_b32 s40, exec_lo
	s_delay_alu instid0(VALU_DEP_1)
	v_cmpx_lt_u64_e64 v[14:15], v[12:13]
	s_cbranch_execz .LBB6_214
; %bb.203:                              ;   in Loop: Header=BB6_201 Depth=2
	v_and_b32_e32 v2, 64, v30
	s_mov_b32 s41, 0
	s_mov_b32 s63, 0
                                        ; implicit-def: $sgpr60
                                        ; implicit-def: $sgpr61
                                        ; implicit-def: $sgpr62
	s_delay_alu instid0(VALU_DEP_1)
	v_cmp_eq_u32_e32 vcc_lo, 0, v2
	s_branch .LBB6_207
.LBB6_204:                              ;   in Loop: Header=BB6_207 Depth=3
	s_wait_loadcnt_dscnt 0x0
	v_add_nc_u64_e32 v[14:15], 8, v[50:51]
	s_or_b32 s74, s74, exec_lo
	s_delay_alu instid0(VALU_DEP_1)
	v_cmp_ge_u64_e64 s13, v[14:15], v[12:13]
	s_or_not1_b32 s73, s13, exec_lo
.LBB6_205:                              ;   in Loop: Header=BB6_207 Depth=3
	s_or_b32 exec_lo, exec_lo, s76
	s_delay_alu instid0(SALU_CYCLE_1)
	s_and_not1_b32 s13, s62, exec_lo
	s_and_b32 s62, s74, exec_lo
	s_and_not1_b32 s61, s61, exec_lo
	s_and_b32 s73, s73, exec_lo
	s_or_b32 s62, s13, s62
	s_or_b32 s61, s61, s73
.LBB6_206:                              ;   in Loop: Header=BB6_207 Depth=3
	s_or_b32 exec_lo, exec_lo, s72
	s_delay_alu instid0(SALU_CYCLE_1) | instskip(NEXT) | instid1(SALU_CYCLE_1)
	s_and_b32 s13, exec_lo, s61
	s_or_b32 s41, s13, s41
	s_and_not1_b32 s13, s60, exec_lo
	s_and_b32 s60, s62, exec_lo
	s_delay_alu instid0(SALU_CYCLE_1)
	s_or_b32 s60, s13, s60
	s_and_not1_b32 exec_lo, exec_lo, s41
	s_cbranch_execz .LBB6_211
.LBB6_207:                              ;   Parent Loop BB6_47 Depth=1
                                        ;     Parent Loop BB6_201 Depth=2
                                        ; =>    This Inner Loop Header: Depth=3
	s_sleep 1
	s_wait_loadcnt_dscnt 0x0
	flat_load_b64 v[50:51], v[32:33] scope:SCOPE_SYS
	s_or_b32 s62, s62, exec_lo
	s_or_b32 s61, s61, exec_lo
                                        ; implicit-def: $vgpr2
	s_wait_xcnt 0x0
	s_and_saveexec_b32 s72, vcc_lo
	s_cbranch_execz .LBB6_206
; %bb.208:                              ;   in Loop: Header=BB6_207 Depth=3
	s_cmp_lt_i32 s63, 0x270f
	s_mov_b32 s73, -1
	s_cselect_b32 s75, -1, 0
	s_cmp_gt_i32 s63, 0x270e
	s_cbranch_scc0 .LBB6_210
; %bb.209:                              ;   in Loop: Header=BB6_207 Depth=3
	s_trap 2
	ds_load_b64 v[14:15], v0
	s_and_not1_b32 s63, s75, exec_lo
	s_mov_b32 s74, 0
	s_wait_storecnt 0x0
	s_wait_loadcnt_dscnt 0x0
	flat_load_b32 v2, v[14:15] scope:SCOPE_SYS
	s_wait_loadcnt_dscnt 0x0
	global_inv scope:SCOPE_SYS
	v_cmp_eq_u32_e64 s13, 0, v2
	s_and_b32 s13, s13, exec_lo
	s_delay_alu instid0(SALU_CYCLE_1)
	s_or_b32 s75, s63, s13
	s_mov_b32 s63, 0
	s_and_saveexec_b32 s76, s75
	s_cbranch_execz .LBB6_205
	s_branch .LBB6_204
.LBB6_210:                              ;   in Loop: Header=BB6_207 Depth=3
	s_add_co_i32 s63, s63, 1
	s_mov_b32 s74, -1
                                        ; implicit-def: $vgpr2
	s_and_saveexec_b32 s76, s75
	s_cbranch_execz .LBB6_205
	s_branch .LBB6_204
.LBB6_211:                              ;   in Loop: Header=BB6_201 Depth=2
	s_or_b32 exec_lo, exec_lo, s41
	s_xor_b32 s13, s60, -1
	s_delay_alu instid0(SALU_CYCLE_1) | instskip(NEXT) | instid1(SALU_CYCLE_1)
	s_and_saveexec_b32 s41, s13
	s_xor_b32 s13, exec_lo, s41
	s_cbranch_execz .LBB6_213
; %bb.212:                              ;   in Loop: Header=BB6_201 Depth=2
	v_or_b32_e32 v30, 64, v30
	s_wait_storecnt 0x0
	s_wait_loadcnt_dscnt 0x0
	ds_store_b32 v0, v2
	s_trap 2
.LBB6_213:                              ;   in Loop: Header=BB6_201 Depth=2
	s_or_b32 exec_lo, exec_lo, s13
.LBB6_214:                              ;   in Loop: Header=BB6_201 Depth=2
	s_delay_alu instid0(SALU_CYCLE_1) | instskip(SKIP_4) | instid1(VALU_DEP_1)
	s_or_b32 exec_lo, exec_lo, s40
	v_and_b32_e32 v2, 0x100, v30
	s_mov_b32 s40, 0
	s_mov_b32 s13, exec_lo
	;;#ASMSTART
	s_wakeup
	;;#ASMEND
                                        ; implicit-def: $vgpr14_vgpr15
	v_cmpx_ne_u32_e32 0, v2
	s_xor_b32 s13, exec_lo, s13
	s_cbranch_execz .LBB6_235
; %bb.215:                              ;   in Loop: Header=BB6_201 Depth=2
	v_dual_ashrrev_i32 v9, 31, v8 :: v_dual_bitop2_b32 v2, 7, v114 bitop3:0x40
	s_mov_b32 s40, -1
	s_mov_b32 s41, exec_lo
	s_delay_alu instid0(VALU_DEP_1) | instskip(NEXT) | instid1(VALU_DEP_2)
	v_mad_nc_u64_u32 v[16:17], v2, 24, v[6:7]
	v_lshlrev_b64_e32 v[14:15], 1, v[8:9]
	s_clause 0x1
	flat_load_b32 v11, v[16:17]
	flat_store_b64 v[16:17], v[14:15] offset:8
                                        ; implicit-def: $vgpr14_vgpr15
	s_wait_loadcnt_dscnt 0x1
	v_cmpx_eq_u32_e32 1, v11
	s_cbranch_execz .LBB6_217
; %bb.216:                              ;   in Loop: Header=BB6_201 Depth=2
	flat_load_b32 v14, v[16:17] offset:4 scope:SCOPE_SYS
	s_xor_b32 s40, exec_lo, -1
	s_wait_loadcnt_dscnt 0x0
	v_ashrrev_i32_e32 v15, 31, v14
	s_delay_alu instid0(VALU_DEP_1)
	v_lshrrev_b64 v[14:15], 1, v[14:15]
.LBB6_217:                              ;   in Loop: Header=BB6_201 Depth=2
	s_wait_xcnt 0x0
	s_or_b32 exec_lo, exec_lo, s41
	s_delay_alu instid0(SALU_CYCLE_1)
	s_and_b32 s40, s40, exec_lo
                                        ; implicit-def: $vgpr114_vgpr115
	s_and_not1_saveexec_b32 s13, s13
	s_cbranch_execnz .LBB6_236
.LBB6_218:                              ;   in Loop: Header=BB6_201 Depth=2
	s_or_b32 exec_lo, exec_lo, s13
	s_and_saveexec_b32 s13, s40
.LBB6_219:                              ;   in Loop: Header=BB6_201 Depth=2
	v_mul_u64_e32 v[14:15], v[2:3], v[34:35]
.LBB6_220:                              ;   in Loop: Header=BB6_201 Depth=2
	s_or_b32 exec_lo, exec_lo, s13
	v_and_b32_e32 v2, 0x2000, v30
	s_delay_alu instid0(VALU_DEP_2)
	v_lshl_add_u64 v[14:15], v[14:15], 1, v[36:37]
	s_mov_b32 s13, exec_lo
	ds_store_b64 v0, v[14:15] offset:784
	v_cmpx_ne_u32_e32 0, v2
	s_cbranch_execz .LBB6_222
; %bb.221:                              ;   in Loop: Header=BB6_201 Depth=2
	ds_load_b64 v[14:15], v0 offset:872
	s_wait_dscnt 0x0
	v_add_nc_u64_e32 v[14:15], 1, v[14:15]
	ds_store_b64 v0, v[14:15] offset:872
.LBB6_222:                              ;   in Loop: Header=BB6_201 Depth=2
	s_or_b32 exec_lo, exec_lo, s13
	v_mov_b64_e32 v[114:115], v[12:13]
.LBB6_223:                              ;   in Loop: Header=BB6_201 Depth=2
	s_or_b32 exec_lo, exec_lo, s27
	s_xor_b32 s13, s18, -1
	s_delay_alu instid0(SALU_CYCLE_1) | instskip(NEXT) | instid1(SALU_CYCLE_1)
	s_and_b32 s13, exec_lo, s13
	s_or_b32 s15, s13, s15
	s_and_saveexec_b32 s13, s2
	s_cbranch_execz .LBB6_244
; %bb.224:                              ;   in Loop: Header=BB6_201 Depth=2
	s_and_saveexec_b32 s18, s3
	s_delay_alu instid0(SALU_CYCLE_1)
	s_xor_b32 s18, exec_lo, s18
	s_cbranch_execz .LBB6_241
; %bb.225:                              ;   in Loop: Header=BB6_201 Depth=2
	s_and_saveexec_b32 s27, s6
	s_cbranch_execz .LBB6_240
; %bb.226:                              ;   in Loop: Header=BB6_201 Depth=2
	s_mov_b32 s41, exec_lo
	s_mov_b32 s40, exec_lo
	v_mbcnt_lo_u32_b32 v2, s41, 0
	global_wb scope:SCOPE_DEV
	s_wait_storecnt 0x0
	s_wait_loadcnt_dscnt 0x0
	global_inv scope:SCOPE_DEV
	v_cmpx_eq_u32_e32 0, v2
	s_cbranch_execz .LBB6_228
; %bb.227:                              ;   in Loop: Header=BB6_201 Depth=2
	s_bcnt1_i32_b32 s41, s41
	s_delay_alu instid0(SALU_CYCLE_1)
	v_mov_b32_e32 v2, s41
	s_wait_loadcnt 0x0
	ds_add_u64 v0, v[2:3]
	s_trap 2
.LBB6_228:                              ;   in Loop: Header=BB6_201 Depth=2
	s_or_b32 exec_lo, exec_lo, s40
	s_trap 2
	ds_load_b64 v[12:13], v0
	s_wait_dscnt 0x0
	v_add_nc_u64_e32 v[48:49], v[48:49], v[52:53]
	s_mov_b32 s40, exec_lo
	s_delay_alu instid0(VALU_DEP_1)
	v_cmpx_lt_u64_e64 v[12:13], v[48:49]
	s_cbranch_execz .LBB6_239
; %bb.229:                              ;   in Loop: Header=BB6_201 Depth=2
	s_mov_b32 s41, 0
	s_mov_b32 s62, 0
                                        ; implicit-def: $sgpr60
                                        ; implicit-def: $sgpr61
	s_branch .LBB6_231
.LBB6_230:                              ;   in Loop: Header=BB6_231 Depth=3
	s_or_b32 exec_lo, exec_lo, s72
	s_delay_alu instid0(SALU_CYCLE_1) | instskip(NEXT) | instid1(SALU_CYCLE_1)
	s_and_b32 s63, exec_lo, s73
	s_or_b32 s41, s63, s41
	s_and_not1_b32 s60, s60, exec_lo
	s_and_b32 s63, s61, exec_lo
	s_delay_alu instid0(SALU_CYCLE_1)
	s_or_b32 s60, s60, s63
	s_and_not1_b32 exec_lo, exec_lo, s41
	s_cbranch_execz .LBB6_237
.LBB6_231:                              ;   Parent Loop BB6_47 Depth=1
                                        ;     Parent Loop BB6_201 Depth=2
                                        ; =>    This Inner Loop Header: Depth=3
	s_add_co_i32 s62, s62, 1
	s_delay_alu instid0(SALU_CYCLE_1) | instskip(SKIP_1) | instid1(SALU_CYCLE_1)
	s_cmp_lg_u32 s62, 0x2710
	s_cselect_b32 s63, -1, 0
	s_and_b32 vcc_lo, exec_lo, s63
	s_cbranch_vccz .LBB6_233
; %bb.232:                              ;   in Loop: Header=BB6_231 Depth=3
	s_mov_b32 s73, -1
	s_or_b32 s61, s61, exec_lo
	s_and_saveexec_b32 s72, s63
	s_cbranch_execz .LBB6_230
	s_branch .LBB6_234
.LBB6_233:                              ;   in Loop: Header=BB6_231 Depth=3
	s_trap 2
	ds_load_b64 v[12:13], v0
	s_and_not1_b32 s63, s63, exec_lo
	s_mov_b32 s62, 0
	s_wait_loadcnt_dscnt 0x0
	flat_load_b32 v2, v[12:13] scope:SCOPE_SYS
	s_wait_loadcnt_dscnt 0x0
	global_inv scope:SCOPE_SYS
	v_cmp_eq_u32_e32 vcc_lo, 0, v2
	s_and_b32 s72, vcc_lo, exec_lo
	s_delay_alu instid0(SALU_CYCLE_1)
	s_or_b32 s63, s63, s72
	s_mov_b32 s73, -1
	s_or_b32 s61, s61, exec_lo
	s_and_saveexec_b32 s72, s63
	s_cbranch_execz .LBB6_230
.LBB6_234:                              ;   in Loop: Header=BB6_231 Depth=3
	s_sleep 1
	s_trap 2
	ds_load_b64 v[12:13], v0
	s_wait_dscnt 0x0
	s_and_not1_b32 s61, s61, exec_lo
	v_cmp_ge_u64_e32 vcc_lo, v[12:13], v[48:49]
	s_or_not1_b32 s73, vcc_lo, exec_lo
	s_branch .LBB6_230
.LBB6_235:                              ;   in Loop: Header=BB6_201 Depth=2
	s_and_not1_saveexec_b32 s13, s13
	s_cbranch_execz .LBB6_218
.LBB6_236:                              ;   in Loop: Header=BB6_201 Depth=2
	v_and_b32_e32 v2, 7, v114
	s_or_b32 s40, s40, exec_lo
	s_or_b32 exec_lo, exec_lo, s13
	s_and_saveexec_b32 s13, s40
	s_cbranch_execnz .LBB6_219
	s_branch .LBB6_220
.LBB6_237:                              ;   in Loop: Header=BB6_201 Depth=2
	s_or_b32 exec_lo, exec_lo, s41
	s_and_saveexec_b32 s41, s60
	s_delay_alu instid0(SALU_CYCLE_1)
	s_xor_b32 s41, exec_lo, s41
	s_cbranch_execz .LBB6_239
; %bb.238:                              ;   in Loop: Header=BB6_201 Depth=2
	ds_store_b32 v0, v79
	s_trap 2
.LBB6_239:                              ;   in Loop: Header=BB6_201 Depth=2
	s_or_b32 exec_lo, exec_lo, s40
	;;#ASMSTART
	s_wakeup
	;;#ASMEND
.LBB6_240:                              ;   in Loop: Header=BB6_201 Depth=2
	s_or_b32 exec_lo, exec_lo, s27
.LBB6_241:                              ;   in Loop: Header=BB6_201 Depth=2
	s_and_not1_saveexec_b32 s18, s18
	s_cbranch_execz .LBB6_243
; %bb.242:                              ;   in Loop: Header=BB6_201 Depth=2
	global_wb scope:SCOPE_DEV
	s_wait_storecnt 0x0
	s_wait_loadcnt_dscnt 0x0
	global_inv scope:SCOPE_DEV
	s_barrier_signal -1
	s_barrier_wait -1
.LBB6_243:                              ;   in Loop: Header=BB6_201 Depth=2
	s_or_b32 exec_lo, exec_lo, s18
.LBB6_244:                              ;   in Loop: Header=BB6_201 Depth=2
	s_delay_alu instid0(SALU_CYCLE_1) | instskip(SKIP_1) | instid1(SALU_CYCLE_1)
	s_or_b32 exec_lo, exec_lo, s13
                                        ; implicit-def: $vgpr2
	s_and_saveexec_b32 s13, s10
	s_xor_b32 s18, exec_lo, s13
	s_cbranch_execz .LBB6_248
; %bb.245:                              ;   in Loop: Header=BB6_201 Depth=2
	s_trap 2
	ds_load_b32 v2, v0
	v_cmp_lt_i32_e32 vcc_lo, 0, v8
	s_wait_dscnt 0x0
	v_readfirstlane_b32 s13, v2
	v_and_b32_e32 v2, 16, v30
	s_cmp_eq_u32 s13, 0
	s_delay_alu instid0(VALU_DEP_1) | instskip(SKIP_3) | instid1(SALU_CYCLE_1)
	v_cmp_ne_u32_e64 s13, 0, v2
	s_cselect_b32 s27, -1, 0
	v_and_b32_e32 v2, 16, v30
	s_and_b32 s27, vcc_lo, s27
	s_and_b32 s27, s13, s27
	s_delay_alu instid0(SALU_CYCLE_1)
	s_and_saveexec_b32 s13, s27
	s_cbranch_execz .LBB6_247
; %bb.246:                              ;   in Loop: Header=BB6_201 Depth=2
	v_mov_b32_e32 v2, 1
	global_wb scope:SCOPE_SYS
	s_wait_loadcnt 0x0
	s_wait_storecnt 0x0
	global_inv scope:SCOPE_SYS
.LBB6_247:                              ;   in Loop: Header=BB6_201 Depth=2
	s_or_b32 exec_lo, exec_lo, s13
	s_and_not1_saveexec_b32 s13, s18
	s_cbranch_execz .LBB6_267
	s_branch .LBB6_249
.LBB6_248:                              ;   in Loop: Header=BB6_201 Depth=2
	s_and_not1_saveexec_b32 s13, s18
	s_cbranch_execz .LBB6_267
.LBB6_249:                              ;   in Loop: Header=BB6_201 Depth=2
	s_and_saveexec_b32 s18, s3
	s_delay_alu instid0(SALU_CYCLE_1)
	s_xor_b32 s18, exec_lo, s18
	s_cbranch_execz .LBB6_264
; %bb.250:                              ;   in Loop: Header=BB6_201 Depth=2
	s_and_saveexec_b32 s27, s6
	s_cbranch_execz .LBB6_263
; %bb.251:                              ;   in Loop: Header=BB6_201 Depth=2
	s_mov_b32 s41, exec_lo
	s_mov_b32 s40, exec_lo
	v_mbcnt_lo_u32_b32 v2, s41, 0
	;;#ASMSTART
	s_waitcnt lgkmcnt(0) vmcnt(0)
	;;#ASMEND
	s_delay_alu instid0(VALU_DEP_1)
	v_cmpx_eq_u32_e32 0, v2
	s_cbranch_execz .LBB6_253
; %bb.252:                              ;   in Loop: Header=BB6_201 Depth=2
	s_bcnt1_i32_b32 s41, s41
	s_delay_alu instid0(SALU_CYCLE_1)
	v_mov_b32_e32 v2, s41
	s_wait_storecnt 0x0
	s_wait_loadcnt_dscnt 0x0
	ds_add_u64 v0, v[2:3]
	s_trap 2
.LBB6_253:                              ;   in Loop: Header=BB6_201 Depth=2
	s_or_b32 exec_lo, exec_lo, s40
	s_trap 2
	ds_load_b64 v[12:13], v0
	s_wait_dscnt 0x0
	v_add_nc_u64_e32 v[48:49], v[48:49], v[52:53]
	s_mov_b32 s40, exec_lo
	s_delay_alu instid0(VALU_DEP_1)
	v_cmpx_lt_u64_e64 v[12:13], v[48:49]
	s_cbranch_execz .LBB6_262
; %bb.254:                              ;   in Loop: Header=BB6_201 Depth=2
	s_mov_b32 s41, 0
	s_mov_b32 s62, 0
                                        ; implicit-def: $sgpr60
                                        ; implicit-def: $sgpr61
	s_branch .LBB6_256
.LBB6_255:                              ;   in Loop: Header=BB6_256 Depth=3
	s_or_b32 exec_lo, exec_lo, s72
	s_delay_alu instid0(SALU_CYCLE_1) | instskip(NEXT) | instid1(SALU_CYCLE_1)
	s_and_b32 s63, exec_lo, s73
	s_or_b32 s41, s63, s41
	s_and_not1_b32 s60, s60, exec_lo
	s_and_b32 s63, s61, exec_lo
	s_delay_alu instid0(SALU_CYCLE_1)
	s_or_b32 s60, s60, s63
	s_and_not1_b32 exec_lo, exec_lo, s41
	s_cbranch_execz .LBB6_260
.LBB6_256:                              ;   Parent Loop BB6_47 Depth=1
                                        ;     Parent Loop BB6_201 Depth=2
                                        ; =>    This Inner Loop Header: Depth=3
	s_add_co_i32 s62, s62, 1
	s_delay_alu instid0(SALU_CYCLE_1) | instskip(SKIP_1) | instid1(SALU_CYCLE_1)
	s_cmp_lg_u32 s62, 0x2710
	s_cselect_b32 s63, -1, 0
	s_and_b32 vcc_lo, exec_lo, s63
	s_cbranch_vccz .LBB6_258
; %bb.257:                              ;   in Loop: Header=BB6_256 Depth=3
	s_mov_b32 s73, -1
	s_or_b32 s61, s61, exec_lo
	s_and_saveexec_b32 s72, s63
	s_cbranch_execz .LBB6_255
	s_branch .LBB6_259
.LBB6_258:                              ;   in Loop: Header=BB6_256 Depth=3
	s_trap 2
	ds_load_b64 v[12:13], v0
	s_and_not1_b32 s63, s63, exec_lo
	s_mov_b32 s62, 0
	s_wait_storecnt 0x0
	s_wait_loadcnt_dscnt 0x0
	flat_load_b32 v2, v[12:13] scope:SCOPE_SYS
	s_wait_loadcnt_dscnt 0x0
	global_inv scope:SCOPE_SYS
	v_cmp_eq_u32_e32 vcc_lo, 0, v2
	s_and_b32 s72, vcc_lo, exec_lo
	s_delay_alu instid0(SALU_CYCLE_1)
	s_or_b32 s63, s63, s72
	s_mov_b32 s73, -1
	s_or_b32 s61, s61, exec_lo
	s_and_saveexec_b32 s72, s63
	s_cbranch_execz .LBB6_255
.LBB6_259:                              ;   in Loop: Header=BB6_256 Depth=3
	s_sleep 1
	s_trap 2
	ds_load_b64 v[12:13], v0
	s_wait_dscnt 0x0
	s_and_not1_b32 s61, s61, exec_lo
	v_cmp_ge_u64_e32 vcc_lo, v[12:13], v[48:49]
	s_or_not1_b32 s73, vcc_lo, exec_lo
	s_branch .LBB6_255
.LBB6_260:                              ;   in Loop: Header=BB6_201 Depth=2
	s_or_b32 exec_lo, exec_lo, s41
	s_and_saveexec_b32 s41, s60
	s_delay_alu instid0(SALU_CYCLE_1)
	s_xor_b32 s41, exec_lo, s41
	s_cbranch_execz .LBB6_262
; %bb.261:                              ;   in Loop: Header=BB6_201 Depth=2
	ds_store_b32 v0, v79
	s_trap 2
.LBB6_262:                              ;   in Loop: Header=BB6_201 Depth=2
	s_or_b32 exec_lo, exec_lo, s40
	;;#ASMSTART
	s_wakeup
	;;#ASMEND
.LBB6_263:                              ;   in Loop: Header=BB6_201 Depth=2
	s_or_b32 exec_lo, exec_lo, s27
.LBB6_264:                              ;   in Loop: Header=BB6_201 Depth=2
	s_and_not1_saveexec_b32 s18, s18
	s_cbranch_execz .LBB6_266
; %bb.265:                              ;   in Loop: Header=BB6_201 Depth=2
	;;#ASMSTART
	s_waitcnt lgkmcnt(0) vmcnt(0)
	;;#ASMEND
	s_barrier_signal -1
	s_barrier_wait -1
.LBB6_266:                              ;   in Loop: Header=BB6_201 Depth=2
	s_or_b32 exec_lo, exec_lo, s18
	v_and_b32_e32 v2, 16, v30
.LBB6_267:                              ;   in Loop: Header=BB6_201 Depth=2
	s_or_b32 exec_lo, exec_lo, s13
	s_delay_alu instid0(SALU_CYCLE_1) | instskip(NEXT) | instid1(VALU_DEP_1)
	s_mov_b32 s13, exec_lo
	v_cmpx_ne_u32_e32 0, v2
	s_cbranch_execz .LBB6_200
; %bb.268:                              ;   in Loop: Header=BB6_201 Depth=2
	s_and_saveexec_b32 s18, s5
	s_cbranch_execz .LBB6_199
; %bb.269:                              ;   in Loop: Header=BB6_201 Depth=2
	global_wb scope:SCOPE_SYS
	s_wait_storecnt 0x0
	s_wait_loadcnt_dscnt 0x0
	flat_store_b32 v[38:39], v79 scope:SCOPE_SYS
	s_branch .LBB6_199
.LBB6_270:                              ;   in Loop: Header=BB6_47 Depth=1
	s_or_b32 exec_lo, exec_lo, s15
.LBB6_271:                              ;   in Loop: Header=BB6_47 Depth=1
	s_delay_alu instid0(SALU_CYCLE_1) | instskip(NEXT) | instid1(SALU_CYCLE_1)
	s_or_b32 exec_lo, exec_lo, s14
	s_and_not1_b32 vcc_lo, exec_lo, s46
	s_cbranch_vccnz .LBB6_628
; %bb.272:                              ;   in Loop: Header=BB6_47 Depth=1
	s_mov_b32 s14, 2
	s_branch .LBB6_275
.LBB6_273:                              ;   in Loop: Header=BB6_275 Depth=2
	s_or_b32 exec_lo, exec_lo, s18
.LBB6_274:                              ;   in Loop: Header=BB6_275 Depth=2
	s_delay_alu instid0(SALU_CYCLE_1) | instskip(SKIP_1) | instid1(SALU_CYCLE_1)
	s_or_b32 exec_lo, exec_lo, s15
	s_add_co_i32 s14, s14, 1
	s_cmp_eq_u32 s14, s16
	s_cbranch_scc1 .LBB6_628
.LBB6_275:                              ;   Parent Loop BB6_47 Depth=1
                                        ; =>  This Loop Header: Depth=2
                                        ;       Child Loop BB6_278 Depth 3
                                        ;         Child Loop BB6_286 Depth 4
                                        ;         Child Loop BB6_314 Depth 4
	;; [unrolled: 1-line block ×9, first 2 shown]
                                        ;       Child Loop BB6_556 Depth 3
                                        ;         Child Loop BB6_562 Depth 4
                                        ;         Child Loop BB6_590 Depth 4
	;; [unrolled: 1-line block ×3, first 2 shown]
	s_sub_co_i32 s13, s44, s14
	s_mov_b32 s18, 0
	s_cmp_ge_i32 s13, s16
	v_mov_b32_e32 v42, 0
	s_cselect_b32 s15, s16, 0
	s_delay_alu instid0(SALU_CYCLE_1) | instskip(NEXT) | instid1(SALU_CYCLE_1)
	s_sub_co_i32 s40, s13, s15
	s_ashr_i32 s41, s40, 31
	s_delay_alu instid0(SALU_CYCLE_1) | instskip(NEXT) | instid1(VALU_DEP_1)
	v_mul_u64_e32 v[44:45], s[40:41], v[112:113]
	v_sub_nc_u64_e32 v[8:9], v[116:117], v[44:45]
	s_delay_alu instid0(VALU_DEP_1) | instskip(NEXT) | instid1(VALU_DEP_1)
	v_min_i64 v[8:9], v[112:113], v[8:9]
	v_max_i32_e32 v74, 0, v8
	v_cmp_lt_i32_e32 vcc_lo, 0, v8
	s_delay_alu instid0(VALU_DEP_2) | instskip(SKIP_1) | instid1(VALU_DEP_1)
	v_add_nc_u32_e32 v2, 31, v74
	s_and_b32 s13, s57, vcc_lo
	v_lshrrev_b32_e32 v2, 1, v2
	s_delay_alu instid0(VALU_DEP_1) | instskip(NEXT) | instid1(VALU_DEP_1)
	v_and_b32_e32 v9, 0x3ffffff0, v2
	v_dual_mov_b32 v2, 0 :: v_dual_max_i32 v40, s45, v9
	s_and_saveexec_b32 s15, s13
	s_cbranch_execz .LBB6_553
; %bb.276:                              ;   in Loop: Header=BB6_275 Depth=2
	v_mov_b32_e32 v42, 0
	s_mov_b32 s40, 1
	s_mov_b32 s27, -1
	s_branch .LBB6_278
.LBB6_277:                              ;   in Loop: Header=BB6_278 Depth=3
	s_wait_xcnt 0x0
	s_or_b32 exec_lo, exec_lo, s13
	v_dual_add_nc_u32 v42, v40, v42 :: v_dual_mov_b32 v2, s40
	s_xor_b32 s13, s27, -1
	s_mov_b32 s27, 0
	s_mov_b32 s40, 2
	s_delay_alu instid0(VALU_DEP_1) | instskip(SKIP_1) | instid1(SALU_CYCLE_1)
	v_cmp_ge_i32_e32 vcc_lo, v42, v74
	s_or_b32 s13, s13, vcc_lo
	s_and_b32 s13, exec_lo, s13
	s_delay_alu instid0(SALU_CYCLE_1) | instskip(NEXT) | instid1(SALU_CYCLE_1)
	s_or_b32 s18, s13, s18
	s_and_not1_b32 exec_lo, exec_lo, s18
	s_cbranch_execz .LBB6_552
.LBB6_278:                              ;   Parent Loop BB6_47 Depth=1
                                        ;     Parent Loop BB6_275 Depth=2
                                        ; =>    This Loop Header: Depth=3
                                        ;         Child Loop BB6_286 Depth 4
                                        ;         Child Loop BB6_314 Depth 4
                                        ;         Child Loop BB6_333 Depth 4
                                        ;         Child Loop BB6_360 Depth 4
                                        ;         Child Loop BB6_429 Depth 4
                                        ;         Child Loop BB6_469 Depth 4
                                        ;         Child Loop BB6_506 Depth 4
                                        ;         Child Loop BB6_518 Depth 4
                                        ;         Child Loop BB6_537 Depth 4
	s_and_saveexec_b32 s13, s0
	s_cbranch_execz .LBB6_280
; %bb.279:                              ;   in Loop: Header=BB6_278 Depth=3
	s_trap 2
	ds_load_b64 v[8:9], v0
	v_ashrrev_i32_e32 v43, 31, v42
	s_wait_dscnt 0x0
	v_lshl_add_u64 v[8:9], v[118:119], 1, v[8:9]
	s_delay_alu instid0(VALU_DEP_1) | instskip(NEXT) | instid1(VALU_DEP_1)
	v_lshl_add_u64 v[8:9], v[44:45], 1, v[8:9]
	v_lshl_add_u64 v[8:9], v[42:43], 1, v[8:9]
	ds_store_b64 v0, v[8:9]
	ds_store_b64 v0, v[54:55]
.LBB6_280:                              ;   in Loop: Header=BB6_278 Depth=3
	s_or_b32 exec_lo, exec_lo, s13
	v_sub_nc_u32_e32 v2, v74, v42
	v_and_b32_e32 v8, 12, v30
	s_mov_b32 s41, exec_lo
	s_delay_alu instid0(VALU_DEP_2) | instskip(NEXT) | instid1(VALU_DEP_2)
	v_min_i32_e32 v40, v40, v2
	v_cmpx_ne_u32_e32 0, v8
	s_cbranch_execz .LBB6_306
; %bb.281:                              ;   in Loop: Header=BB6_278 Depth=3
	v_and_b32_e32 v2, 8, v30
	v_add_nc_u64_e32 v[8:9], 2, v[114:115]
	s_mov_b32 s60, exec_lo
	s_wait_loadcnt_dscnt 0x1
	s_delay_alu instid0(VALU_DEP_2) | instskip(NEXT) | instid1(VALU_DEP_1)
	v_add_nc_u64_e32 v[10:11], v[50:51], v[2:3]
	v_cmpx_lt_u64_e64 v[10:11], v[8:9]
	s_cbranch_execz .LBB6_293
; %bb.282:                              ;   in Loop: Header=BB6_278 Depth=3
	v_and_b32_e32 v10, 64, v30
	s_mov_b32 s61, 0
	s_mov_b32 s73, 0
                                        ; implicit-def: $sgpr62
                                        ; implicit-def: $sgpr63
                                        ; implicit-def: $sgpr72
	s_delay_alu instid0(VALU_DEP_1)
	v_cmp_eq_u32_e32 vcc_lo, 0, v10
	s_branch .LBB6_286
.LBB6_283:                              ;   in Loop: Header=BB6_286 Depth=4
	s_wait_loadcnt_dscnt 0x0
	v_add_nc_u64_e32 v[12:13], v[50:51], v[2:3]
	s_or_b32 s76, s76, exec_lo
	s_delay_alu instid0(VALU_DEP_1)
	v_cmp_ge_u64_e64 s13, v[12:13], v[8:9]
	s_or_not1_b32 s75, s13, exec_lo
.LBB6_284:                              ;   in Loop: Header=BB6_286 Depth=4
	s_or_b32 exec_lo, exec_lo, s78
	s_delay_alu instid0(SALU_CYCLE_1)
	s_and_not1_b32 s13, s72, exec_lo
	s_and_b32 s72, s76, exec_lo
	s_and_not1_b32 s63, s63, exec_lo
	s_and_b32 s75, s75, exec_lo
	s_or_b32 s72, s13, s72
	s_or_b32 s63, s63, s75
.LBB6_285:                              ;   in Loop: Header=BB6_286 Depth=4
	s_or_b32 exec_lo, exec_lo, s74
	s_delay_alu instid0(SALU_CYCLE_1) | instskip(NEXT) | instid1(SALU_CYCLE_1)
	s_and_b32 s13, exec_lo, s63
	s_or_b32 s61, s13, s61
	s_and_not1_b32 s13, s62, exec_lo
	s_and_b32 s62, s72, exec_lo
	s_delay_alu instid0(SALU_CYCLE_1)
	s_or_b32 s62, s13, s62
	s_and_not1_b32 exec_lo, exec_lo, s61
	s_cbranch_execz .LBB6_290
.LBB6_286:                              ;   Parent Loop BB6_47 Depth=1
                                        ;     Parent Loop BB6_275 Depth=2
                                        ;       Parent Loop BB6_278 Depth=3
                                        ; =>      This Inner Loop Header: Depth=4
	s_sleep 1
	s_wait_loadcnt_dscnt 0x0
	flat_load_b64 v[50:51], v[32:33] scope:SCOPE_SYS
	s_or_b32 s72, s72, exec_lo
	s_or_b32 s63, s63, exec_lo
                                        ; implicit-def: $vgpr10
	s_wait_xcnt 0x0
	s_and_saveexec_b32 s74, vcc_lo
	s_cbranch_execz .LBB6_285
; %bb.287:                              ;   in Loop: Header=BB6_286 Depth=4
	s_cmp_lt_i32 s73, 0x270f
	s_mov_b32 s75, -1
	s_cselect_b32 s77, -1, 0
	s_cmp_gt_i32 s73, 0x270e
	s_cbranch_scc0 .LBB6_289
; %bb.288:                              ;   in Loop: Header=BB6_286 Depth=4
	s_trap 2
	ds_load_b64 v[10:11], v0
	s_and_not1_b32 s73, s77, exec_lo
	s_mov_b32 s76, 0
	s_wait_storecnt 0x0
	s_wait_loadcnt_dscnt 0x0
	flat_load_b32 v10, v[10:11] scope:SCOPE_SYS
	s_wait_loadcnt_dscnt 0x0
	global_inv scope:SCOPE_SYS
	v_cmp_eq_u32_e64 s13, 0, v10
	s_and_b32 s13, s13, exec_lo
	s_delay_alu instid0(SALU_CYCLE_1)
	s_or_b32 s77, s73, s13
	s_mov_b32 s73, 0
	s_and_saveexec_b32 s78, s77
	s_cbranch_execz .LBB6_284
	s_branch .LBB6_283
.LBB6_289:                              ;   in Loop: Header=BB6_286 Depth=4
	s_add_co_i32 s73, s73, 1
	s_mov_b32 s76, -1
                                        ; implicit-def: $vgpr10
	s_and_saveexec_b32 s78, s77
	s_cbranch_execz .LBB6_284
	s_branch .LBB6_283
.LBB6_290:                              ;   in Loop: Header=BB6_278 Depth=3
	s_or_b32 exec_lo, exec_lo, s61
	s_xor_b32 s13, s62, -1
	s_delay_alu instid0(SALU_CYCLE_1) | instskip(NEXT) | instid1(SALU_CYCLE_1)
	s_and_saveexec_b32 s61, s13
	s_xor_b32 s13, exec_lo, s61
	s_cbranch_execz .LBB6_292
; %bb.291:                              ;   in Loop: Header=BB6_278 Depth=3
	v_or_b32_e32 v30, 64, v30
	s_wait_storecnt 0x0
	s_wait_loadcnt_dscnt 0x0
	ds_store_b32 v0, v10
	s_trap 2
.LBB6_292:                              ;   in Loop: Header=BB6_278 Depth=3
	s_or_b32 exec_lo, exec_lo, s13
.LBB6_293:                              ;   in Loop: Header=BB6_278 Depth=3
	s_delay_alu instid0(SALU_CYCLE_1) | instskip(SKIP_2) | instid1(VALU_DEP_1)
	s_or_b32 exec_lo, exec_lo, s60
	v_and_b32_e32 v10, 0x108, v30
	;;#ASMSTART
	s_wakeup
	;;#ASMEND
	v_cmp_ne_u32_e32 vcc_lo, 0x108, v10
                                        ; implicit-def: $vgpr10_vgpr11
	s_and_saveexec_b32 s13, vcc_lo
	s_delay_alu instid0(SALU_CYCLE_1)
	s_xor_b32 s13, exec_lo, s13
; %bb.294:                              ;   in Loop: Header=BB6_278 Depth=3
	v_dual_mov_b32 v11, v3 :: v_dual_bitop2_b32 v10, 7, v114 bitop3:0x40
                                        ; implicit-def: $vgpr114_vgpr115
; %bb.295:                              ;   in Loop: Header=BB6_278 Depth=3
	s_and_not1_saveexec_b32 s13, s13
	s_cbranch_execz .LBB6_297
; %bb.296:                              ;   in Loop: Header=BB6_278 Depth=3
	v_dual_ashrrev_i32 v41, 31, v40 :: v_dual_bitop2_b32 v10, 7, v114 bitop3:0x40
	v_mov_b32_e32 v11, v3
	s_delay_alu instid0(VALU_DEP_2) | instskip(NEXT) | instid1(VALU_DEP_3)
	v_mad_nc_u64_u32 v[12:13], v10, 24, v[6:7]
	v_lshlrev_b64_e32 v[14:15], 1, v[40:41]
	flat_store_b64 v[12:13], v[14:15] offset:8
.LBB6_297:                              ;   in Loop: Header=BB6_278 Depth=3
	s_wait_xcnt 0x0
	s_or_b32 exec_lo, exec_lo, s13
	v_and_b32_e32 v12, 0x100, v30
	s_mov_b32 s13, -1
	s_delay_alu instid0(VALU_DEP_1)
	v_cmp_ne_u32_e32 vcc_lo, 0, v12
                                        ; implicit-def: $vgpr12_vgpr13
	s_and_saveexec_b32 s60, vcc_lo
	s_cbranch_execz .LBB6_301
; %bb.298:                              ;   in Loop: Header=BB6_278 Depth=3
	v_mad_nc_u64_u32 v[14:15], v10, 24, v[6:7]
	s_delay_alu instid0(VALU_DEP_1)
	v_mad_u32 v15, v11, 24, v15
	flat_load_b32 v12, v[14:15]
	s_wait_loadcnt_dscnt 0x0
	v_cmp_eq_u32_e64 s13, 1, v12
	v_cmp_ne_u32_e32 vcc_lo, 1, v12
                                        ; implicit-def: $vgpr12_vgpr13
	s_wait_xcnt 0x0
	s_and_saveexec_b32 s61, s13
	s_cbranch_execz .LBB6_300
; %bb.299:                              ;   in Loop: Header=BB6_278 Depth=3
	flat_load_b32 v12, v[14:15] offset:4 scope:SCOPE_SYS
	s_wait_loadcnt_dscnt 0x0
	v_ashrrev_i32_e32 v13, 31, v12
	s_delay_alu instid0(VALU_DEP_1)
	v_lshrrev_b64 v[12:13], 1, v[12:13]
.LBB6_300:                              ;   in Loop: Header=BB6_278 Depth=3
	s_wait_xcnt 0x0
	s_or_b32 exec_lo, exec_lo, s61
	s_delay_alu instid0(SALU_CYCLE_1)
	s_or_not1_b32 s13, vcc_lo, exec_lo
.LBB6_301:                              ;   in Loop: Header=BB6_278 Depth=3
	s_or_b32 exec_lo, exec_lo, s60
	s_and_saveexec_b32 s60, s13
; %bb.302:                              ;   in Loop: Header=BB6_278 Depth=3
	v_mul_u64_e32 v[12:13], v[10:11], v[34:35]
; %bb.303:                              ;   in Loop: Header=BB6_278 Depth=3
	s_or_b32 exec_lo, exec_lo, s60
	v_cmp_eq_u32_e32 vcc_lo, 0, v2
	v_and_b32_e32 v14, 0x2000, v30
	s_delay_alu instid0(VALU_DEP_3) | instskip(SKIP_2) | instid1(VALU_DEP_1)
	v_lshl_add_u64 v[10:11], v[12:13], 1, v[36:37]
	s_mov_b32 s13, exec_lo
	v_cndmask_b32_e32 v2, 0xc8, v88, vcc_lo
	v_add_nc_u32_e32 v2, v0, v2
	ds_store_b64 v2, v[10:11] offset:584
	v_cmpx_ne_u32_e32 0, v14
	s_cbranch_execz .LBB6_305
; %bb.304:                              ;   in Loop: Header=BB6_278 Depth=3
	ds_load_b64 v[10:11], v0 offset:872
	s_wait_dscnt 0x0
	v_add_nc_u64_e32 v[10:11], 1, v[10:11]
	ds_store_b64 v0, v[10:11] offset:872
.LBB6_305:                              ;   in Loop: Header=BB6_278 Depth=3
	s_or_b32 exec_lo, exec_lo, s13
	v_mov_b64_e32 v[114:115], v[8:9]
.LBB6_306:                              ;   in Loop: Header=BB6_278 Depth=3
	s_or_b32 exec_lo, exec_lo, s41
	s_and_saveexec_b32 s13, s2
	s_cbranch_execz .LBB6_325
; %bb.307:                              ;   in Loop: Header=BB6_278 Depth=3
	s_and_saveexec_b32 s41, s3
	s_delay_alu instid0(SALU_CYCLE_1)
	s_xor_b32 s41, exec_lo, s41
	s_cbranch_execz .LBB6_322
; %bb.308:                              ;   in Loop: Header=BB6_278 Depth=3
	s_and_saveexec_b32 s60, s6
	s_cbranch_execz .LBB6_321
; %bb.309:                              ;   in Loop: Header=BB6_278 Depth=3
	s_mov_b32 s62, exec_lo
	s_mov_b32 s61, exec_lo
	v_mbcnt_lo_u32_b32 v2, s62, 0
	global_wb scope:SCOPE_DEV
	s_wait_storecnt 0x0
	s_wait_loadcnt_dscnt 0x0
	global_inv scope:SCOPE_DEV
	v_cmpx_eq_u32_e32 0, v2
	s_cbranch_execz .LBB6_311
; %bb.310:                              ;   in Loop: Header=BB6_278 Depth=3
	s_bcnt1_i32_b32 s62, s62
	s_delay_alu instid0(SALU_CYCLE_1)
	v_mov_b32_e32 v2, s62
	s_wait_loadcnt 0x0
	ds_add_u64 v0, v[2:3]
	s_trap 2
.LBB6_311:                              ;   in Loop: Header=BB6_278 Depth=3
	s_or_b32 exec_lo, exec_lo, s61
	s_trap 2
	ds_load_b64 v[8:9], v0
	s_wait_dscnt 0x0
	v_add_nc_u64_e32 v[48:49], v[48:49], v[52:53]
	s_mov_b32 s61, exec_lo
	s_delay_alu instid0(VALU_DEP_1)
	v_cmpx_lt_u64_e64 v[8:9], v[48:49]
	s_cbranch_execz .LBB6_320
; %bb.312:                              ;   in Loop: Header=BB6_278 Depth=3
	s_mov_b32 s62, 0
	s_mov_b32 s73, 0
                                        ; implicit-def: $sgpr63
                                        ; implicit-def: $sgpr72
	s_branch .LBB6_314
.LBB6_313:                              ;   in Loop: Header=BB6_314 Depth=4
	s_or_b32 exec_lo, exec_lo, s75
	s_delay_alu instid0(SALU_CYCLE_1) | instskip(NEXT) | instid1(SALU_CYCLE_1)
	s_and_b32 s74, exec_lo, s76
	s_or_b32 s62, s74, s62
	s_and_not1_b32 s63, s63, exec_lo
	s_and_b32 s74, s72, exec_lo
	s_delay_alu instid0(SALU_CYCLE_1)
	s_or_b32 s63, s63, s74
	s_and_not1_b32 exec_lo, exec_lo, s62
	s_cbranch_execz .LBB6_318
.LBB6_314:                              ;   Parent Loop BB6_47 Depth=1
                                        ;     Parent Loop BB6_275 Depth=2
                                        ;       Parent Loop BB6_278 Depth=3
                                        ; =>      This Inner Loop Header: Depth=4
	s_add_co_i32 s73, s73, 1
	s_delay_alu instid0(SALU_CYCLE_1) | instskip(SKIP_1) | instid1(SALU_CYCLE_1)
	s_cmp_lg_u32 s73, 0x2710
	s_cselect_b32 s74, -1, 0
	s_and_b32 vcc_lo, exec_lo, s74
	s_cbranch_vccz .LBB6_316
; %bb.315:                              ;   in Loop: Header=BB6_314 Depth=4
	s_mov_b32 s76, -1
	s_or_b32 s72, s72, exec_lo
	s_and_saveexec_b32 s75, s74
	s_cbranch_execz .LBB6_313
	s_branch .LBB6_317
.LBB6_316:                              ;   in Loop: Header=BB6_314 Depth=4
	s_trap 2
	ds_load_b64 v[8:9], v0
	s_and_not1_b32 s74, s74, exec_lo
	s_mov_b32 s73, 0
	s_wait_loadcnt_dscnt 0x0
	flat_load_b32 v2, v[8:9] scope:SCOPE_SYS
	s_wait_loadcnt_dscnt 0x0
	global_inv scope:SCOPE_SYS
	v_cmp_eq_u32_e32 vcc_lo, 0, v2
	s_and_b32 s75, vcc_lo, exec_lo
	s_delay_alu instid0(SALU_CYCLE_1)
	s_or_b32 s74, s74, s75
	s_mov_b32 s76, -1
	s_or_b32 s72, s72, exec_lo
	s_and_saveexec_b32 s75, s74
	s_cbranch_execz .LBB6_313
.LBB6_317:                              ;   in Loop: Header=BB6_314 Depth=4
	s_sleep 1
	s_trap 2
	ds_load_b64 v[8:9], v0
	s_wait_dscnt 0x0
	s_and_not1_b32 s72, s72, exec_lo
	v_cmp_ge_u64_e32 vcc_lo, v[8:9], v[48:49]
	s_or_not1_b32 s76, vcc_lo, exec_lo
	s_branch .LBB6_313
.LBB6_318:                              ;   in Loop: Header=BB6_278 Depth=3
	s_or_b32 exec_lo, exec_lo, s62
	s_and_saveexec_b32 s62, s63
	s_delay_alu instid0(SALU_CYCLE_1)
	s_xor_b32 s62, exec_lo, s62
	s_cbranch_execz .LBB6_320
; %bb.319:                              ;   in Loop: Header=BB6_278 Depth=3
	ds_store_b32 v0, v79
	s_trap 2
.LBB6_320:                              ;   in Loop: Header=BB6_278 Depth=3
	s_or_b32 exec_lo, exec_lo, s61
	;;#ASMSTART
	s_wakeup
	;;#ASMEND
.LBB6_321:                              ;   in Loop: Header=BB6_278 Depth=3
	s_or_b32 exec_lo, exec_lo, s60
.LBB6_322:                              ;   in Loop: Header=BB6_278 Depth=3
	s_and_not1_saveexec_b32 s41, s41
	s_cbranch_execz .LBB6_324
; %bb.323:                              ;   in Loop: Header=BB6_278 Depth=3
	global_wb scope:SCOPE_DEV
	s_wait_storecnt 0x0
	s_wait_loadcnt_dscnt 0x0
	global_inv scope:SCOPE_DEV
	s_barrier_signal -1
	s_barrier_wait -1
.LBB6_324:                              ;   in Loop: Header=BB6_278 Depth=3
	s_or_b32 exec_lo, exec_lo, s41
.LBB6_325:                              ;   in Loop: Header=BB6_278 Depth=3
	s_delay_alu instid0(SALU_CYCLE_1) | instskip(SKIP_4) | instid1(VALU_DEP_1)
	s_or_b32 exec_lo, exec_lo, s13
	s_trap 2
	ds_load_b32 v8, v0
	v_and_b32_e32 v2, 0x4000, v30
	s_xor_b32 s13, s1, -1
	v_cmp_ne_u32_e32 vcc_lo, 0, v2
	s_and_b32 s41, s13, vcc_lo
	s_delay_alu instid0(SALU_CYCLE_1)
	s_and_saveexec_b32 s13, s41
	s_cbranch_execz .LBB6_344
; %bb.326:                              ;   in Loop: Header=BB6_278 Depth=3
	s_and_saveexec_b32 s41, s3
	s_delay_alu instid0(SALU_CYCLE_1)
	s_xor_b32 s41, exec_lo, s41
	s_cbranch_execz .LBB6_341
; %bb.327:                              ;   in Loop: Header=BB6_278 Depth=3
	s_and_saveexec_b32 s60, s6
	s_cbranch_execz .LBB6_340
; %bb.328:                              ;   in Loop: Header=BB6_278 Depth=3
	s_mov_b32 s62, exec_lo
	s_mov_b32 s61, exec_lo
	v_mbcnt_lo_u32_b32 v2, s62, 0
	global_wb scope:SCOPE_DEV
	s_wait_storecnt 0x0
	s_wait_loadcnt_dscnt 0x0
	global_inv scope:SCOPE_DEV
	v_cmpx_eq_u32_e32 0, v2
	s_cbranch_execz .LBB6_330
; %bb.329:                              ;   in Loop: Header=BB6_278 Depth=3
	s_bcnt1_i32_b32 s62, s62
	s_delay_alu instid0(SALU_CYCLE_1)
	v_mov_b32_e32 v2, s62
	s_wait_loadcnt 0x0
	ds_add_u64 v0, v[2:3]
	s_trap 2
.LBB6_330:                              ;   in Loop: Header=BB6_278 Depth=3
	s_or_b32 exec_lo, exec_lo, s61
	s_trap 2
	ds_load_b64 v[10:11], v0
	s_wait_dscnt 0x0
	v_add_nc_u64_e32 v[48:49], v[48:49], v[52:53]
	s_mov_b32 s61, exec_lo
	s_delay_alu instid0(VALU_DEP_1)
	v_cmpx_lt_u64_e64 v[10:11], v[48:49]
	s_cbranch_execz .LBB6_339
; %bb.331:                              ;   in Loop: Header=BB6_278 Depth=3
	s_mov_b32 s62, 0
	s_mov_b32 s73, 0
                                        ; implicit-def: $sgpr63
                                        ; implicit-def: $sgpr72
	s_branch .LBB6_333
.LBB6_332:                              ;   in Loop: Header=BB6_333 Depth=4
	s_or_b32 exec_lo, exec_lo, s75
	s_delay_alu instid0(SALU_CYCLE_1) | instskip(NEXT) | instid1(SALU_CYCLE_1)
	s_and_b32 s74, exec_lo, s76
	s_or_b32 s62, s74, s62
	s_and_not1_b32 s63, s63, exec_lo
	s_and_b32 s74, s72, exec_lo
	s_delay_alu instid0(SALU_CYCLE_1)
	s_or_b32 s63, s63, s74
	s_and_not1_b32 exec_lo, exec_lo, s62
	s_cbranch_execz .LBB6_337
.LBB6_333:                              ;   Parent Loop BB6_47 Depth=1
                                        ;     Parent Loop BB6_275 Depth=2
                                        ;       Parent Loop BB6_278 Depth=3
                                        ; =>      This Inner Loop Header: Depth=4
	s_add_co_i32 s73, s73, 1
	s_delay_alu instid0(SALU_CYCLE_1) | instskip(SKIP_1) | instid1(SALU_CYCLE_1)
	s_cmp_lg_u32 s73, 0x2710
	s_cselect_b32 s74, -1, 0
	s_and_b32 vcc_lo, exec_lo, s74
	s_cbranch_vccz .LBB6_335
; %bb.334:                              ;   in Loop: Header=BB6_333 Depth=4
	s_mov_b32 s76, -1
	s_or_b32 s72, s72, exec_lo
	s_and_saveexec_b32 s75, s74
	s_cbranch_execz .LBB6_332
	s_branch .LBB6_336
.LBB6_335:                              ;   in Loop: Header=BB6_333 Depth=4
	s_trap 2
	ds_load_b64 v[10:11], v0
	s_and_not1_b32 s74, s74, exec_lo
	s_mov_b32 s73, 0
	s_wait_loadcnt_dscnt 0x0
	flat_load_b32 v2, v[10:11] scope:SCOPE_SYS
	s_wait_loadcnt_dscnt 0x0
	global_inv scope:SCOPE_SYS
	v_cmp_eq_u32_e32 vcc_lo, 0, v2
	s_and_b32 s75, vcc_lo, exec_lo
	s_delay_alu instid0(SALU_CYCLE_1)
	s_or_b32 s74, s74, s75
	s_mov_b32 s76, -1
	s_or_b32 s72, s72, exec_lo
	s_and_saveexec_b32 s75, s74
	s_cbranch_execz .LBB6_332
.LBB6_336:                              ;   in Loop: Header=BB6_333 Depth=4
	s_sleep 1
	s_trap 2
	ds_load_b64 v[10:11], v0
	s_wait_dscnt 0x0
	s_and_not1_b32 s72, s72, exec_lo
	v_cmp_ge_u64_e32 vcc_lo, v[10:11], v[48:49]
	s_or_not1_b32 s76, vcc_lo, exec_lo
	s_branch .LBB6_332
.LBB6_337:                              ;   in Loop: Header=BB6_278 Depth=3
	s_or_b32 exec_lo, exec_lo, s62
	s_and_saveexec_b32 s62, s63
	s_delay_alu instid0(SALU_CYCLE_1)
	s_xor_b32 s62, exec_lo, s62
	s_cbranch_execz .LBB6_339
; %bb.338:                              ;   in Loop: Header=BB6_278 Depth=3
	ds_store_b32 v0, v79
	s_trap 2
.LBB6_339:                              ;   in Loop: Header=BB6_278 Depth=3
	s_or_b32 exec_lo, exec_lo, s61
	;;#ASMSTART
	s_wakeup
	;;#ASMEND
.LBB6_340:                              ;   in Loop: Header=BB6_278 Depth=3
	s_or_b32 exec_lo, exec_lo, s60
.LBB6_341:                              ;   in Loop: Header=BB6_278 Depth=3
	s_and_not1_saveexec_b32 s41, s41
	s_cbranch_execz .LBB6_343
; %bb.342:                              ;   in Loop: Header=BB6_278 Depth=3
	global_wb scope:SCOPE_DEV
	s_wait_storecnt 0x0
	s_wait_loadcnt_dscnt 0x0
	global_inv scope:SCOPE_DEV
	s_barrier_signal -1
	s_barrier_wait -1
.LBB6_343:                              ;   in Loop: Header=BB6_278 Depth=3
	s_or_b32 exec_lo, exec_lo, s41
.LBB6_344:                              ;   in Loop: Header=BB6_278 Depth=3
	s_delay_alu instid0(SALU_CYCLE_1)
	s_or_b32 exec_lo, exec_lo, s13
	s_trap 2
	ds_load_b64 v[46:47], v0
	s_wait_dscnt 0x0
	v_cmp_eq_u64_e32 vcc_lo, 0, v[46:47]
	s_cbranch_vccnz .LBB6_352
; %bb.345:                              ;   in Loop: Header=BB6_278 Depth=3
	s_trap 2
	ds_load_b64 v[56:57], v0
	s_wait_dscnt 0x0
	v_cmp_eq_u64_e32 vcc_lo, 0, v[56:57]
	s_cbranch_vccnz .LBB6_352
; %bb.346:                              ;   in Loop: Header=BB6_278 Depth=3
	s_mov_b32 s13, -1
	s_and_saveexec_b32 s41, s12
	s_cbranch_execz .LBB6_348
; %bb.347:                              ;   in Loop: Header=BB6_278 Depth=3
	ds_load_b32 v2, v0 offset:720
	s_wait_dscnt 0x0
	v_and_b32_e32 v2, 15, v2
	s_delay_alu instid0(VALU_DEP_1)
	v_cmp_eq_u32_e32 vcc_lo, 0, v2
	s_or_not1_b32 s13, vcc_lo, exec_lo
.LBB6_348:                              ;   in Loop: Header=BB6_278 Depth=3
	s_or_b32 exec_lo, exec_lo, s41
	s_and_saveexec_b32 s41, s11
	s_cbranch_execz .LBB6_350
; %bb.349:                              ;   in Loop: Header=BB6_278 Depth=3
	ds_load_b32 v2, v0 offset:784
	s_wait_dscnt 0x0
	v_and_b32_e32 v2, 15, v2
	s_delay_alu instid0(VALU_DEP_1) | instskip(SKIP_3) | instid1(SALU_CYCLE_1)
	v_cmp_eq_u32_e32 vcc_lo, 0, v2
	s_and_b32 s60, s13, vcc_lo
	s_and_not1_b32 s13, s13, exec_lo
	s_and_b32 s60, s60, exec_lo
	s_or_b32 s13, s13, s60
.LBB6_350:                              ;   in Loop: Header=BB6_278 Depth=3
	s_or_b32 exec_lo, exec_lo, s41
	v_cmp_eq_u32_e32 vcc_lo, 0, v8
	s_xor_b32 s13, s13, -1
	s_mov_b32 s60, -1
	v_cndmask_b32_e64 v9, 0, 1, s13
	v_dual_mov_b32 v14, 0 :: v_dual_cndmask_b32 v2, 0, v40, vcc_lo
	s_delay_alu instid0(VALU_DEP_2) | instskip(NEXT) | instid1(VALU_DEP_2)
	v_cmp_ne_u32_e32 vcc_lo, 0, v9
	v_lshlrev_b32_e32 v41, 1, v2
	s_cbranch_vccz .LBB6_357
; %bb.351:                              ;   in Loop: Header=BB6_278 Depth=3
	v_dual_mov_b32 v15, v0 :: v_dual_mov_b32 v8, v90
	s_and_saveexec_b32 s13, s60
	s_cbranch_execnz .LBB6_466
	s_branch .LBB6_510
.LBB6_352:                              ;   in Loop: Header=BB6_278 Depth=3
	s_mov_b32 s13, 0
	s_and_saveexec_b32 s41, s2
	s_cbranch_execnz .LBB6_511
.LBB6_353:                              ;   in Loop: Header=BB6_278 Depth=3
	s_or_b32 exec_lo, exec_lo, s41
                                        ; implicit-def: $vgpr2
	s_and_saveexec_b32 s41, s10
	s_delay_alu instid0(SALU_CYCLE_1)
	s_xor_b32 s41, exec_lo, s41
	s_cbranch_execz .LBB6_529
.LBB6_354:                              ;   in Loop: Header=BB6_278 Depth=3
	v_and_b32_e32 v2, 16, v30
	s_delay_alu instid0(VALU_DEP_1) | instskip(SKIP_2) | instid1(SALU_CYCLE_1)
	v_cmp_ne_u32_e32 vcc_lo, 0, v2
	v_and_b32_e32 v2, 16, v30
	s_and_b32 s60, vcc_lo, s13
	s_and_saveexec_b32 s13, s60
	s_cbranch_execz .LBB6_356
; %bb.355:                              ;   in Loop: Header=BB6_278 Depth=3
	v_mov_b32_e32 v2, 1
	global_wb scope:SCOPE_SYS
	s_wait_storecnt 0x0
	s_wait_loadcnt_dscnt 0x0
	global_inv scope:SCOPE_SYS
.LBB6_356:                              ;   in Loop: Header=BB6_278 Depth=3
	s_or_b32 exec_lo, exec_lo, s13
	s_and_not1_saveexec_b32 s13, s41
	s_cbranch_execz .LBB6_548
	s_branch .LBB6_530
.LBB6_357:                              ;   in Loop: Header=BB6_278 Depth=3
	s_delay_alu instid0(VALU_DEP_1) | instskip(SKIP_1) | instid1(VALU_DEP_1)
	v_ashrrev_i32_e32 v8, 31, v41
	s_mov_b32 s13, exec_lo
	v_lshrrev_b32_e32 v8, 22, v8
	s_delay_alu instid0(VALU_DEP_1) | instskip(NEXT) | instid1(VALU_DEP_1)
	v_add_nc_u32_e32 v8, v41, v8
	v_ashrrev_i32_e32 v75, 10, v8
	s_delay_alu instid0(VALU_DEP_1) | instskip(NEXT) | instid1(VALU_DEP_1)
	v_sub_nc_u32_e32 v43, v75, v90
	v_cmpx_lt_i32_e32 0, v43
	s_cbranch_execz .LBB6_425
; %bb.358:                              ;   in Loop: Header=BB6_278 Depth=3
	s_trap 2
	ds_load_b64 v[8:9], v0
	v_add_nc_u64_e32 v[58:59], v[46:47], v[102:103]
	v_add_nc_u64_e32 v[62:63], v[56:57], v[102:103]
	s_mov_b32 s41, 0
	s_wait_dscnt 0x0
	v_add_nc_u64_e32 v[60:61], v[8:9], v[102:103]
	s_branch .LBB6_360
.LBB6_359:                              ;   in Loop: Header=BB6_360 Depth=4
	s_or_b32 exec_lo, exec_lo, s60
	v_dual_lshrrev_b32 v8, 16, v72 :: v_dual_lshrrev_b32 v15, 16, v73
	v_lshrrev_b32_e32 v9, 16, v76
	v_sub_nc_u32_e32 v43, v43, v52
	v_add_nc_u64_e32 v[58:59], v[58:59], v[82:83]
	s_delay_alu instid0(VALU_DEP_4)
	v_and_or_b32 v93, 0xffff0000, v21, v8
	v_lshrrev_b32_e32 v8, 16, v22
	v_and_or_b32 v92, 0xffff0000, v20, v9
	v_and_or_b32 v94, 0xffff0000, v18, v15
	v_dual_lshrrev_b32 v9, 16, v16 :: v_dual_lshrrev_b32 v15, 16, v23
	v_dual_lshrrev_b32 v16, 16, v17 :: v_dual_lshrrev_b32 v14, 16, v14
	v_and_or_b32 v95, 0xffff0000, v19, v8
	s_delay_alu instid0(VALU_DEP_3) | instskip(NEXT) | instid1(VALU_DEP_4)
	v_and_or_b32 v9, 0xffff0000, v13, v9
	v_and_or_b32 v8, 0xffff0000, v12, v15
	s_delay_alu instid0(VALU_DEP_4)
	v_and_or_b32 v10, 0xffff0000, v10, v16
	v_and_or_b32 v11, 0xffff0000, v11, v14
	s_clause 0x1
	global_store_b128 v[62:63], v[92:95], off th:TH_STORE_NT
	global_store_b128 v[62:63], v[8:11], off offset:512 th:TH_STORE_NT
	v_add_nc_u64_e32 v[60:61], v[60:61], v[82:83]
	v_cmp_gt_i32_e32 vcc_lo, 1, v43
	s_wait_xcnt 0x0
	v_add_nc_u64_e32 v[62:63], v[62:63], v[82:83]
	s_or_b32 s41, vcc_lo, s41
	s_delay_alu instid0(SALU_CYCLE_1)
	s_and_not1_b32 exec_lo, exec_lo, s41
	s_cbranch_execz .LBB6_424
.LBB6_360:                              ;   Parent Loop BB6_47 Depth=1
                                        ;     Parent Loop BB6_275 Depth=2
                                        ;       Parent Loop BB6_278 Depth=3
                                        ; =>      This Inner Loop Header: Depth=4
	global_load_b128 v[16:19], v[58:59], off th:TH_LOAD_NT
	global_load_b128 v[20:23], v[60:61], off th:TH_LOAD_NT
	global_load_b128 v[8:11], v[58:59], off offset:512 th:TH_LOAD_NT
	global_load_b128 v[12:15], v[60:61], off offset:512 th:TH_LOAD_NT
	s_mov_b32 s60, exec_lo
                                        ; implicit-def: $vgpr76
	s_wait_loadcnt 0x3
	v_lshlrev_b32_e32 v72, 16, v16
	s_wait_loadcnt 0x2
	v_lshlrev_b32_e32 v73, 16, v20
	s_delay_alu instid0(VALU_DEP_1) | instskip(NEXT) | instid1(VALU_DEP_1)
	v_mul_f32_e32 v72, v72, v73
	v_and_b32_e32 v73, 0x7f800000, v72
	s_wait_xcnt 0x0
	s_delay_alu instid0(VALU_DEP_1)
	v_cmpx_ne_u32_e32 0x7f800000, v73
	s_xor_b32 s60, exec_lo, s60
; %bb.361:                              ;   in Loop: Header=BB6_360 Depth=4
	v_bfe_u32 v73, v72, 16, 1
	s_delay_alu instid0(VALU_DEP_1)
	v_add3_u32 v76, v72, v73, 0x7fff
                                        ; implicit-def: $vgpr72
; %bb.362:                              ;   in Loop: Header=BB6_360 Depth=4
	s_and_not1_saveexec_b32 s60, s60
; %bb.363:                              ;   in Loop: Header=BB6_360 Depth=4
	v_and_b32_e32 v73, 0xffff, v72
	v_or_b32_e32 v76, 0x10000, v72
	s_delay_alu instid0(VALU_DEP_2) | instskip(NEXT) | instid1(VALU_DEP_2)
	v_cmp_eq_u32_e32 vcc_lo, 0, v73
	v_cndmask_b32_e32 v76, v76, v72, vcc_lo
; %bb.364:                              ;   in Loop: Header=BB6_360 Depth=4
	s_or_b32 exec_lo, exec_lo, s60
	v_and_b32_e32 v73, 0xffff0000, v20
	v_and_b32_e32 v72, 0xffff0000, v16
	s_mov_b32 s60, exec_lo
                                        ; implicit-def: $vgpr20
	s_delay_alu instid0(VALU_DEP_2) | instskip(NEXT) | instid1(VALU_DEP_1)
	v_mov_b32_e32 v16, v73
	v_pk_mul_f32 v[72:73], v[16:17], v[72:73]
	s_delay_alu instid0(VALU_DEP_1) | instskip(NEXT) | instid1(VALU_DEP_1)
	v_and_b32_e32 v16, 0x7f800000, v72
	v_cmpx_ne_u32_e32 0x7f800000, v16
	s_xor_b32 s60, exec_lo, s60
; %bb.365:                              ;   in Loop: Header=BB6_360 Depth=4
	v_bfe_u32 v16, v72, 16, 1
	s_delay_alu instid0(VALU_DEP_1)
	v_add3_u32 v20, v72, v16, 0x7fff
                                        ; implicit-def: $vgpr72_vgpr73
; %bb.366:                              ;   in Loop: Header=BB6_360 Depth=4
	s_and_not1_saveexec_b32 s60, s60
; %bb.367:                              ;   in Loop: Header=BB6_360 Depth=4
	v_and_b32_e32 v16, 0xffff, v72
	v_or_b32_e32 v20, 0x10000, v72
	s_delay_alu instid0(VALU_DEP_2) | instskip(NEXT) | instid1(VALU_DEP_2)
	v_cmp_eq_u32_e32 vcc_lo, 0, v16
	v_cndmask_b32_e32 v20, v20, v72, vcc_lo
; %bb.368:                              ;   in Loop: Header=BB6_360 Depth=4
	s_or_b32 exec_lo, exec_lo, s60
	v_lshlrev_b32_e32 v16, 16, v17
	v_lshlrev_b32_e32 v72, 16, v21
	s_delay_alu instid0(VALU_DEP_1) | instskip(NEXT) | instid1(VALU_DEP_1)
	v_mul_f32_e32 v16, v72, v16
	v_and_b32_e32 v72, 0x7f800000, v16
	s_delay_alu instid0(VALU_DEP_1) | instskip(SKIP_1) | instid1(SALU_CYCLE_1)
	v_cmp_ne_u32_e32 vcc_lo, 0x7f800000, v72
                                        ; implicit-def: $vgpr72
	s_and_saveexec_b32 s60, vcc_lo
	s_xor_b32 s60, exec_lo, s60
; %bb.369:                              ;   in Loop: Header=BB6_360 Depth=4
	v_bfe_u32 v72, v16, 16, 1
	s_delay_alu instid0(VALU_DEP_1)
	v_add3_u32 v72, v16, v72, 0x7fff
                                        ; implicit-def: $vgpr16
; %bb.370:                              ;   in Loop: Header=BB6_360 Depth=4
	s_and_not1_saveexec_b32 s60, s60
; %bb.371:                              ;   in Loop: Header=BB6_360 Depth=4
	v_and_b32_e32 v72, 0xffff, v16
	v_or_b32_e32 v73, 0x10000, v16
	s_delay_alu instid0(VALU_DEP_2) | instskip(NEXT) | instid1(VALU_DEP_2)
	v_cmp_eq_u32_e32 vcc_lo, 0, v72
	v_cndmask_b32_e32 v72, v73, v16, vcc_lo
; %bb.372:                              ;   in Loop: Header=BB6_360 Depth=4
	s_or_b32 exec_lo, exec_lo, s60
	v_and_b32_e32 v93, 0xffff0000, v21
	v_and_b32_e32 v92, 0xffff0000, v17
	s_mov_b32 s60, exec_lo
                                        ; implicit-def: $vgpr21
	s_delay_alu instid0(VALU_DEP_2) | instskip(NEXT) | instid1(VALU_DEP_1)
	v_mov_b32_e32 v16, v93
	v_pk_mul_f32 v[16:17], v[16:17], v[92:93]
	s_delay_alu instid0(VALU_DEP_1) | instskip(NEXT) | instid1(VALU_DEP_1)
	v_and_b32_e32 v17, 0x7f800000, v16
	v_cmpx_ne_u32_e32 0x7f800000, v17
	s_xor_b32 s60, exec_lo, s60
; %bb.373:                              ;   in Loop: Header=BB6_360 Depth=4
	v_bfe_u32 v17, v16, 16, 1
	s_delay_alu instid0(VALU_DEP_1)
	v_add3_u32 v21, v16, v17, 0x7fff
                                        ; implicit-def: $vgpr16_vgpr17
; %bb.374:                              ;   in Loop: Header=BB6_360 Depth=4
	s_and_not1_saveexec_b32 s60, s60
; %bb.375:                              ;   in Loop: Header=BB6_360 Depth=4
	v_and_b32_e32 v17, 0xffff, v16
	v_or_b32_e32 v21, 0x10000, v16
	s_delay_alu instid0(VALU_DEP_2) | instskip(NEXT) | instid1(VALU_DEP_2)
	v_cmp_eq_u32_e32 vcc_lo, 0, v17
	v_cndmask_b32_e32 v21, v21, v16, vcc_lo
; %bb.376:                              ;   in Loop: Header=BB6_360 Depth=4
	s_or_b32 exec_lo, exec_lo, s60
	v_lshlrev_b32_e32 v16, 16, v18
	v_lshlrev_b32_e32 v17, 16, v22
	s_mov_b32 s60, exec_lo
                                        ; implicit-def: $vgpr73
	s_delay_alu instid0(VALU_DEP_1) | instskip(NEXT) | instid1(VALU_DEP_1)
	v_mul_f32_e32 v16, v17, v16
	v_and_b32_e32 v17, 0x7f800000, v16
	s_delay_alu instid0(VALU_DEP_1)
	v_cmpx_ne_u32_e32 0x7f800000, v17
	s_xor_b32 s60, exec_lo, s60
; %bb.377:                              ;   in Loop: Header=BB6_360 Depth=4
	v_bfe_u32 v17, v16, 16, 1
	s_delay_alu instid0(VALU_DEP_1)
	v_add3_u32 v73, v16, v17, 0x7fff
                                        ; implicit-def: $vgpr16
; %bb.378:                              ;   in Loop: Header=BB6_360 Depth=4
	s_and_not1_saveexec_b32 s60, s60
; %bb.379:                              ;   in Loop: Header=BB6_360 Depth=4
	v_and_b32_e32 v17, 0xffff, v16
	v_or_b32_e32 v73, 0x10000, v16
	s_delay_alu instid0(VALU_DEP_2) | instskip(NEXT) | instid1(VALU_DEP_2)
	v_cmp_eq_u32_e32 vcc_lo, 0, v17
	v_cndmask_b32_e32 v73, v73, v16, vcc_lo
; %bb.380:                              ;   in Loop: Header=BB6_360 Depth=4
	s_or_b32 exec_lo, exec_lo, s60
	v_and_b32_e32 v17, 0xffff0000, v22
	v_and_b32_e32 v16, 0xffff0000, v18
	s_mov_b32 s60, exec_lo
	s_delay_alu instid0(VALU_DEP_2) | instskip(NEXT) | instid1(VALU_DEP_1)
	v_mov_b32_e32 v18, v17
	v_pk_mul_f32 v[16:17], v[18:19], v[16:17]
                                        ; implicit-def: $vgpr18
	s_delay_alu instid0(VALU_DEP_1) | instskip(NEXT) | instid1(VALU_DEP_1)
	v_and_b32_e32 v17, 0x7f800000, v16
	v_cmpx_ne_u32_e32 0x7f800000, v17
	s_xor_b32 s60, exec_lo, s60
; %bb.381:                              ;   in Loop: Header=BB6_360 Depth=4
	v_bfe_u32 v17, v16, 16, 1
	s_delay_alu instid0(VALU_DEP_1)
	v_add3_u32 v18, v16, v17, 0x7fff
                                        ; implicit-def: $vgpr16_vgpr17
; %bb.382:                              ;   in Loop: Header=BB6_360 Depth=4
	s_and_not1_saveexec_b32 s60, s60
; %bb.383:                              ;   in Loop: Header=BB6_360 Depth=4
	v_and_b32_e32 v17, 0xffff, v16
	v_or_b32_e32 v18, 0x10000, v16
	s_delay_alu instid0(VALU_DEP_2) | instskip(NEXT) | instid1(VALU_DEP_2)
	v_cmp_eq_u32_e32 vcc_lo, 0, v17
	v_cndmask_b32_e32 v18, v18, v16, vcc_lo
; %bb.384:                              ;   in Loop: Header=BB6_360 Depth=4
	s_or_b32 exec_lo, exec_lo, s60
	v_lshlrev_b32_e32 v16, 16, v19
	v_lshlrev_b32_e32 v17, 16, v23
	s_mov_b32 s60, exec_lo
                                        ; implicit-def: $vgpr22
	s_delay_alu instid0(VALU_DEP_1) | instskip(NEXT) | instid1(VALU_DEP_1)
	v_mul_f32_e32 v16, v17, v16
	v_and_b32_e32 v17, 0x7f800000, v16
	s_delay_alu instid0(VALU_DEP_1)
	v_cmpx_ne_u32_e32 0x7f800000, v17
	s_xor_b32 s60, exec_lo, s60
; %bb.385:                              ;   in Loop: Header=BB6_360 Depth=4
	v_bfe_u32 v17, v16, 16, 1
	s_delay_alu instid0(VALU_DEP_1)
	v_add3_u32 v22, v16, v17, 0x7fff
                                        ; implicit-def: $vgpr16
; %bb.386:                              ;   in Loop: Header=BB6_360 Depth=4
	s_and_not1_saveexec_b32 s60, s60
; %bb.387:                              ;   in Loop: Header=BB6_360 Depth=4
	v_and_b32_e32 v17, 0xffff, v16
	v_or_b32_e32 v22, 0x10000, v16
	s_delay_alu instid0(VALU_DEP_2) | instskip(NEXT) | instid1(VALU_DEP_2)
	v_cmp_eq_u32_e32 vcc_lo, 0, v17
	v_cndmask_b32_e32 v22, v22, v16, vcc_lo
; %bb.388:                              ;   in Loop: Header=BB6_360 Depth=4
	s_or_b32 exec_lo, exec_lo, s60
	v_and_b32_e32 v17, 0xffff0000, v23
	v_and_b32_e32 v16, 0xffff0000, v19
	s_mov_b32 s60, exec_lo
                                        ; implicit-def: $vgpr19
	s_delay_alu instid0(VALU_DEP_2) | instskip(NEXT) | instid1(VALU_DEP_1)
	v_mov_b32_e32 v92, v17
	v_pk_mul_f32 v[16:17], v[92:93], v[16:17]
	s_delay_alu instid0(VALU_DEP_1) | instskip(NEXT) | instid1(VALU_DEP_1)
	v_and_b32_e32 v17, 0x7f800000, v16
	v_cmpx_ne_u32_e32 0x7f800000, v17
	s_xor_b32 s60, exec_lo, s60
; %bb.389:                              ;   in Loop: Header=BB6_360 Depth=4
	v_bfe_u32 v17, v16, 16, 1
	s_delay_alu instid0(VALU_DEP_1)
	v_add3_u32 v19, v16, v17, 0x7fff
                                        ; implicit-def: $vgpr16_vgpr17
; %bb.390:                              ;   in Loop: Header=BB6_360 Depth=4
	s_and_not1_saveexec_b32 s60, s60
; %bb.391:                              ;   in Loop: Header=BB6_360 Depth=4
	v_and_b32_e32 v17, 0xffff, v16
	v_or_b32_e32 v19, 0x10000, v16
	s_delay_alu instid0(VALU_DEP_2) | instskip(NEXT) | instid1(VALU_DEP_2)
	v_cmp_eq_u32_e32 vcc_lo, 0, v17
	v_cndmask_b32_e32 v19, v19, v16, vcc_lo
; %bb.392:                              ;   in Loop: Header=BB6_360 Depth=4
	s_or_b32 exec_lo, exec_lo, s60
	s_wait_loadcnt 0x1
	v_lshlrev_b32_e32 v16, 16, v8
	s_wait_loadcnt 0x0
	v_lshlrev_b32_e32 v17, 16, v12
	s_mov_b32 s60, exec_lo
                                        ; implicit-def: $vgpr23
	s_delay_alu instid0(VALU_DEP_1) | instskip(NEXT) | instid1(VALU_DEP_1)
	v_mul_f32_e32 v16, v17, v16
	v_and_b32_e32 v17, 0x7f800000, v16
	s_delay_alu instid0(VALU_DEP_1)
	v_cmpx_ne_u32_e32 0x7f800000, v17
	s_xor_b32 s60, exec_lo, s60
; %bb.393:                              ;   in Loop: Header=BB6_360 Depth=4
	v_bfe_u32 v17, v16, 16, 1
	s_delay_alu instid0(VALU_DEP_1)
	v_add3_u32 v23, v16, v17, 0x7fff
                                        ; implicit-def: $vgpr16
; %bb.394:                              ;   in Loop: Header=BB6_360 Depth=4
	s_and_not1_saveexec_b32 s60, s60
; %bb.395:                              ;   in Loop: Header=BB6_360 Depth=4
	v_and_b32_e32 v17, 0xffff, v16
	v_or_b32_e32 v23, 0x10000, v16
	s_delay_alu instid0(VALU_DEP_2) | instskip(NEXT) | instid1(VALU_DEP_2)
	v_cmp_eq_u32_e32 vcc_lo, 0, v17
	v_cndmask_b32_e32 v23, v23, v16, vcc_lo
; %bb.396:                              ;   in Loop: Header=BB6_360 Depth=4
	s_or_b32 exec_lo, exec_lo, s60
	v_and_b32_e32 v17, 0xffff0000, v12
	v_and_b32_e32 v16, 0xffff0000, v8
	s_mov_b32 s60, exec_lo
                                        ; implicit-def: $vgpr12
	s_delay_alu instid0(VALU_DEP_2) | instskip(NEXT) | instid1(VALU_DEP_1)
	v_mov_b32_e32 v8, v17
	v_pk_mul_f32 v[16:17], v[8:9], v[16:17]
	s_delay_alu instid0(VALU_DEP_1) | instskip(NEXT) | instid1(VALU_DEP_1)
	v_and_b32_e32 v8, 0x7f800000, v16
	v_cmpx_ne_u32_e32 0x7f800000, v8
	s_xor_b32 s60, exec_lo, s60
; %bb.397:                              ;   in Loop: Header=BB6_360 Depth=4
	v_bfe_u32 v8, v16, 16, 1
	s_delay_alu instid0(VALU_DEP_1)
	v_add3_u32 v12, v16, v8, 0x7fff
                                        ; implicit-def: $vgpr16_vgpr17
; %bb.398:                              ;   in Loop: Header=BB6_360 Depth=4
	s_and_not1_saveexec_b32 s60, s60
; %bb.399:                              ;   in Loop: Header=BB6_360 Depth=4
	v_and_b32_e32 v8, 0xffff, v16
	v_or_b32_e32 v12, 0x10000, v16
	s_delay_alu instid0(VALU_DEP_2) | instskip(NEXT) | instid1(VALU_DEP_2)
	v_cmp_eq_u32_e32 vcc_lo, 0, v8
	v_cndmask_b32_e32 v12, v12, v16, vcc_lo
; %bb.400:                              ;   in Loop: Header=BB6_360 Depth=4
	s_or_b32 exec_lo, exec_lo, s60
	v_lshlrev_b32_e32 v8, 16, v9
	v_lshlrev_b32_e32 v16, 16, v13
	s_delay_alu instid0(VALU_DEP_1) | instskip(NEXT) | instid1(VALU_DEP_1)
	v_mul_f32_e32 v8, v16, v8
	v_and_b32_e32 v16, 0x7f800000, v8
	s_delay_alu instid0(VALU_DEP_1) | instskip(SKIP_1) | instid1(SALU_CYCLE_1)
	v_cmp_ne_u32_e32 vcc_lo, 0x7f800000, v16
                                        ; implicit-def: $vgpr16
	s_and_saveexec_b32 s60, vcc_lo
	s_xor_b32 s60, exec_lo, s60
; %bb.401:                              ;   in Loop: Header=BB6_360 Depth=4
	v_bfe_u32 v16, v8, 16, 1
	s_delay_alu instid0(VALU_DEP_1)
	v_add3_u32 v16, v8, v16, 0x7fff
                                        ; implicit-def: $vgpr8
; %bb.402:                              ;   in Loop: Header=BB6_360 Depth=4
	s_and_not1_saveexec_b32 s60, s60
; %bb.403:                              ;   in Loop: Header=BB6_360 Depth=4
	v_and_b32_e32 v16, 0xffff, v8
	v_or_b32_e32 v17, 0x10000, v8
	s_delay_alu instid0(VALU_DEP_2) | instskip(NEXT) | instid1(VALU_DEP_2)
	v_cmp_eq_u32_e32 vcc_lo, 0, v16
	v_cndmask_b32_e32 v16, v17, v8, vcc_lo
; %bb.404:                              ;   in Loop: Header=BB6_360 Depth=4
	s_or_b32 exec_lo, exec_lo, s60
	v_and_b32_e32 v93, 0xffff0000, v13
	v_and_b32_e32 v92, 0xffff0000, v9
	s_mov_b32 s60, exec_lo
                                        ; implicit-def: $vgpr13
	s_delay_alu instid0(VALU_DEP_2) | instskip(NEXT) | instid1(VALU_DEP_1)
	v_mov_b32_e32 v8, v93
	v_pk_mul_f32 v[8:9], v[8:9], v[92:93]
	s_delay_alu instid0(VALU_DEP_1) | instskip(NEXT) | instid1(VALU_DEP_1)
	v_and_b32_e32 v9, 0x7f800000, v8
	v_cmpx_ne_u32_e32 0x7f800000, v9
	s_xor_b32 s60, exec_lo, s60
; %bb.405:                              ;   in Loop: Header=BB6_360 Depth=4
	v_bfe_u32 v9, v8, 16, 1
	s_delay_alu instid0(VALU_DEP_1)
	v_add3_u32 v13, v8, v9, 0x7fff
                                        ; implicit-def: $vgpr8_vgpr9
; %bb.406:                              ;   in Loop: Header=BB6_360 Depth=4
	s_and_not1_saveexec_b32 s60, s60
; %bb.407:                              ;   in Loop: Header=BB6_360 Depth=4
	v_and_b32_e32 v9, 0xffff, v8
	v_or_b32_e32 v13, 0x10000, v8
	s_delay_alu instid0(VALU_DEP_2) | instskip(NEXT) | instid1(VALU_DEP_2)
	v_cmp_eq_u32_e32 vcc_lo, 0, v9
	v_cndmask_b32_e32 v13, v13, v8, vcc_lo
; %bb.408:                              ;   in Loop: Header=BB6_360 Depth=4
	s_or_b32 exec_lo, exec_lo, s60
	v_lshlrev_b32_e32 v8, 16, v10
	v_lshlrev_b32_e32 v9, 16, v14
	s_mov_b32 s60, exec_lo
                                        ; implicit-def: $vgpr17
	s_delay_alu instid0(VALU_DEP_1) | instskip(NEXT) | instid1(VALU_DEP_1)
	v_mul_f32_e32 v8, v9, v8
	v_and_b32_e32 v9, 0x7f800000, v8
	s_delay_alu instid0(VALU_DEP_1)
	v_cmpx_ne_u32_e32 0x7f800000, v9
	s_xor_b32 s60, exec_lo, s60
; %bb.409:                              ;   in Loop: Header=BB6_360 Depth=4
	v_bfe_u32 v9, v8, 16, 1
	s_delay_alu instid0(VALU_DEP_1)
	v_add3_u32 v17, v8, v9, 0x7fff
                                        ; implicit-def: $vgpr8
; %bb.410:                              ;   in Loop: Header=BB6_360 Depth=4
	s_and_not1_saveexec_b32 s60, s60
; %bb.411:                              ;   in Loop: Header=BB6_360 Depth=4
	v_and_b32_e32 v9, 0xffff, v8
	v_or_b32_e32 v17, 0x10000, v8
	s_delay_alu instid0(VALU_DEP_2) | instskip(NEXT) | instid1(VALU_DEP_2)
	v_cmp_eq_u32_e32 vcc_lo, 0, v9
	v_cndmask_b32_e32 v17, v17, v8, vcc_lo
; %bb.412:                              ;   in Loop: Header=BB6_360 Depth=4
	s_or_b32 exec_lo, exec_lo, s60
	v_and_b32_e32 v9, 0xffff0000, v14
	v_and_b32_e32 v8, 0xffff0000, v10
	s_mov_b32 s60, exec_lo
	s_delay_alu instid0(VALU_DEP_2) | instskip(NEXT) | instid1(VALU_DEP_1)
	v_mov_b32_e32 v10, v9
	v_pk_mul_f32 v[8:9], v[10:11], v[8:9]
                                        ; implicit-def: $vgpr10
	s_delay_alu instid0(VALU_DEP_1) | instskip(NEXT) | instid1(VALU_DEP_1)
	v_and_b32_e32 v9, 0x7f800000, v8
	v_cmpx_ne_u32_e32 0x7f800000, v9
	s_xor_b32 s60, exec_lo, s60
; %bb.413:                              ;   in Loop: Header=BB6_360 Depth=4
	v_bfe_u32 v9, v8, 16, 1
	s_delay_alu instid0(VALU_DEP_1)
	v_add3_u32 v10, v8, v9, 0x7fff
                                        ; implicit-def: $vgpr8_vgpr9
; %bb.414:                              ;   in Loop: Header=BB6_360 Depth=4
	s_and_not1_saveexec_b32 s60, s60
; %bb.415:                              ;   in Loop: Header=BB6_360 Depth=4
	v_and_b32_e32 v9, 0xffff, v8
	v_or_b32_e32 v10, 0x10000, v8
	s_delay_alu instid0(VALU_DEP_2) | instskip(NEXT) | instid1(VALU_DEP_2)
	v_cmp_eq_u32_e32 vcc_lo, 0, v9
	v_cndmask_b32_e32 v10, v10, v8, vcc_lo
; %bb.416:                              ;   in Loop: Header=BB6_360 Depth=4
	s_or_b32 exec_lo, exec_lo, s60
	v_lshlrev_b32_e32 v8, 16, v11
	v_lshlrev_b32_e32 v9, 16, v15
	s_mov_b32 s60, exec_lo
                                        ; implicit-def: $vgpr14
	s_delay_alu instid0(VALU_DEP_1) | instskip(NEXT) | instid1(VALU_DEP_1)
	v_mul_f32_e32 v8, v9, v8
	v_and_b32_e32 v9, 0x7f800000, v8
	s_delay_alu instid0(VALU_DEP_1)
	v_cmpx_ne_u32_e32 0x7f800000, v9
	s_xor_b32 s60, exec_lo, s60
; %bb.417:                              ;   in Loop: Header=BB6_360 Depth=4
	v_bfe_u32 v9, v8, 16, 1
	s_delay_alu instid0(VALU_DEP_1)
	v_add3_u32 v14, v8, v9, 0x7fff
                                        ; implicit-def: $vgpr8
; %bb.418:                              ;   in Loop: Header=BB6_360 Depth=4
	s_and_not1_saveexec_b32 s60, s60
; %bb.419:                              ;   in Loop: Header=BB6_360 Depth=4
	v_and_b32_e32 v9, 0xffff, v8
	v_or_b32_e32 v14, 0x10000, v8
	s_delay_alu instid0(VALU_DEP_2) | instskip(NEXT) | instid1(VALU_DEP_2)
	v_cmp_eq_u32_e32 vcc_lo, 0, v9
	v_cndmask_b32_e32 v14, v14, v8, vcc_lo
; %bb.420:                              ;   in Loop: Header=BB6_360 Depth=4
	s_or_b32 exec_lo, exec_lo, s60
	v_and_b32_e32 v9, 0xffff0000, v15
	v_and_b32_e32 v8, 0xffff0000, v11
	s_mov_b32 s60, exec_lo
                                        ; implicit-def: $vgpr11
	s_delay_alu instid0(VALU_DEP_2) | instskip(NEXT) | instid1(VALU_DEP_1)
	v_mov_b32_e32 v92, v9
	v_pk_mul_f32 v[8:9], v[92:93], v[8:9]
	s_delay_alu instid0(VALU_DEP_1) | instskip(NEXT) | instid1(VALU_DEP_1)
	v_and_b32_e32 v9, 0x7f800000, v8
	v_cmpx_ne_u32_e32 0x7f800000, v9
	s_xor_b32 s60, exec_lo, s60
; %bb.421:                              ;   in Loop: Header=BB6_360 Depth=4
	v_bfe_u32 v9, v8, 16, 1
	s_delay_alu instid0(VALU_DEP_1)
	v_add3_u32 v11, v8, v9, 0x7fff
                                        ; implicit-def: $vgpr8_vgpr9
; %bb.422:                              ;   in Loop: Header=BB6_360 Depth=4
	s_and_not1_saveexec_b32 s60, s60
	s_cbranch_execz .LBB6_359
; %bb.423:                              ;   in Loop: Header=BB6_360 Depth=4
	v_and_b32_e32 v9, 0xffff, v8
	v_or_b32_e32 v11, 0x10000, v8
	s_delay_alu instid0(VALU_DEP_2) | instskip(NEXT) | instid1(VALU_DEP_2)
	v_cmp_eq_u32_e32 vcc_lo, 0, v9
	v_cndmask_b32_e32 v11, v11, v8, vcc_lo
	s_branch .LBB6_359
.LBB6_424:                              ;   in Loop: Header=BB6_278 Depth=3
	s_or_b32 exec_lo, exec_lo, s41
.LBB6_425:                              ;   in Loop: Header=BB6_278 Depth=3
	s_delay_alu instid0(SALU_CYCLE_1) | instskip(SKIP_3) | instid1(VALU_DEP_1)
	s_or_b32 exec_lo, exec_lo, s13
	v_dual_lshlrev_b32 v22, 10, v75 :: v_dual_mov_b32 v14, 0
	s_mov_b32 s60, 0
	s_mov_b32 s41, exec_lo
                                        ; implicit-def: $vgpr15
                                        ; implicit-def: $vgpr8
	v_cmpx_ne_u32_e64 v41, v22
	s_cbranch_execz .LBB6_465
; %bb.426:                              ;   in Loop: Header=BB6_278 Depth=3
	v_dual_lshlrev_b32 v8, 5, v43 :: v_dual_sub_nc_u32 v10, v41, v22
	s_mov_b32 s60, exec_lo
	s_delay_alu instid0(VALU_DEP_1) | instskip(NEXT) | instid1(VALU_DEP_1)
	v_dual_sub_nc_u32 v8, v91, v8 :: v_dual_ashrrev_i32 v11, 31, v10
	v_dual_ashrrev_i32 v9, 31, v8 :: v_dual_lshrrev_b32 v11, 23, v11
	s_delay_alu instid0(VALU_DEP_1) | instskip(NEXT) | instid1(VALU_DEP_1)
	v_lshrrev_b32_e32 v9, 27, v9
	v_add_nc_u32_e32 v9, v8, v9
	s_delay_alu instid0(VALU_DEP_1) | instskip(NEXT) | instid1(VALU_DEP_1)
	v_and_b32_e32 v12, 0xffffffe0, v9
	v_dual_add_nc_u32 v11, v10, v11 :: v_dual_sub_nc_u32 v43, v8, v12
	s_delay_alu instid0(VALU_DEP_1) | instskip(SKIP_1) | instid1(VALU_DEP_3)
	v_and_b32_e32 v23, 0xfffffe00, v11
	v_dual_ashrrev_i32 v9, 5, v9 :: v_dual_ashrrev_i32 v11, 9, v11
	v_lshlrev_b32_e32 v8, 4, v43
	s_delay_alu instid0(VALU_DEP_1) | instskip(NEXT) | instid1(VALU_DEP_1)
	v_lshl_add_u32 v8, v9, 9, v8
	v_dual_sub_nc_u32 v58, v10, v23 :: v_dual_sub_nc_u32 v60, v10, v8
	s_delay_alu instid0(VALU_DEP_1) | instskip(SKIP_1) | instid1(VALU_DEP_1)
	v_cmp_lt_i32_e32 vcc_lo, 15, v58
	v_add_co_ci_u32_e64 v11, null, 0, v11, vcc_lo
	v_sub_nc_u32_e32 v59, v11, v9
	s_delay_alu instid0(VALU_DEP_4)
	v_cmpx_lt_i32_e32 15, v60
	s_cbranch_execz .LBB6_462
; %bb.427:                              ;   in Loop: Header=BB6_278 Depth=3
	s_trap 2
	ds_load_b64 v[10:11], v0
	v_add_nc_u32_e32 v8, v8, v22
	s_mov_b32 s61, 0
	s_delay_alu instid0(VALU_DEP_1) | instskip(NEXT) | instid1(VALU_DEP_1)
	v_ashrrev_i32_e32 v9, 31, v8
	v_add_nc_u64_e32 v[16:17], v[8:9], v[46:47]
	v_add_nc_u64_e32 v[20:21], v[8:9], v[56:57]
	s_wait_dscnt 0x0
	v_add_nc_u64_e32 v[18:19], v[10:11], v[8:9]
	s_branch .LBB6_429
.LBB6_428:                              ;   in Loop: Header=BB6_429 Depth=4
	s_or_b32 exec_lo, exec_lo, s62
	v_dual_lshrrev_b32 v12, 16, v12 :: v_dual_lshrrev_b32 v15, 16, v61
	v_dual_lshrrev_b32 v13, 16, v13 :: v_dual_lshrrev_b32 v14, 16, v14
	v_dual_sub_nc_u32 v60, v60, v70 :: v_dual_sub_nc_u32 v59, v59, v52
	s_delay_alu instid0(VALU_DEP_3) | instskip(NEXT) | instid1(VALU_DEP_4)
	v_and_or_b32 v9, 0xffff0000, v9, v12
	v_and_or_b32 v8, 0xffff0000, v8, v15
	s_delay_alu instid0(VALU_DEP_4)
	v_and_or_b32 v10, 0xffff0000, v10, v13
	v_and_or_b32 v11, 0xffff0000, v11, v14
	v_add_nc_u64_e32 v[16:17], v[16:17], v[70:71]
	v_add_nc_u64_e32 v[18:19], v[18:19], v[70:71]
	v_cmp_gt_i32_e64 s13, 16, v60
	global_store_b128 v[20:21], v[8:11], off th:TH_STORE_NT
	s_wait_xcnt 0x0
	v_add_nc_u64_e32 v[20:21], v[20:21], v[70:71]
	s_or_b32 s61, s13, s61
	s_delay_alu instid0(SALU_CYCLE_1)
	s_and_not1_b32 exec_lo, exec_lo, s61
	s_cbranch_execz .LBB6_461
.LBB6_429:                              ;   Parent Loop BB6_47 Depth=1
                                        ;     Parent Loop BB6_275 Depth=2
                                        ;       Parent Loop BB6_278 Depth=3
                                        ; =>      This Inner Loop Header: Depth=4
	global_load_b128 v[8:11], v[18:19], off th:TH_LOAD_NT
	global_load_b128 v[12:15], v[16:17], off th:TH_LOAD_NT
	s_wait_loadcnt 0x1
	v_lshlrev_b32_e32 v61, 16, v8
	s_wait_loadcnt 0x0
	v_lshlrev_b32_e32 v62, 16, v12
	s_delay_alu instid0(VALU_DEP_1) | instskip(NEXT) | instid1(VALU_DEP_1)
	v_mul_f32_e32 v62, v62, v61
	v_and_b32_e32 v61, 0x7f800000, v62
	s_delay_alu instid0(VALU_DEP_1) | instskip(SKIP_2) | instid1(SALU_CYCLE_1)
	v_cmp_ne_u32_e64 s13, 0x7f800000, v61
                                        ; implicit-def: $vgpr61
	s_wait_xcnt 0x0
	s_and_saveexec_b32 s62, s13
	s_xor_b32 s13, exec_lo, s62
; %bb.430:                              ;   in Loop: Header=BB6_429 Depth=4
	v_bfe_u32 v61, v62, 16, 1
	s_delay_alu instid0(VALU_DEP_1)
	v_add3_u32 v61, v62, v61, 0x7fff
                                        ; implicit-def: $vgpr62
; %bb.431:                              ;   in Loop: Header=BB6_429 Depth=4
	s_and_not1_saveexec_b32 s62, s13
; %bb.432:                              ;   in Loop: Header=BB6_429 Depth=4
	v_and_b32_e32 v61, 0xffff, v62
	v_or_b32_e32 v63, 0x10000, v62
	s_delay_alu instid0(VALU_DEP_2) | instskip(NEXT) | instid1(VALU_DEP_1)
	v_cmp_eq_u32_e64 s13, 0, v61
	v_cndmask_b32_e64 v61, v63, v62, s13
; %bb.433:                              ;   in Loop: Header=BB6_429 Depth=4
	s_or_b32 exec_lo, exec_lo, s62
	v_and_b32_e32 v8, 0xffff0000, v8
	v_and_b32_e32 v12, 0xffff0000, v12
	s_delay_alu instid0(VALU_DEP_1) | instskip(NEXT) | instid1(VALU_DEP_1)
	v_mul_f32_e32 v12, v12, v8
	v_and_b32_e32 v8, 0x7f800000, v12
	s_delay_alu instid0(VALU_DEP_1) | instskip(SKIP_1) | instid1(SALU_CYCLE_1)
	v_cmp_ne_u32_e64 s13, 0x7f800000, v8
                                        ; implicit-def: $vgpr8
	s_and_saveexec_b32 s62, s13
	s_xor_b32 s13, exec_lo, s62
; %bb.434:                              ;   in Loop: Header=BB6_429 Depth=4
	v_bfe_u32 v8, v12, 16, 1
	s_delay_alu instid0(VALU_DEP_1)
	v_add3_u32 v8, v12, v8, 0x7fff
                                        ; implicit-def: $vgpr12
; %bb.435:                              ;   in Loop: Header=BB6_429 Depth=4
	s_and_not1_saveexec_b32 s62, s13
; %bb.436:                              ;   in Loop: Header=BB6_429 Depth=4
	v_and_b32_e32 v8, 0xffff, v12
	v_or_b32_e32 v62, 0x10000, v12
	s_delay_alu instid0(VALU_DEP_2) | instskip(NEXT) | instid1(VALU_DEP_1)
	v_cmp_eq_u32_e64 s13, 0, v8
	v_cndmask_b32_e64 v8, v62, v12, s13
; %bb.437:                              ;   in Loop: Header=BB6_429 Depth=4
	s_or_b32 exec_lo, exec_lo, s62
	v_lshlrev_b32_e32 v12, 16, v9
	v_lshlrev_b32_e32 v62, 16, v13
	s_delay_alu instid0(VALU_DEP_1) | instskip(NEXT) | instid1(VALU_DEP_1)
	v_mul_f32_e32 v62, v62, v12
	v_and_b32_e32 v12, 0x7f800000, v62
	s_delay_alu instid0(VALU_DEP_1) | instskip(SKIP_1) | instid1(SALU_CYCLE_1)
	v_cmp_ne_u32_e64 s13, 0x7f800000, v12
                                        ; implicit-def: $vgpr12
	s_and_saveexec_b32 s62, s13
	s_xor_b32 s13, exec_lo, s62
; %bb.438:                              ;   in Loop: Header=BB6_429 Depth=4
	v_bfe_u32 v12, v62, 16, 1
	s_delay_alu instid0(VALU_DEP_1)
	v_add3_u32 v12, v62, v12, 0x7fff
                                        ; implicit-def: $vgpr62
; %bb.439:                              ;   in Loop: Header=BB6_429 Depth=4
	s_and_not1_saveexec_b32 s62, s13
; %bb.440:                              ;   in Loop: Header=BB6_429 Depth=4
	v_and_b32_e32 v12, 0xffff, v62
	v_or_b32_e32 v63, 0x10000, v62
	s_delay_alu instid0(VALU_DEP_2) | instskip(NEXT) | instid1(VALU_DEP_1)
	v_cmp_eq_u32_e64 s13, 0, v12
	v_cndmask_b32_e64 v12, v63, v62, s13
; %bb.441:                              ;   in Loop: Header=BB6_429 Depth=4
	s_or_b32 exec_lo, exec_lo, s62
	v_and_b32_e32 v13, 0xffff0000, v13
	v_and_b32_e32 v9, 0xffff0000, v9
	s_delay_alu instid0(VALU_DEP_1) | instskip(NEXT) | instid1(VALU_DEP_1)
	v_mul_f32_e32 v13, v13, v9
	v_and_b32_e32 v9, 0x7f800000, v13
	s_delay_alu instid0(VALU_DEP_1) | instskip(SKIP_1) | instid1(SALU_CYCLE_1)
	v_cmp_ne_u32_e64 s13, 0x7f800000, v9
                                        ; implicit-def: $vgpr9
	s_and_saveexec_b32 s62, s13
	s_xor_b32 s13, exec_lo, s62
; %bb.442:                              ;   in Loop: Header=BB6_429 Depth=4
	v_bfe_u32 v9, v13, 16, 1
	s_delay_alu instid0(VALU_DEP_1)
	v_add3_u32 v9, v13, v9, 0x7fff
                                        ; implicit-def: $vgpr13
; %bb.443:                              ;   in Loop: Header=BB6_429 Depth=4
	s_and_not1_saveexec_b32 s62, s13
; %bb.444:                              ;   in Loop: Header=BB6_429 Depth=4
	v_and_b32_e32 v9, 0xffff, v13
	v_or_b32_e32 v62, 0x10000, v13
	s_delay_alu instid0(VALU_DEP_2) | instskip(NEXT) | instid1(VALU_DEP_1)
	v_cmp_eq_u32_e64 s13, 0, v9
	v_cndmask_b32_e64 v9, v62, v13, s13
; %bb.445:                              ;   in Loop: Header=BB6_429 Depth=4
	s_or_b32 exec_lo, exec_lo, s62
	v_lshlrev_b32_e32 v13, 16, v10
	v_lshlrev_b32_e32 v62, 16, v14
	s_delay_alu instid0(VALU_DEP_1) | instskip(NEXT) | instid1(VALU_DEP_1)
	v_mul_f32_e32 v62, v62, v13
	v_and_b32_e32 v13, 0x7f800000, v62
	s_delay_alu instid0(VALU_DEP_1) | instskip(SKIP_1) | instid1(SALU_CYCLE_1)
	v_cmp_ne_u32_e64 s13, 0x7f800000, v13
                                        ; implicit-def: $vgpr13
	s_and_saveexec_b32 s62, s13
	s_xor_b32 s13, exec_lo, s62
; %bb.446:                              ;   in Loop: Header=BB6_429 Depth=4
	v_bfe_u32 v13, v62, 16, 1
	s_delay_alu instid0(VALU_DEP_1)
	v_add3_u32 v13, v62, v13, 0x7fff
                                        ; implicit-def: $vgpr62
; %bb.447:                              ;   in Loop: Header=BB6_429 Depth=4
	s_and_not1_saveexec_b32 s62, s13
; %bb.448:                              ;   in Loop: Header=BB6_429 Depth=4
	v_and_b32_e32 v13, 0xffff, v62
	v_or_b32_e32 v63, 0x10000, v62
	s_delay_alu instid0(VALU_DEP_2) | instskip(NEXT) | instid1(VALU_DEP_1)
	v_cmp_eq_u32_e64 s13, 0, v13
	v_cndmask_b32_e64 v13, v63, v62, s13
; %bb.449:                              ;   in Loop: Header=BB6_429 Depth=4
	s_or_b32 exec_lo, exec_lo, s62
	v_and_b32_e32 v14, 0xffff0000, v14
	v_and_b32_e32 v10, 0xffff0000, v10
	s_delay_alu instid0(VALU_DEP_1) | instskip(NEXT) | instid1(VALU_DEP_1)
	v_mul_f32_e32 v14, v14, v10
	v_and_b32_e32 v10, 0x7f800000, v14
	s_delay_alu instid0(VALU_DEP_1) | instskip(SKIP_1) | instid1(SALU_CYCLE_1)
	v_cmp_ne_u32_e64 s13, 0x7f800000, v10
                                        ; implicit-def: $vgpr10
	s_and_saveexec_b32 s62, s13
	s_xor_b32 s13, exec_lo, s62
; %bb.450:                              ;   in Loop: Header=BB6_429 Depth=4
	v_bfe_u32 v10, v14, 16, 1
	s_delay_alu instid0(VALU_DEP_1)
	v_add3_u32 v10, v14, v10, 0x7fff
                                        ; implicit-def: $vgpr14
; %bb.451:                              ;   in Loop: Header=BB6_429 Depth=4
	s_and_not1_saveexec_b32 s62, s13
; %bb.452:                              ;   in Loop: Header=BB6_429 Depth=4
	v_and_b32_e32 v10, 0xffff, v14
	v_or_b32_e32 v62, 0x10000, v14
	s_delay_alu instid0(VALU_DEP_2) | instskip(NEXT) | instid1(VALU_DEP_1)
	v_cmp_eq_u32_e64 s13, 0, v10
	v_cndmask_b32_e64 v10, v62, v14, s13
; %bb.453:                              ;   in Loop: Header=BB6_429 Depth=4
	s_or_b32 exec_lo, exec_lo, s62
	v_lshlrev_b32_e32 v14, 16, v11
	v_lshlrev_b32_e32 v62, 16, v15
	s_delay_alu instid0(VALU_DEP_1) | instskip(NEXT) | instid1(VALU_DEP_1)
	v_mul_f32_e32 v62, v62, v14
	v_and_b32_e32 v14, 0x7f800000, v62
	s_delay_alu instid0(VALU_DEP_1) | instskip(SKIP_1) | instid1(SALU_CYCLE_1)
	v_cmp_ne_u32_e64 s13, 0x7f800000, v14
                                        ; implicit-def: $vgpr14
	s_and_saveexec_b32 s62, s13
	s_xor_b32 s13, exec_lo, s62
; %bb.454:                              ;   in Loop: Header=BB6_429 Depth=4
	v_bfe_u32 v14, v62, 16, 1
	s_delay_alu instid0(VALU_DEP_1)
	v_add3_u32 v14, v62, v14, 0x7fff
                                        ; implicit-def: $vgpr62
; %bb.455:                              ;   in Loop: Header=BB6_429 Depth=4
	s_and_not1_saveexec_b32 s62, s13
; %bb.456:                              ;   in Loop: Header=BB6_429 Depth=4
	v_and_b32_e32 v14, 0xffff, v62
	v_or_b32_e32 v63, 0x10000, v62
	s_delay_alu instid0(VALU_DEP_2) | instskip(NEXT) | instid1(VALU_DEP_1)
	v_cmp_eq_u32_e64 s13, 0, v14
	v_cndmask_b32_e64 v14, v63, v62, s13
; %bb.457:                              ;   in Loop: Header=BB6_429 Depth=4
	s_or_b32 exec_lo, exec_lo, s62
	v_and_b32_e32 v15, 0xffff0000, v15
	v_and_b32_e32 v11, 0xffff0000, v11
	s_delay_alu instid0(VALU_DEP_1) | instskip(NEXT) | instid1(VALU_DEP_1)
	v_mul_f32_e32 v15, v15, v11
	v_and_b32_e32 v11, 0x7f800000, v15
	s_delay_alu instid0(VALU_DEP_1) | instskip(SKIP_1) | instid1(SALU_CYCLE_1)
	v_cmp_ne_u32_e64 s13, 0x7f800000, v11
                                        ; implicit-def: $vgpr11
	s_and_saveexec_b32 s62, s13
	s_xor_b32 s13, exec_lo, s62
; %bb.458:                              ;   in Loop: Header=BB6_429 Depth=4
	v_bfe_u32 v11, v15, 16, 1
	s_delay_alu instid0(VALU_DEP_1)
	v_add3_u32 v11, v15, v11, 0x7fff
                                        ; implicit-def: $vgpr15
; %bb.459:                              ;   in Loop: Header=BB6_429 Depth=4
	s_and_not1_saveexec_b32 s62, s13
	s_cbranch_execz .LBB6_428
; %bb.460:                              ;   in Loop: Header=BB6_429 Depth=4
	v_and_b32_e32 v11, 0xffff, v15
	v_or_b32_e32 v62, 0x10000, v15
	s_delay_alu instid0(VALU_DEP_2) | instskip(NEXT) | instid1(VALU_DEP_1)
	v_cmp_eq_u32_e64 s13, 0, v11
	v_cndmask_b32_e64 v11, v62, v15, s13
	s_branch .LBB6_428
.LBB6_461:                              ;   in Loop: Header=BB6_278 Depth=3
	s_or_b32 exec_lo, exec_lo, s61
.LBB6_462:                              ;   in Loop: Header=BB6_278 Depth=3
	s_delay_alu instid0(SALU_CYCLE_1) | instskip(SKIP_3) | instid1(VALU_DEP_1)
	s_or_b32 exec_lo, exec_lo, s60
	v_dual_mov_b32 v14, 0 :: v_dual_bitop2_b32 v9, 14, v41 bitop3:0x40
	s_mov_b32 s60, 0
	s_mov_b32 s61, exec_lo
                                        ; implicit-def: $vgpr15
                                        ; implicit-def: $vgpr8
	v_cndmask_b32_e32 v41, v58, v9, vcc_lo
	s_delay_alu instid0(VALU_DEP_1)
	v_cmpx_ne_u32_e32 0, v41
	s_cbranch_execz .LBB6_464
; %bb.463:                              ;   in Loop: Header=BB6_278 Depth=3
	v_cmp_lt_i32_e64 s13, 0, v59
	s_mov_b32 s60, exec_lo
	v_dual_sub_nc_u32 v9, v58, v9 :: v_dual_cndmask_b32 v8, 0, v52, s13
	s_delay_alu instid0(VALU_DEP_1) | instskip(NEXT) | instid1(VALU_DEP_1)
	v_dual_cndmask_b32 v9, 0, v9 :: v_dual_sub_nc_u32 v8, v8, v59
	v_add3_u32 v14, v23, v22, v9
	s_delay_alu instid0(VALU_DEP_2) | instskip(NEXT) | instid1(VALU_DEP_1)
	v_lshl_add_u32 v15, v8, 5, v43
	v_ashrrev_i32_e32 v8, 31, v15
	s_delay_alu instid0(VALU_DEP_1) | instskip(NEXT) | instid1(VALU_DEP_1)
	v_lshrrev_b32_e32 v8, 27, v8
	v_add_nc_u32_e32 v8, v15, v8
	s_delay_alu instid0(VALU_DEP_1)
	v_ashrrev_i32_e32 v8, 5, v8
.LBB6_464:                              ;   in Loop: Header=BB6_278 Depth=3
	s_or_b32 exec_lo, exec_lo, s61
	s_delay_alu instid0(SALU_CYCLE_1)
	s_and_b32 s60, s60, exec_lo
.LBB6_465:                              ;   in Loop: Header=BB6_278 Depth=3
	s_or_b32 exec_lo, exec_lo, s41
	s_and_saveexec_b32 s13, s60
	s_cbranch_execz .LBB6_510
.LBB6_466:                              ;   in Loop: Header=BB6_278 Depth=3
	v_ashrrev_i32_e32 v9, 31, v41
	s_mov_b32 s41, exec_lo
	s_delay_alu instid0(VALU_DEP_1) | instskip(NEXT) | instid1(VALU_DEP_1)
	v_lshrrev_b32_e32 v9, 23, v9
	v_add_nc_u32_e32 v9, v41, v9
	s_delay_alu instid0(VALU_DEP_1) | instskip(NEXT) | instid1(VALU_DEP_1)
	v_dual_ashrrev_i32 v18, 9, v9 :: v_dual_ashrrev_i32 v9, 31, v15
	v_dual_sub_nc_u32 v16, v18, v8 :: v_dual_lshrrev_b32 v17, 27, v9
	s_delay_alu instid0(VALU_DEP_1)
	v_cmpx_lt_i32_e32 0, v16
	s_cbranch_execz .LBB6_502
; %bb.467:                              ;   in Loop: Header=BB6_278 Depth=3
	s_delay_alu instid0(VALU_DEP_2)
	v_dual_add_nc_u32 v9, v15, v17 :: v_dual_lshlrev_b32 v8, 9, v8
	s_trap 2
	ds_load_b64 v[10:11], v0
	v_add_nc_u64_e32 v[20:21], 0x1c0, v[56:57]
	v_and_b32_e32 v9, 0x7fffffe0, v9
	s_mov_b32 s60, 0
	s_delay_alu instid0(VALU_DEP_1) | instskip(NEXT) | instid1(VALU_DEP_1)
	v_sub_nc_u32_e32 v9, v15, v9
	v_lshlrev_b32_e32 v9, 1, v9
	s_delay_alu instid0(VALU_DEP_1) | instskip(NEXT) | instid1(VALU_DEP_1)
	v_add3_u32 v12, v9, v14, v8
	v_ashrrev_i32_e32 v13, 31, v12
	s_delay_alu instid0(VALU_DEP_1)
	v_add_nc_u64_e32 v[8:9], v[12:13], v[46:47]
	s_wait_dscnt 0x0
	v_add_nc_u64_e32 v[10:11], v[10:11], v[12:13]
	v_add_nc_u64_e32 v[12:13], v[20:21], v[12:13]
	s_branch .LBB6_469
.LBB6_468:                              ;   in Loop: Header=BB6_469 Depth=4
	s_or_b32 exec_lo, exec_lo, s61
	v_sub_nc_u32_e32 v16, v16, v52
	s_clause 0x7
	flat_store_d16_hi_b16 v[12:13], v19 offset:-448 th:TH_STORE_NT
	flat_store_d16_hi_b16 v[12:13], v22 offset:-384 th:TH_STORE_NT
	;; [unrolled: 1-line block ×7, first 2 shown]
	flat_store_d16_hi_b16 v[12:13], v20 th:TH_STORE_NT
	v_add_nc_u64_e32 v[8:9], v[8:9], v[70:71]
	v_add_nc_u64_e32 v[10:11], v[10:11], v[70:71]
	s_wait_xcnt 0x0
	v_add_nc_u64_e32 v[12:13], v[12:13], v[70:71]
	v_cmp_gt_i32_e32 vcc_lo, 1, v16
	s_or_b32 s60, vcc_lo, s60
	s_delay_alu instid0(SALU_CYCLE_1)
	s_and_not1_b32 exec_lo, exec_lo, s60
	s_cbranch_execz .LBB6_501
.LBB6_469:                              ;   Parent Loop BB6_47 Depth=1
                                        ;     Parent Loop BB6_275 Depth=2
                                        ;       Parent Loop BB6_278 Depth=3
                                        ; =>      This Inner Loop Header: Depth=4
	s_clause 0x6
	flat_load_u16 v58, v[8:9] offset:128 th:TH_LOAD_NT
	flat_load_u16 v61, v[8:9] offset:192 th:TH_LOAD_NT
	;; [unrolled: 1-line block ×6, first 2 shown]
	flat_load_u16 v19, v[8:9] th:TH_LOAD_NT
	s_clause 0x6
	flat_load_u16 v73, v[10:11] offset:128 th:TH_LOAD_NT
	flat_load_u16 v72, v[10:11] offset:192 th:TH_LOAD_NT
	;; [unrolled: 1-line block ×6, first 2 shown]
	flat_load_u16 v76, v[10:11] th:TH_LOAD_NT
	flat_load_u16 v22, v[8:9] offset:64 th:TH_LOAD_NT
	flat_load_u16 v75, v[10:11] offset:64 th:TH_LOAD_NT
	s_wait_loadcnt_dscnt 0x202
	v_dual_lshlrev_b32 v19, 16, v19 :: v_dual_lshlrev_b32 v76, 16, v76
	s_delay_alu instid0(VALU_DEP_1) | instskip(NEXT) | instid1(VALU_DEP_1)
	v_mul_f32_e32 v76, v76, v19
	v_and_b32_e32 v19, 0x7f800000, v76
	s_delay_alu instid0(VALU_DEP_1) | instskip(SKIP_2) | instid1(SALU_CYCLE_1)
	v_cmp_ne_u32_e32 vcc_lo, 0x7f800000, v19
                                        ; implicit-def: $vgpr19
	s_wait_xcnt 0x0
	s_and_saveexec_b32 s61, vcc_lo
	s_xor_b32 s61, exec_lo, s61
; %bb.470:                              ;   in Loop: Header=BB6_469 Depth=4
	v_bfe_u32 v19, v76, 16, 1
	s_delay_alu instid0(VALU_DEP_1)
	v_add3_u32 v19, v76, v19, 0x7fff
                                        ; implicit-def: $vgpr76
; %bb.471:                              ;   in Loop: Header=BB6_469 Depth=4
	s_and_not1_saveexec_b32 s61, s61
; %bb.472:                              ;   in Loop: Header=BB6_469 Depth=4
	v_and_b32_e32 v19, 0xffff, v76
	v_or_b32_e32 v77, 0x10000, v76
	s_delay_alu instid0(VALU_DEP_2) | instskip(NEXT) | instid1(VALU_DEP_2)
	v_cmp_eq_u32_e32 vcc_lo, 0, v19
	v_cndmask_b32_e32 v19, v77, v76, vcc_lo
; %bb.473:                              ;   in Loop: Header=BB6_469 Depth=4
	s_or_b32 exec_lo, exec_lo, s61
	s_wait_loadcnt_dscnt 0x0
	v_dual_lshlrev_b32 v22, 16, v22 :: v_dual_lshlrev_b32 v75, 16, v75
	s_delay_alu instid0(VALU_DEP_1) | instskip(NEXT) | instid1(VALU_DEP_1)
	v_mul_f32_e32 v75, v75, v22
	v_and_b32_e32 v22, 0x7f800000, v75
	s_delay_alu instid0(VALU_DEP_1) | instskip(SKIP_1) | instid1(SALU_CYCLE_1)
	v_cmp_ne_u32_e32 vcc_lo, 0x7f800000, v22
                                        ; implicit-def: $vgpr22
	s_and_saveexec_b32 s61, vcc_lo
	s_xor_b32 s61, exec_lo, s61
; %bb.474:                              ;   in Loop: Header=BB6_469 Depth=4
	v_bfe_u32 v22, v75, 16, 1
	s_delay_alu instid0(VALU_DEP_1)
	v_add3_u32 v22, v75, v22, 0x7fff
                                        ; implicit-def: $vgpr75
; %bb.475:                              ;   in Loop: Header=BB6_469 Depth=4
	s_and_not1_saveexec_b32 s61, s61
; %bb.476:                              ;   in Loop: Header=BB6_469 Depth=4
	v_and_b32_e32 v22, 0xffff, v75
	v_or_b32_e32 v76, 0x10000, v75
	s_delay_alu instid0(VALU_DEP_2) | instskip(NEXT) | instid1(VALU_DEP_2)
	v_cmp_eq_u32_e32 vcc_lo, 0, v22
	v_cndmask_b32_e32 v22, v76, v75, vcc_lo
; %bb.477:                              ;   in Loop: Header=BB6_469 Depth=4
	s_or_b32 exec_lo, exec_lo, s61
	v_dual_lshlrev_b32 v58, 16, v58 :: v_dual_lshlrev_b32 v73, 16, v73
	s_delay_alu instid0(VALU_DEP_1) | instskip(NEXT) | instid1(VALU_DEP_1)
	v_mul_f32_e32 v73, v73, v58
	v_and_b32_e32 v58, 0x7f800000, v73
	s_delay_alu instid0(VALU_DEP_1) | instskip(SKIP_1) | instid1(SALU_CYCLE_1)
	v_cmp_ne_u32_e32 vcc_lo, 0x7f800000, v58
                                        ; implicit-def: $vgpr58
	s_and_saveexec_b32 s61, vcc_lo
	s_xor_b32 s61, exec_lo, s61
; %bb.478:                              ;   in Loop: Header=BB6_469 Depth=4
	v_bfe_u32 v58, v73, 16, 1
	s_delay_alu instid0(VALU_DEP_1)
	v_add3_u32 v58, v73, v58, 0x7fff
                                        ; implicit-def: $vgpr73
; %bb.479:                              ;   in Loop: Header=BB6_469 Depth=4
	s_and_not1_saveexec_b32 s61, s61
; %bb.480:                              ;   in Loop: Header=BB6_469 Depth=4
	v_and_b32_e32 v58, 0xffff, v73
	v_or_b32_e32 v75, 0x10000, v73
	s_delay_alu instid0(VALU_DEP_2) | instskip(NEXT) | instid1(VALU_DEP_2)
	v_cmp_eq_u32_e32 vcc_lo, 0, v58
	v_cndmask_b32_e32 v58, v75, v73, vcc_lo
; %bb.481:                              ;   in Loop: Header=BB6_469 Depth=4
	s_or_b32 exec_lo, exec_lo, s61
	v_dual_lshlrev_b32 v61, 16, v61 :: v_dual_lshlrev_b32 v72, 16, v72
	s_delay_alu instid0(VALU_DEP_1) | instskip(NEXT) | instid1(VALU_DEP_1)
	v_mul_f32_e32 v72, v72, v61
	v_and_b32_e32 v61, 0x7f800000, v72
	s_delay_alu instid0(VALU_DEP_1) | instskip(SKIP_1) | instid1(SALU_CYCLE_1)
	v_cmp_ne_u32_e32 vcc_lo, 0x7f800000, v61
                                        ; implicit-def: $vgpr61
	s_and_saveexec_b32 s61, vcc_lo
	s_xor_b32 s61, exec_lo, s61
; %bb.482:                              ;   in Loop: Header=BB6_469 Depth=4
	v_bfe_u32 v61, v72, 16, 1
	s_delay_alu instid0(VALU_DEP_1)
	v_add3_u32 v61, v72, v61, 0x7fff
                                        ; implicit-def: $vgpr72
; %bb.483:                              ;   in Loop: Header=BB6_469 Depth=4
	s_and_not1_saveexec_b32 s61, s61
; %bb.484:                              ;   in Loop: Header=BB6_469 Depth=4
	v_and_b32_e32 v61, 0xffff, v72
	v_or_b32_e32 v73, 0x10000, v72
	s_delay_alu instid0(VALU_DEP_2) | instskip(NEXT) | instid1(VALU_DEP_2)
	v_cmp_eq_u32_e32 vcc_lo, 0, v61
	v_cndmask_b32_e32 v61, v73, v72, vcc_lo
; %bb.485:                              ;   in Loop: Header=BB6_469 Depth=4
	s_or_b32 exec_lo, exec_lo, s61
	v_dual_lshlrev_b32 v62, 16, v62 :: v_dual_lshlrev_b32 v63, 16, v63
	s_delay_alu instid0(VALU_DEP_1) | instskip(NEXT) | instid1(VALU_DEP_1)
	v_mul_f32_e32 v63, v63, v62
	v_and_b32_e32 v62, 0x7f800000, v63
	s_delay_alu instid0(VALU_DEP_1) | instskip(SKIP_1) | instid1(SALU_CYCLE_1)
	v_cmp_ne_u32_e32 vcc_lo, 0x7f800000, v62
                                        ; implicit-def: $vgpr62
	s_and_saveexec_b32 s61, vcc_lo
	s_xor_b32 s61, exec_lo, s61
; %bb.486:                              ;   in Loop: Header=BB6_469 Depth=4
	v_bfe_u32 v62, v63, 16, 1
	s_delay_alu instid0(VALU_DEP_1)
	v_add3_u32 v62, v63, v62, 0x7fff
                                        ; implicit-def: $vgpr63
; %bb.487:                              ;   in Loop: Header=BB6_469 Depth=4
	s_and_not1_saveexec_b32 s61, s61
; %bb.488:                              ;   in Loop: Header=BB6_469 Depth=4
	v_and_b32_e32 v62, 0xffff, v63
	v_or_b32_e32 v72, 0x10000, v63
	s_delay_alu instid0(VALU_DEP_2) | instskip(NEXT) | instid1(VALU_DEP_2)
	v_cmp_eq_u32_e32 vcc_lo, 0, v62
	v_cndmask_b32_e32 v62, v72, v63, vcc_lo
; %bb.489:                              ;   in Loop: Header=BB6_469 Depth=4
	s_or_b32 exec_lo, exec_lo, s61
	v_dual_lshlrev_b32 v59, 16, v59 :: v_dual_lshlrev_b32 v60, 16, v60
	s_delay_alu instid0(VALU_DEP_1) | instskip(NEXT) | instid1(VALU_DEP_1)
	v_mul_f32_e32 v60, v60, v59
	v_and_b32_e32 v59, 0x7f800000, v60
	s_delay_alu instid0(VALU_DEP_1) | instskip(SKIP_1) | instid1(SALU_CYCLE_1)
	v_cmp_ne_u32_e32 vcc_lo, 0x7f800000, v59
                                        ; implicit-def: $vgpr59
	s_and_saveexec_b32 s61, vcc_lo
	s_xor_b32 s61, exec_lo, s61
; %bb.490:                              ;   in Loop: Header=BB6_469 Depth=4
	v_bfe_u32 v59, v60, 16, 1
	s_delay_alu instid0(VALU_DEP_1)
	v_add3_u32 v59, v60, v59, 0x7fff
                                        ; implicit-def: $vgpr60
; %bb.491:                              ;   in Loop: Header=BB6_469 Depth=4
	s_and_not1_saveexec_b32 s61, s61
; %bb.492:                              ;   in Loop: Header=BB6_469 Depth=4
	v_and_b32_e32 v59, 0xffff, v60
	v_or_b32_e32 v63, 0x10000, v60
	s_delay_alu instid0(VALU_DEP_2) | instskip(NEXT) | instid1(VALU_DEP_2)
	v_cmp_eq_u32_e32 vcc_lo, 0, v59
	v_cndmask_b32_e32 v59, v63, v60, vcc_lo
; %bb.493:                              ;   in Loop: Header=BB6_469 Depth=4
	s_or_b32 exec_lo, exec_lo, s61
	v_lshlrev_b32_e32 v23, 16, v23
	v_lshlrev_b32_e32 v43, 16, v43
	s_delay_alu instid0(VALU_DEP_1) | instskip(NEXT) | instid1(VALU_DEP_1)
	v_mul_f32_e32 v43, v43, v23
	v_and_b32_e32 v23, 0x7f800000, v43
	s_delay_alu instid0(VALU_DEP_1) | instskip(SKIP_1) | instid1(SALU_CYCLE_1)
	v_cmp_ne_u32_e32 vcc_lo, 0x7f800000, v23
                                        ; implicit-def: $vgpr23
	s_and_saveexec_b32 s61, vcc_lo
	s_xor_b32 s61, exec_lo, s61
; %bb.494:                              ;   in Loop: Header=BB6_469 Depth=4
	v_bfe_u32 v23, v43, 16, 1
	s_delay_alu instid0(VALU_DEP_1)
	v_add3_u32 v23, v43, v23, 0x7fff
                                        ; implicit-def: $vgpr43
; %bb.495:                              ;   in Loop: Header=BB6_469 Depth=4
	s_and_not1_saveexec_b32 s61, s61
; %bb.496:                              ;   in Loop: Header=BB6_469 Depth=4
	v_and_b32_e32 v23, 0xffff, v43
	v_or_b32_e32 v60, 0x10000, v43
	s_delay_alu instid0(VALU_DEP_2) | instskip(NEXT) | instid1(VALU_DEP_2)
	v_cmp_eq_u32_e32 vcc_lo, 0, v23
	v_cndmask_b32_e32 v23, v60, v43, vcc_lo
; %bb.497:                              ;   in Loop: Header=BB6_469 Depth=4
	s_or_b32 exec_lo, exec_lo, s61
	v_dual_lshlrev_b32 v20, 16, v20 :: v_dual_lshlrev_b32 v21, 16, v21
	s_delay_alu instid0(VALU_DEP_1) | instskip(NEXT) | instid1(VALU_DEP_1)
	v_mul_f32_e32 v21, v21, v20
	v_and_b32_e32 v20, 0x7f800000, v21
	s_delay_alu instid0(VALU_DEP_1) | instskip(SKIP_1) | instid1(SALU_CYCLE_1)
	v_cmp_ne_u32_e32 vcc_lo, 0x7f800000, v20
                                        ; implicit-def: $vgpr20
	s_and_saveexec_b32 s61, vcc_lo
	s_xor_b32 s61, exec_lo, s61
; %bb.498:                              ;   in Loop: Header=BB6_469 Depth=4
	v_bfe_u32 v20, v21, 16, 1
	s_delay_alu instid0(VALU_DEP_1)
	v_add3_u32 v20, v21, v20, 0x7fff
                                        ; implicit-def: $vgpr21
; %bb.499:                              ;   in Loop: Header=BB6_469 Depth=4
	s_and_not1_saveexec_b32 s61, s61
	s_cbranch_execz .LBB6_468
; %bb.500:                              ;   in Loop: Header=BB6_469 Depth=4
	v_and_b32_e32 v20, 0xffff, v21
	v_or_b32_e32 v43, 0x10000, v21
	s_delay_alu instid0(VALU_DEP_2) | instskip(NEXT) | instid1(VALU_DEP_2)
	v_cmp_eq_u32_e32 vcc_lo, 0, v20
	v_cndmask_b32_e32 v20, v43, v21, vcc_lo
	s_branch .LBB6_468
.LBB6_501:                              ;   in Loop: Header=BB6_278 Depth=3
	s_or_b32 exec_lo, exec_lo, s60
.LBB6_502:                              ;   in Loop: Header=BB6_278 Depth=3
	s_delay_alu instid0(SALU_CYCLE_1) | instskip(SKIP_1) | instid1(VALU_DEP_1)
	s_or_b32 exec_lo, exec_lo, s41
	v_lshlrev_b32_e32 v8, 9, v18
	v_cmp_ne_u32_e32 vcc_lo, v41, v8
	s_and_b32 exec_lo, exec_lo, vcc_lo
	s_cbranch_execz .LBB6_510
; %bb.503:                              ;   in Loop: Header=BB6_278 Depth=3
	v_dual_add_nc_u32 v9, v15, v17 :: v_dual_lshlrev_b32 v10, 5, v16
	s_delay_alu instid0(VALU_DEP_1) | instskip(NEXT) | instid1(VALU_DEP_1)
	v_and_b32_e32 v9, 0xffffffe0, v9
	v_sub_nc_u32_e32 v9, v15, v9
	s_delay_alu instid0(VALU_DEP_1) | instskip(NEXT) | instid1(VALU_DEP_1)
	v_sub_nc_u32_e32 v9, v9, v10
	v_ashrrev_i32_e32 v10, 31, v9
	s_delay_alu instid0(VALU_DEP_1) | instskip(NEXT) | instid1(VALU_DEP_1)
	v_lshrrev_b32_e32 v10, 27, v10
	v_add_nc_u32_e32 v10, v9, v10
	s_delay_alu instid0(VALU_DEP_1) | instskip(NEXT) | instid1(VALU_DEP_1)
	v_and_b32_e32 v11, 0x7fffffe0, v10
	v_dual_lshlrev_b32 v10, 1, v10 :: v_dual_sub_nc_u32 v9, v9, v11
	s_delay_alu instid0(VALU_DEP_1) | instskip(NEXT) | instid1(VALU_DEP_2)
	v_and_b32_e32 v10, 0xffffffc0, v10
	v_lshlrev_b32_e32 v9, 1, v9
	s_delay_alu instid0(VALU_DEP_1) | instskip(NEXT) | instid1(VALU_DEP_1)
	v_add3_u32 v8, v10, v9, v8
	v_sub_nc_u32_e32 v15, v41, v8
	s_delay_alu instid0(VALU_DEP_1)
	v_cmp_lt_i32_e32 vcc_lo, 1, v15
	s_and_b32 exec_lo, exec_lo, vcc_lo
	s_cbranch_execz .LBB6_510
; %bb.504:                              ;   in Loop: Header=BB6_278 Depth=3
	s_trap 2
	ds_load_b64 v[10:11], v0
	v_add_nc_u32_e32 v12, v8, v14
	s_mov_b32 s41, 0
	s_delay_alu instid0(VALU_DEP_1) | instskip(NEXT) | instid1(VALU_DEP_1)
	v_ashrrev_i32_e32 v13, 31, v12
	v_add_nc_u64_e32 v[8:9], v[12:13], v[46:47]
	s_wait_dscnt 0x0
	v_add_nc_u64_e32 v[10:11], v[10:11], v[12:13]
	v_add_nc_u64_e32 v[12:13], v[12:13], v[56:57]
	s_branch .LBB6_506
.LBB6_505:                              ;   in Loop: Header=BB6_506 Depth=4
	s_or_b32 exec_lo, exec_lo, s60
	v_sub_nc_u32_e32 v15, v15, v80
	flat_store_d16_hi_b16 v[12:13], v14 th:TH_STORE_NT
	v_add_nc_u64_e32 v[8:9], v[8:9], v[80:81]
	v_add_nc_u64_e32 v[10:11], v[10:11], v[80:81]
	s_wait_xcnt 0x0
	v_add_nc_u64_e32 v[12:13], v[12:13], v[80:81]
	v_cmp_gt_i32_e32 vcc_lo, 2, v15
	s_or_b32 s41, vcc_lo, s41
	s_delay_alu instid0(SALU_CYCLE_1)
	s_and_not1_b32 exec_lo, exec_lo, s41
	s_cbranch_execz .LBB6_510
.LBB6_506:                              ;   Parent Loop BB6_47 Depth=1
                                        ;     Parent Loop BB6_275 Depth=2
                                        ;       Parent Loop BB6_278 Depth=3
                                        ; =>      This Inner Loop Header: Depth=4
	flat_load_u16 v14, v[8:9] th:TH_LOAD_NT
	flat_load_u16 v16, v[10:11] th:TH_LOAD_NT
	s_wait_loadcnt_dscnt 0x0
	v_dual_lshlrev_b32 v14, 16, v14 :: v_dual_lshlrev_b32 v16, 16, v16
	s_delay_alu instid0(VALU_DEP_1) | instskip(NEXT) | instid1(VALU_DEP_1)
	v_mul_f32_e32 v16, v16, v14
	v_and_b32_e32 v14, 0x7f800000, v16
	s_delay_alu instid0(VALU_DEP_1) | instskip(SKIP_2) | instid1(SALU_CYCLE_1)
	v_cmp_ne_u32_e32 vcc_lo, 0x7f800000, v14
                                        ; implicit-def: $vgpr14
	s_wait_xcnt 0x0
	s_and_saveexec_b32 s60, vcc_lo
	s_xor_b32 s60, exec_lo, s60
; %bb.507:                              ;   in Loop: Header=BB6_506 Depth=4
	v_bfe_u32 v14, v16, 16, 1
	s_delay_alu instid0(VALU_DEP_1)
	v_add3_u32 v14, v16, v14, 0x7fff
                                        ; implicit-def: $vgpr16
; %bb.508:                              ;   in Loop: Header=BB6_506 Depth=4
	s_and_not1_saveexec_b32 s60, s60
	s_cbranch_execz .LBB6_505
; %bb.509:                              ;   in Loop: Header=BB6_506 Depth=4
	v_and_b32_e32 v14, 0xffff, v16
	v_or_b32_e32 v17, 0x10000, v16
	s_delay_alu instid0(VALU_DEP_2) | instskip(NEXT) | instid1(VALU_DEP_2)
	v_cmp_eq_u32_e32 vcc_lo, 0, v14
	v_cndmask_b32_e32 v14, v17, v16, vcc_lo
	s_branch .LBB6_505
.LBB6_510:                              ;   in Loop: Header=BB6_278 Depth=3
	s_or_b32 exec_lo, exec_lo, s13
	v_cmp_lt_i32_e64 s13, 0, v2
	s_and_saveexec_b32 s41, s2
	s_cbranch_execz .LBB6_353
.LBB6_511:                              ;   in Loop: Header=BB6_278 Depth=3
	s_and_saveexec_b32 s60, s3
	s_delay_alu instid0(SALU_CYCLE_1)
	s_xor_b32 s60, exec_lo, s60
	s_cbranch_execz .LBB6_526
; %bb.512:                              ;   in Loop: Header=BB6_278 Depth=3
	s_and_saveexec_b32 s61, s6
	s_cbranch_execz .LBB6_525
; %bb.513:                              ;   in Loop: Header=BB6_278 Depth=3
	s_mov_b32 s63, exec_lo
	s_mov_b32 s62, exec_lo
	v_mbcnt_lo_u32_b32 v2, s63, 0
	global_wb scope:SCOPE_DEV
	s_wait_storecnt 0x0
	s_wait_loadcnt_dscnt 0x0
	global_inv scope:SCOPE_DEV
	v_cmpx_eq_u32_e32 0, v2
	s_cbranch_execz .LBB6_515
; %bb.514:                              ;   in Loop: Header=BB6_278 Depth=3
	s_bcnt1_i32_b32 s63, s63
	s_delay_alu instid0(SALU_CYCLE_1)
	v_mov_b32_e32 v2, s63
	s_wait_loadcnt 0x0
	ds_add_u64 v0, v[2:3]
	s_trap 2
.LBB6_515:                              ;   in Loop: Header=BB6_278 Depth=3
	s_or_b32 exec_lo, exec_lo, s62
	s_trap 2
	ds_load_b64 v[8:9], v0
	s_wait_dscnt 0x0
	v_add_nc_u64_e32 v[48:49], v[48:49], v[52:53]
	s_mov_b32 s62, exec_lo
	s_delay_alu instid0(VALU_DEP_1)
	v_cmpx_lt_u64_e64 v[8:9], v[48:49]
	s_cbranch_execz .LBB6_524
; %bb.516:                              ;   in Loop: Header=BB6_278 Depth=3
	s_mov_b32 s63, 0
	s_mov_b32 s74, 0
                                        ; implicit-def: $sgpr72
                                        ; implicit-def: $sgpr73
	s_branch .LBB6_518
.LBB6_517:                              ;   in Loop: Header=BB6_518 Depth=4
	s_or_b32 exec_lo, exec_lo, s76
	s_delay_alu instid0(SALU_CYCLE_1) | instskip(NEXT) | instid1(SALU_CYCLE_1)
	s_and_b32 s75, exec_lo, s77
	s_or_b32 s63, s75, s63
	s_and_not1_b32 s72, s72, exec_lo
	s_and_b32 s75, s73, exec_lo
	s_delay_alu instid0(SALU_CYCLE_1)
	s_or_b32 s72, s72, s75
	s_and_not1_b32 exec_lo, exec_lo, s63
	s_cbranch_execz .LBB6_522
.LBB6_518:                              ;   Parent Loop BB6_47 Depth=1
                                        ;     Parent Loop BB6_275 Depth=2
                                        ;       Parent Loop BB6_278 Depth=3
                                        ; =>      This Inner Loop Header: Depth=4
	s_add_co_i32 s74, s74, 1
	s_delay_alu instid0(SALU_CYCLE_1) | instskip(SKIP_1) | instid1(SALU_CYCLE_1)
	s_cmp_lg_u32 s74, 0x2710
	s_cselect_b32 s75, -1, 0
	s_and_b32 vcc_lo, exec_lo, s75
	s_cbranch_vccz .LBB6_520
; %bb.519:                              ;   in Loop: Header=BB6_518 Depth=4
	s_mov_b32 s77, -1
	s_or_b32 s73, s73, exec_lo
	s_and_saveexec_b32 s76, s75
	s_cbranch_execz .LBB6_517
	s_branch .LBB6_521
.LBB6_520:                              ;   in Loop: Header=BB6_518 Depth=4
	s_trap 2
	ds_load_b64 v[8:9], v0
	s_and_not1_b32 s75, s75, exec_lo
	s_mov_b32 s74, 0
	s_wait_loadcnt_dscnt 0x0
	flat_load_b32 v2, v[8:9] scope:SCOPE_SYS
	s_wait_loadcnt_dscnt 0x0
	global_inv scope:SCOPE_SYS
	v_cmp_eq_u32_e32 vcc_lo, 0, v2
	s_and_b32 s76, vcc_lo, exec_lo
	s_delay_alu instid0(SALU_CYCLE_1)
	s_or_b32 s75, s75, s76
	s_mov_b32 s77, -1
	s_or_b32 s73, s73, exec_lo
	s_and_saveexec_b32 s76, s75
	s_cbranch_execz .LBB6_517
.LBB6_521:                              ;   in Loop: Header=BB6_518 Depth=4
	s_sleep 1
	s_trap 2
	ds_load_b64 v[8:9], v0
	s_wait_dscnt 0x0
	s_and_not1_b32 s73, s73, exec_lo
	v_cmp_ge_u64_e32 vcc_lo, v[8:9], v[48:49]
	s_or_not1_b32 s77, vcc_lo, exec_lo
	s_branch .LBB6_517
.LBB6_522:                              ;   in Loop: Header=BB6_278 Depth=3
	s_or_b32 exec_lo, exec_lo, s63
	s_and_saveexec_b32 s63, s72
	s_delay_alu instid0(SALU_CYCLE_1)
	s_xor_b32 s63, exec_lo, s63
	s_cbranch_execz .LBB6_524
; %bb.523:                              ;   in Loop: Header=BB6_278 Depth=3
	ds_store_b32 v0, v79
	s_trap 2
.LBB6_524:                              ;   in Loop: Header=BB6_278 Depth=3
	s_or_b32 exec_lo, exec_lo, s62
	;;#ASMSTART
	s_wakeup
	;;#ASMEND
.LBB6_525:                              ;   in Loop: Header=BB6_278 Depth=3
	s_or_b32 exec_lo, exec_lo, s61
.LBB6_526:                              ;   in Loop: Header=BB6_278 Depth=3
	s_and_not1_saveexec_b32 s60, s60
	s_cbranch_execz .LBB6_528
; %bb.527:                              ;   in Loop: Header=BB6_278 Depth=3
	global_wb scope:SCOPE_DEV
	s_wait_storecnt 0x0
	s_wait_loadcnt_dscnt 0x0
	global_inv scope:SCOPE_DEV
	s_barrier_signal -1
	s_barrier_wait -1
.LBB6_528:                              ;   in Loop: Header=BB6_278 Depth=3
	s_or_b32 exec_lo, exec_lo, s60
	s_delay_alu instid0(SALU_CYCLE_1) | instskip(SKIP_1) | instid1(SALU_CYCLE_1)
	s_or_b32 exec_lo, exec_lo, s41
                                        ; implicit-def: $vgpr2
	s_and_saveexec_b32 s41, s10
	s_xor_b32 s41, exec_lo, s41
	s_cbranch_execnz .LBB6_354
.LBB6_529:                              ;   in Loop: Header=BB6_278 Depth=3
	s_and_not1_saveexec_b32 s13, s41
	s_cbranch_execz .LBB6_548
.LBB6_530:                              ;   in Loop: Header=BB6_278 Depth=3
	s_and_saveexec_b32 s41, s3
	s_delay_alu instid0(SALU_CYCLE_1)
	s_xor_b32 s41, exec_lo, s41
	s_cbranch_execz .LBB6_545
; %bb.531:                              ;   in Loop: Header=BB6_278 Depth=3
	s_and_saveexec_b32 s60, s6
	s_cbranch_execz .LBB6_544
; %bb.532:                              ;   in Loop: Header=BB6_278 Depth=3
	s_mov_b32 s62, exec_lo
	s_mov_b32 s61, exec_lo
	v_mbcnt_lo_u32_b32 v2, s62, 0
	;;#ASMSTART
	s_waitcnt lgkmcnt(0) vmcnt(0)
	;;#ASMEND
	s_delay_alu instid0(VALU_DEP_1)
	v_cmpx_eq_u32_e32 0, v2
	s_cbranch_execz .LBB6_534
; %bb.533:                              ;   in Loop: Header=BB6_278 Depth=3
	s_bcnt1_i32_b32 s62, s62
	s_delay_alu instid0(SALU_CYCLE_1)
	v_mov_b32_e32 v2, s62
	s_wait_storecnt 0x0
	s_wait_loadcnt_dscnt 0x0
	ds_add_u64 v0, v[2:3]
	s_trap 2
.LBB6_534:                              ;   in Loop: Header=BB6_278 Depth=3
	s_or_b32 exec_lo, exec_lo, s61
	s_trap 2
	ds_load_b64 v[8:9], v0
	s_wait_dscnt 0x0
	v_add_nc_u64_e32 v[48:49], v[48:49], v[52:53]
	s_mov_b32 s61, exec_lo
	s_delay_alu instid0(VALU_DEP_1)
	v_cmpx_lt_u64_e64 v[8:9], v[48:49]
	s_cbranch_execz .LBB6_543
; %bb.535:                              ;   in Loop: Header=BB6_278 Depth=3
	s_mov_b32 s62, 0
	s_mov_b32 s73, 0
                                        ; implicit-def: $sgpr63
                                        ; implicit-def: $sgpr72
	s_branch .LBB6_537
.LBB6_536:                              ;   in Loop: Header=BB6_537 Depth=4
	s_or_b32 exec_lo, exec_lo, s75
	s_delay_alu instid0(SALU_CYCLE_1) | instskip(NEXT) | instid1(SALU_CYCLE_1)
	s_and_b32 s74, exec_lo, s76
	s_or_b32 s62, s74, s62
	s_and_not1_b32 s63, s63, exec_lo
	s_and_b32 s74, s72, exec_lo
	s_delay_alu instid0(SALU_CYCLE_1)
	s_or_b32 s63, s63, s74
	s_and_not1_b32 exec_lo, exec_lo, s62
	s_cbranch_execz .LBB6_541
.LBB6_537:                              ;   Parent Loop BB6_47 Depth=1
                                        ;     Parent Loop BB6_275 Depth=2
                                        ;       Parent Loop BB6_278 Depth=3
                                        ; =>      This Inner Loop Header: Depth=4
	s_add_co_i32 s73, s73, 1
	s_delay_alu instid0(SALU_CYCLE_1) | instskip(SKIP_1) | instid1(SALU_CYCLE_1)
	s_cmp_lg_u32 s73, 0x2710
	s_cselect_b32 s74, -1, 0
	s_and_b32 vcc_lo, exec_lo, s74
	s_cbranch_vccz .LBB6_539
; %bb.538:                              ;   in Loop: Header=BB6_537 Depth=4
	s_mov_b32 s76, -1
	s_or_b32 s72, s72, exec_lo
	s_and_saveexec_b32 s75, s74
	s_cbranch_execz .LBB6_536
	s_branch .LBB6_540
.LBB6_539:                              ;   in Loop: Header=BB6_537 Depth=4
	s_trap 2
	ds_load_b64 v[8:9], v0
	s_and_not1_b32 s74, s74, exec_lo
	s_mov_b32 s73, 0
	s_wait_storecnt 0x0
	s_wait_loadcnt_dscnt 0x0
	flat_load_b32 v2, v[8:9] scope:SCOPE_SYS
	s_wait_loadcnt_dscnt 0x0
	global_inv scope:SCOPE_SYS
	v_cmp_eq_u32_e32 vcc_lo, 0, v2
	s_and_b32 s75, vcc_lo, exec_lo
	s_delay_alu instid0(SALU_CYCLE_1)
	s_or_b32 s74, s74, s75
	s_mov_b32 s76, -1
	s_or_b32 s72, s72, exec_lo
	s_and_saveexec_b32 s75, s74
	s_cbranch_execz .LBB6_536
.LBB6_540:                              ;   in Loop: Header=BB6_537 Depth=4
	s_sleep 1
	s_trap 2
	ds_load_b64 v[8:9], v0
	s_wait_dscnt 0x0
	s_and_not1_b32 s72, s72, exec_lo
	v_cmp_ge_u64_e32 vcc_lo, v[8:9], v[48:49]
	s_or_not1_b32 s76, vcc_lo, exec_lo
	s_branch .LBB6_536
.LBB6_541:                              ;   in Loop: Header=BB6_278 Depth=3
	s_or_b32 exec_lo, exec_lo, s62
	s_and_saveexec_b32 s62, s63
	s_delay_alu instid0(SALU_CYCLE_1)
	s_xor_b32 s62, exec_lo, s62
	s_cbranch_execz .LBB6_543
; %bb.542:                              ;   in Loop: Header=BB6_278 Depth=3
	ds_store_b32 v0, v79
	s_trap 2
.LBB6_543:                              ;   in Loop: Header=BB6_278 Depth=3
	s_or_b32 exec_lo, exec_lo, s61
	;;#ASMSTART
	s_wakeup
	;;#ASMEND
.LBB6_544:                              ;   in Loop: Header=BB6_278 Depth=3
	s_or_b32 exec_lo, exec_lo, s60
.LBB6_545:                              ;   in Loop: Header=BB6_278 Depth=3
	s_and_not1_saveexec_b32 s41, s41
	s_cbranch_execz .LBB6_547
; %bb.546:                              ;   in Loop: Header=BB6_278 Depth=3
	;;#ASMSTART
	s_waitcnt lgkmcnt(0) vmcnt(0)
	;;#ASMEND
	s_barrier_signal -1
	s_barrier_wait -1
.LBB6_547:                              ;   in Loop: Header=BB6_278 Depth=3
	s_or_b32 exec_lo, exec_lo, s41
	v_and_b32_e32 v2, 16, v30
.LBB6_548:                              ;   in Loop: Header=BB6_278 Depth=3
	s_or_b32 exec_lo, exec_lo, s13
	s_delay_alu instid0(VALU_DEP_1) | instskip(SKIP_1) | instid1(SALU_CYCLE_1)
	v_cmp_ne_u32_e32 vcc_lo, 0, v2
	s_xor_b32 s13, s4, -1
	s_and_b32 s41, vcc_lo, s13
	s_delay_alu instid0(SALU_CYCLE_1)
	s_and_saveexec_b32 s13, s41
	s_cbranch_execz .LBB6_550
; %bb.549:                              ;   in Loop: Header=BB6_278 Depth=3
	global_wb scope:SCOPE_SYS
	s_wait_storecnt 0x0
	s_wait_loadcnt_dscnt 0x0
	flat_store_b32 v[38:39], v79 scope:SCOPE_SYS
.LBB6_550:                              ;   in Loop: Header=BB6_278 Depth=3
	s_wait_xcnt 0x0
	s_or_b32 exec_lo, exec_lo, s13
	v_and_b32_e32 v2, 48, v30
	s_mov_b32 s13, exec_lo
	s_delay_alu instid0(VALU_DEP_1)
	v_cmpx_ne_u32_e32 0, v2
	s_cbranch_execz .LBB6_277
; %bb.551:                              ;   in Loop: Header=BB6_278 Depth=3
	v_add_nc_u64_e32 v[114:115], 2, v[114:115]
	global_wb scope:SCOPE_SYS
	s_wait_storecnt 0x0
	s_wait_loadcnt_dscnt 0x0
	flat_store_b64 v[32:33], v[114:115] scope:SCOPE_SYS
	s_branch .LBB6_277
.LBB6_552:                              ;   in Loop: Header=BB6_275 Depth=2
	s_or_b32 exec_lo, exec_lo, s18
.LBB6_553:                              ;   in Loop: Header=BB6_275 Depth=2
	s_delay_alu instid0(SALU_CYCLE_1) | instskip(NEXT) | instid1(SALU_CYCLE_1)
	s_or_b32 exec_lo, exec_lo, s15
	s_mov_b32 s15, exec_lo
	v_cmpx_gt_i32_e32 2, v2
	s_cbranch_execz .LBB6_274
; %bb.554:                              ;   in Loop: Header=BB6_275 Depth=2
	v_cmp_eq_u32_e64 s27, 0, v2
	s_mov_b32 s18, 0
	s_branch .LBB6_556
.LBB6_555:                              ;   in Loop: Header=BB6_556 Depth=3
	s_wait_xcnt 0x0
	s_or_b32 exec_lo, exec_lo, s13
	v_add_nc_u32_e32 v42, v40, v42
	s_mov_b32 s27, 0
	s_and_not1_b32 exec_lo, exec_lo, s18
	s_cbranch_execz .LBB6_273
.LBB6_556:                              ;   Parent Loop BB6_47 Depth=1
                                        ;     Parent Loop BB6_275 Depth=2
                                        ; =>    This Loop Header: Depth=3
                                        ;         Child Loop BB6_562 Depth 4
                                        ;         Child Loop BB6_590 Depth 4
	;; [unrolled: 1-line block ×3, first 2 shown]
	s_delay_alu instid0(VALU_DEP_1) | instskip(SKIP_2) | instid1(VALU_DEP_2)
	v_sub_nc_u32_e32 v2, v74, v42
	v_and_b32_e32 v8, 12, v30
	s_mov_b32 s40, exec_lo
	v_min_i32_e32 v40, v40, v2
	s_delay_alu instid0(VALU_DEP_2)
	v_cmpx_ne_u32_e32 0, v8
	s_cbranch_execz .LBB6_582
; %bb.557:                              ;   in Loop: Header=BB6_556 Depth=3
	v_and_b32_e32 v2, 8, v30
	v_add_nc_u64_e32 v[8:9], 2, v[114:115]
	s_mov_b32 s41, exec_lo
	s_wait_loadcnt_dscnt 0x1
	s_delay_alu instid0(VALU_DEP_2) | instskip(NEXT) | instid1(VALU_DEP_1)
	v_add_nc_u64_e32 v[10:11], v[50:51], v[2:3]
	v_cmpx_lt_u64_e64 v[10:11], v[8:9]
	s_cbranch_execz .LBB6_569
; %bb.558:                              ;   in Loop: Header=BB6_556 Depth=3
	v_and_b32_e32 v10, 64, v30
	s_mov_b32 s60, 0
	s_mov_b32 s72, 0
                                        ; implicit-def: $sgpr61
                                        ; implicit-def: $sgpr62
                                        ; implicit-def: $sgpr63
	s_delay_alu instid0(VALU_DEP_1)
	v_cmp_eq_u32_e32 vcc_lo, 0, v10
	s_branch .LBB6_562
.LBB6_559:                              ;   in Loop: Header=BB6_562 Depth=4
	s_wait_loadcnt_dscnt 0x0
	v_add_nc_u64_e32 v[12:13], v[50:51], v[2:3]
	s_or_b32 s75, s75, exec_lo
	s_delay_alu instid0(VALU_DEP_1)
	v_cmp_ge_u64_e64 s13, v[12:13], v[8:9]
	s_or_not1_b32 s74, s13, exec_lo
.LBB6_560:                              ;   in Loop: Header=BB6_562 Depth=4
	s_or_b32 exec_lo, exec_lo, s77
	s_delay_alu instid0(SALU_CYCLE_1)
	s_and_not1_b32 s13, s63, exec_lo
	s_and_b32 s63, s75, exec_lo
	s_and_not1_b32 s62, s62, exec_lo
	s_and_b32 s74, s74, exec_lo
	s_or_b32 s63, s13, s63
	s_or_b32 s62, s62, s74
.LBB6_561:                              ;   in Loop: Header=BB6_562 Depth=4
	s_or_b32 exec_lo, exec_lo, s73
	s_delay_alu instid0(SALU_CYCLE_1) | instskip(NEXT) | instid1(SALU_CYCLE_1)
	s_and_b32 s13, exec_lo, s62
	s_or_b32 s60, s13, s60
	s_and_not1_b32 s13, s61, exec_lo
	s_and_b32 s61, s63, exec_lo
	s_delay_alu instid0(SALU_CYCLE_1)
	s_or_b32 s61, s13, s61
	s_and_not1_b32 exec_lo, exec_lo, s60
	s_cbranch_execz .LBB6_566
.LBB6_562:                              ;   Parent Loop BB6_47 Depth=1
                                        ;     Parent Loop BB6_275 Depth=2
                                        ;       Parent Loop BB6_556 Depth=3
                                        ; =>      This Inner Loop Header: Depth=4
	s_sleep 1
	s_wait_loadcnt_dscnt 0x0
	flat_load_b64 v[50:51], v[32:33] scope:SCOPE_SYS
	s_or_b32 s63, s63, exec_lo
	s_or_b32 s62, s62, exec_lo
                                        ; implicit-def: $vgpr10
	s_wait_xcnt 0x0
	s_and_saveexec_b32 s73, vcc_lo
	s_cbranch_execz .LBB6_561
; %bb.563:                              ;   in Loop: Header=BB6_562 Depth=4
	s_cmp_lt_i32 s72, 0x270f
	s_mov_b32 s74, -1
	s_cselect_b32 s76, -1, 0
	s_cmp_gt_i32 s72, 0x270e
	s_cbranch_scc0 .LBB6_565
; %bb.564:                              ;   in Loop: Header=BB6_562 Depth=4
	s_trap 2
	ds_load_b64 v[10:11], v0
	s_and_not1_b32 s72, s76, exec_lo
	s_mov_b32 s75, 0
	s_wait_storecnt 0x0
	s_wait_loadcnt_dscnt 0x0
	flat_load_b32 v10, v[10:11] scope:SCOPE_SYS
	s_wait_loadcnt_dscnt 0x0
	global_inv scope:SCOPE_SYS
	v_cmp_eq_u32_e64 s13, 0, v10
	s_and_b32 s13, s13, exec_lo
	s_delay_alu instid0(SALU_CYCLE_1)
	s_or_b32 s76, s72, s13
	s_mov_b32 s72, 0
	s_and_saveexec_b32 s77, s76
	s_cbranch_execz .LBB6_560
	s_branch .LBB6_559
.LBB6_565:                              ;   in Loop: Header=BB6_562 Depth=4
	s_add_co_i32 s72, s72, 1
	s_mov_b32 s75, -1
                                        ; implicit-def: $vgpr10
	s_and_saveexec_b32 s77, s76
	s_cbranch_execz .LBB6_560
	s_branch .LBB6_559
.LBB6_566:                              ;   in Loop: Header=BB6_556 Depth=3
	s_or_b32 exec_lo, exec_lo, s60
	s_xor_b32 s13, s61, -1
	s_delay_alu instid0(SALU_CYCLE_1) | instskip(NEXT) | instid1(SALU_CYCLE_1)
	s_and_saveexec_b32 s60, s13
	s_xor_b32 s13, exec_lo, s60
	s_cbranch_execz .LBB6_568
; %bb.567:                              ;   in Loop: Header=BB6_556 Depth=3
	v_or_b32_e32 v30, 64, v30
	s_wait_storecnt 0x0
	s_wait_loadcnt_dscnt 0x0
	ds_store_b32 v0, v10
	s_trap 2
.LBB6_568:                              ;   in Loop: Header=BB6_556 Depth=3
	s_or_b32 exec_lo, exec_lo, s13
.LBB6_569:                              ;   in Loop: Header=BB6_556 Depth=3
	s_delay_alu instid0(SALU_CYCLE_1) | instskip(SKIP_2) | instid1(VALU_DEP_1)
	s_or_b32 exec_lo, exec_lo, s41
	v_and_b32_e32 v10, 0x108, v30
	;;#ASMSTART
	s_wakeup
	;;#ASMEND
	v_cmp_ne_u32_e32 vcc_lo, 0x108, v10
                                        ; implicit-def: $vgpr10_vgpr11
	s_and_saveexec_b32 s13, vcc_lo
	s_delay_alu instid0(SALU_CYCLE_1)
	s_xor_b32 s13, exec_lo, s13
; %bb.570:                              ;   in Loop: Header=BB6_556 Depth=3
	v_dual_mov_b32 v11, v3 :: v_dual_bitop2_b32 v10, 7, v114 bitop3:0x40
                                        ; implicit-def: $vgpr114_vgpr115
; %bb.571:                              ;   in Loop: Header=BB6_556 Depth=3
	s_and_not1_saveexec_b32 s13, s13
	s_cbranch_execz .LBB6_573
; %bb.572:                              ;   in Loop: Header=BB6_556 Depth=3
	v_dual_ashrrev_i32 v41, 31, v40 :: v_dual_bitop2_b32 v10, 7, v114 bitop3:0x40
	v_mov_b32_e32 v11, v3
	s_delay_alu instid0(VALU_DEP_2) | instskip(NEXT) | instid1(VALU_DEP_3)
	v_mad_nc_u64_u32 v[12:13], v10, 24, v[6:7]
	v_lshlrev_b64_e32 v[14:15], 1, v[40:41]
	flat_store_b64 v[12:13], v[14:15] offset:8
.LBB6_573:                              ;   in Loop: Header=BB6_556 Depth=3
	s_wait_xcnt 0x0
	s_or_b32 exec_lo, exec_lo, s13
	v_and_b32_e32 v12, 0x100, v30
	s_mov_b32 s13, -1
	s_delay_alu instid0(VALU_DEP_1)
	v_cmp_ne_u32_e32 vcc_lo, 0, v12
                                        ; implicit-def: $vgpr12_vgpr13
	s_and_saveexec_b32 s41, vcc_lo
	s_cbranch_execz .LBB6_577
; %bb.574:                              ;   in Loop: Header=BB6_556 Depth=3
	v_mad_nc_u64_u32 v[14:15], v10, 24, v[6:7]
	s_delay_alu instid0(VALU_DEP_1)
	v_mad_u32 v15, v11, 24, v15
	flat_load_b32 v12, v[14:15]
	s_wait_loadcnt_dscnt 0x0
	v_cmp_eq_u32_e64 s13, 1, v12
	v_cmp_ne_u32_e32 vcc_lo, 1, v12
                                        ; implicit-def: $vgpr12_vgpr13
	s_wait_xcnt 0x0
	s_and_saveexec_b32 s60, s13
	s_cbranch_execz .LBB6_576
; %bb.575:                              ;   in Loop: Header=BB6_556 Depth=3
	flat_load_b32 v12, v[14:15] offset:4 scope:SCOPE_SYS
	s_wait_loadcnt_dscnt 0x0
	v_ashrrev_i32_e32 v13, 31, v12
	s_delay_alu instid0(VALU_DEP_1)
	v_lshrrev_b64 v[12:13], 1, v[12:13]
.LBB6_576:                              ;   in Loop: Header=BB6_556 Depth=3
	s_wait_xcnt 0x0
	s_or_b32 exec_lo, exec_lo, s60
	s_delay_alu instid0(SALU_CYCLE_1)
	s_or_not1_b32 s13, vcc_lo, exec_lo
.LBB6_577:                              ;   in Loop: Header=BB6_556 Depth=3
	s_or_b32 exec_lo, exec_lo, s41
	s_and_saveexec_b32 s41, s13
; %bb.578:                              ;   in Loop: Header=BB6_556 Depth=3
	v_mul_u64_e32 v[12:13], v[10:11], v[34:35]
; %bb.579:                              ;   in Loop: Header=BB6_556 Depth=3
	s_or_b32 exec_lo, exec_lo, s41
	v_cmp_eq_u32_e32 vcc_lo, 0, v2
	v_and_b32_e32 v14, 0x2000, v30
	s_delay_alu instid0(VALU_DEP_3) | instskip(SKIP_2) | instid1(VALU_DEP_1)
	v_lshl_add_u64 v[10:11], v[12:13], 1, v[36:37]
	s_mov_b32 s13, exec_lo
	v_cndmask_b32_e32 v2, 0xc8, v88, vcc_lo
	v_add_nc_u32_e32 v2, v0, v2
	ds_store_b64 v2, v[10:11] offset:584
	v_cmpx_ne_u32_e32 0, v14
	s_cbranch_execz .LBB6_581
; %bb.580:                              ;   in Loop: Header=BB6_556 Depth=3
	ds_load_b64 v[10:11], v0 offset:872
	s_wait_dscnt 0x0
	v_add_nc_u64_e32 v[10:11], 1, v[10:11]
	ds_store_b64 v0, v[10:11] offset:872
.LBB6_581:                              ;   in Loop: Header=BB6_556 Depth=3
	s_or_b32 exec_lo, exec_lo, s13
	v_mov_b64_e32 v[114:115], v[8:9]
.LBB6_582:                              ;   in Loop: Header=BB6_556 Depth=3
	s_or_b32 exec_lo, exec_lo, s40
	s_xor_b32 s13, s27, -1
	s_delay_alu instid0(SALU_CYCLE_1) | instskip(NEXT) | instid1(SALU_CYCLE_1)
	s_and_b32 s13, exec_lo, s13
	s_or_b32 s18, s13, s18
	s_and_saveexec_b32 s13, s2
	s_cbranch_execz .LBB6_601
; %bb.583:                              ;   in Loop: Header=BB6_556 Depth=3
	s_and_saveexec_b32 s27, s3
	s_delay_alu instid0(SALU_CYCLE_1)
	s_xor_b32 s27, exec_lo, s27
	s_cbranch_execz .LBB6_598
; %bb.584:                              ;   in Loop: Header=BB6_556 Depth=3
	s_and_saveexec_b32 s40, s6
	s_cbranch_execz .LBB6_597
; %bb.585:                              ;   in Loop: Header=BB6_556 Depth=3
	s_mov_b32 s60, exec_lo
	s_mov_b32 s41, exec_lo
	v_mbcnt_lo_u32_b32 v2, s60, 0
	global_wb scope:SCOPE_DEV
	s_wait_storecnt 0x0
	s_wait_loadcnt_dscnt 0x0
	global_inv scope:SCOPE_DEV
	v_cmpx_eq_u32_e32 0, v2
	s_cbranch_execz .LBB6_587
; %bb.586:                              ;   in Loop: Header=BB6_556 Depth=3
	s_bcnt1_i32_b32 s60, s60
	s_delay_alu instid0(SALU_CYCLE_1)
	v_mov_b32_e32 v2, s60
	s_wait_loadcnt 0x0
	ds_add_u64 v0, v[2:3]
	s_trap 2
.LBB6_587:                              ;   in Loop: Header=BB6_556 Depth=3
	s_or_b32 exec_lo, exec_lo, s41
	s_trap 2
	ds_load_b64 v[8:9], v0
	s_wait_dscnt 0x0
	v_add_nc_u64_e32 v[48:49], v[48:49], v[52:53]
	s_mov_b32 s41, exec_lo
	s_delay_alu instid0(VALU_DEP_1)
	v_cmpx_lt_u64_e64 v[8:9], v[48:49]
	s_cbranch_execz .LBB6_596
; %bb.588:                              ;   in Loop: Header=BB6_556 Depth=3
	s_mov_b32 s60, 0
	s_mov_b32 s63, 0
                                        ; implicit-def: $sgpr61
                                        ; implicit-def: $sgpr62
	s_branch .LBB6_590
.LBB6_589:                              ;   in Loop: Header=BB6_590 Depth=4
	s_or_b32 exec_lo, exec_lo, s73
	s_delay_alu instid0(SALU_CYCLE_1) | instskip(NEXT) | instid1(SALU_CYCLE_1)
	s_and_b32 s72, exec_lo, s74
	s_or_b32 s60, s72, s60
	s_and_not1_b32 s61, s61, exec_lo
	s_and_b32 s72, s62, exec_lo
	s_delay_alu instid0(SALU_CYCLE_1)
	s_or_b32 s61, s61, s72
	s_and_not1_b32 exec_lo, exec_lo, s60
	s_cbranch_execz .LBB6_594
.LBB6_590:                              ;   Parent Loop BB6_47 Depth=1
                                        ;     Parent Loop BB6_275 Depth=2
                                        ;       Parent Loop BB6_556 Depth=3
                                        ; =>      This Inner Loop Header: Depth=4
	s_add_co_i32 s63, s63, 1
	s_delay_alu instid0(SALU_CYCLE_1) | instskip(SKIP_1) | instid1(SALU_CYCLE_1)
	s_cmp_lg_u32 s63, 0x2710
	s_cselect_b32 s72, -1, 0
	s_and_b32 vcc_lo, exec_lo, s72
	s_cbranch_vccz .LBB6_592
; %bb.591:                              ;   in Loop: Header=BB6_590 Depth=4
	s_mov_b32 s74, -1
	s_or_b32 s62, s62, exec_lo
	s_and_saveexec_b32 s73, s72
	s_cbranch_execz .LBB6_589
	s_branch .LBB6_593
.LBB6_592:                              ;   in Loop: Header=BB6_590 Depth=4
	s_trap 2
	ds_load_b64 v[8:9], v0
	s_and_not1_b32 s72, s72, exec_lo
	s_mov_b32 s63, 0
	s_wait_loadcnt_dscnt 0x0
	flat_load_b32 v2, v[8:9] scope:SCOPE_SYS
	s_wait_loadcnt_dscnt 0x0
	global_inv scope:SCOPE_SYS
	v_cmp_eq_u32_e32 vcc_lo, 0, v2
	s_and_b32 s73, vcc_lo, exec_lo
	s_delay_alu instid0(SALU_CYCLE_1)
	s_or_b32 s72, s72, s73
	s_mov_b32 s74, -1
	s_or_b32 s62, s62, exec_lo
	s_and_saveexec_b32 s73, s72
	s_cbranch_execz .LBB6_589
.LBB6_593:                              ;   in Loop: Header=BB6_590 Depth=4
	s_sleep 1
	s_trap 2
	ds_load_b64 v[8:9], v0
	s_wait_dscnt 0x0
	s_and_not1_b32 s62, s62, exec_lo
	v_cmp_ge_u64_e32 vcc_lo, v[8:9], v[48:49]
	s_or_not1_b32 s74, vcc_lo, exec_lo
	s_branch .LBB6_589
.LBB6_594:                              ;   in Loop: Header=BB6_556 Depth=3
	s_or_b32 exec_lo, exec_lo, s60
	s_and_saveexec_b32 s60, s61
	s_delay_alu instid0(SALU_CYCLE_1)
	s_xor_b32 s60, exec_lo, s60
	s_cbranch_execz .LBB6_596
; %bb.595:                              ;   in Loop: Header=BB6_556 Depth=3
	ds_store_b32 v0, v79
	s_trap 2
.LBB6_596:                              ;   in Loop: Header=BB6_556 Depth=3
	s_or_b32 exec_lo, exec_lo, s41
	;;#ASMSTART
	s_wakeup
	;;#ASMEND
.LBB6_597:                              ;   in Loop: Header=BB6_556 Depth=3
	s_or_b32 exec_lo, exec_lo, s40
.LBB6_598:                              ;   in Loop: Header=BB6_556 Depth=3
	s_and_not1_saveexec_b32 s27, s27
	s_cbranch_execz .LBB6_600
; %bb.599:                              ;   in Loop: Header=BB6_556 Depth=3
	global_wb scope:SCOPE_DEV
	s_wait_storecnt 0x0
	s_wait_loadcnt_dscnt 0x0
	global_inv scope:SCOPE_DEV
	s_barrier_signal -1
	s_barrier_wait -1
.LBB6_600:                              ;   in Loop: Header=BB6_556 Depth=3
	s_or_b32 exec_lo, exec_lo, s27
.LBB6_601:                              ;   in Loop: Header=BB6_556 Depth=3
	s_delay_alu instid0(SALU_CYCLE_1) | instskip(SKIP_1) | instid1(SALU_CYCLE_1)
	s_or_b32 exec_lo, exec_lo, s13
                                        ; implicit-def: $vgpr2
	s_and_saveexec_b32 s13, s47
	s_xor_b32 s13, exec_lo, s13
	s_cbranch_execz .LBB6_613
; %bb.602:                              ;   in Loop: Header=BB6_556 Depth=3
	s_and_saveexec_b32 s27, s3
	s_delay_alu instid0(SALU_CYCLE_1)
	s_xor_b32 s27, exec_lo, s27
	s_cbranch_execz .LBB6_618
; %bb.603:                              ;   in Loop: Header=BB6_556 Depth=3
	s_and_saveexec_b32 s40, s6
	s_cbranch_execz .LBB6_617
; %bb.604:                              ;   in Loop: Header=BB6_556 Depth=3
	s_mov_b32 s60, exec_lo
	s_mov_b32 s41, exec_lo
	v_mbcnt_lo_u32_b32 v2, s60, 0
	;;#ASMSTART
	s_waitcnt lgkmcnt(0) vmcnt(0)
	;;#ASMEND
	s_delay_alu instid0(VALU_DEP_1)
	v_cmpx_eq_u32_e32 0, v2
	s_cbranch_execz .LBB6_606
; %bb.605:                              ;   in Loop: Header=BB6_556 Depth=3
	s_bcnt1_i32_b32 s60, s60
	s_delay_alu instid0(SALU_CYCLE_1)
	v_mov_b32_e32 v2, s60
	s_wait_storecnt 0x0
	s_wait_loadcnt_dscnt 0x0
	ds_add_u64 v0, v[2:3]
	s_trap 2
.LBB6_606:                              ;   in Loop: Header=BB6_556 Depth=3
	s_or_b32 exec_lo, exec_lo, s41
	s_trap 2
	ds_load_b64 v[8:9], v0
	s_wait_dscnt 0x0
	v_add_nc_u64_e32 v[48:49], v[48:49], v[52:53]
	s_mov_b32 s41, exec_lo
	s_delay_alu instid0(VALU_DEP_1)
	v_cmpx_lt_u64_e64 v[8:9], v[48:49]
	s_cbranch_execz .LBB6_616
; %bb.607:                              ;   in Loop: Header=BB6_556 Depth=3
	s_mov_b32 s60, 0
	s_mov_b32 s63, 0
                                        ; implicit-def: $sgpr61
                                        ; implicit-def: $sgpr62
	s_branch .LBB6_609
.LBB6_608:                              ;   in Loop: Header=BB6_609 Depth=4
	s_or_b32 exec_lo, exec_lo, s73
	s_delay_alu instid0(SALU_CYCLE_1) | instskip(NEXT) | instid1(SALU_CYCLE_1)
	s_and_b32 s72, exec_lo, s74
	s_or_b32 s60, s72, s60
	s_and_not1_b32 s61, s61, exec_lo
	s_and_b32 s72, s62, exec_lo
	s_delay_alu instid0(SALU_CYCLE_1)
	s_or_b32 s61, s61, s72
	s_and_not1_b32 exec_lo, exec_lo, s60
	s_cbranch_execz .LBB6_614
.LBB6_609:                              ;   Parent Loop BB6_47 Depth=1
                                        ;     Parent Loop BB6_275 Depth=2
                                        ;       Parent Loop BB6_556 Depth=3
                                        ; =>      This Inner Loop Header: Depth=4
	s_add_co_i32 s63, s63, 1
	s_delay_alu instid0(SALU_CYCLE_1) | instskip(SKIP_1) | instid1(SALU_CYCLE_1)
	s_cmp_lg_u32 s63, 0x2710
	s_cselect_b32 s72, -1, 0
	s_and_b32 vcc_lo, exec_lo, s72
	s_cbranch_vccz .LBB6_611
; %bb.610:                              ;   in Loop: Header=BB6_609 Depth=4
	s_mov_b32 s74, -1
	s_or_b32 s62, s62, exec_lo
	s_and_saveexec_b32 s73, s72
	s_cbranch_execz .LBB6_608
	s_branch .LBB6_612
.LBB6_611:                              ;   in Loop: Header=BB6_609 Depth=4
	s_trap 2
	ds_load_b64 v[8:9], v0
	s_and_not1_b32 s72, s72, exec_lo
	s_mov_b32 s63, 0
	s_wait_storecnt 0x0
	s_wait_loadcnt_dscnt 0x0
	flat_load_b32 v2, v[8:9] scope:SCOPE_SYS
	s_wait_loadcnt_dscnt 0x0
	global_inv scope:SCOPE_SYS
	v_cmp_eq_u32_e32 vcc_lo, 0, v2
	s_and_b32 s73, vcc_lo, exec_lo
	s_delay_alu instid0(SALU_CYCLE_1)
	s_or_b32 s72, s72, s73
	s_mov_b32 s74, -1
	s_or_b32 s62, s62, exec_lo
	s_and_saveexec_b32 s73, s72
	s_cbranch_execz .LBB6_608
.LBB6_612:                              ;   in Loop: Header=BB6_609 Depth=4
	s_sleep 1
	s_trap 2
	ds_load_b64 v[8:9], v0
	s_wait_dscnt 0x0
	s_and_not1_b32 s62, s62, exec_lo
	v_cmp_ge_u64_e32 vcc_lo, v[8:9], v[48:49]
	s_or_not1_b32 s74, vcc_lo, exec_lo
	s_branch .LBB6_608
.LBB6_613:                              ;   in Loop: Header=BB6_556 Depth=3
	s_and_not1_saveexec_b32 s27, s13
	s_cbranch_execnz .LBB6_621
	s_branch .LBB6_624
.LBB6_614:                              ;   in Loop: Header=BB6_556 Depth=3
	s_or_b32 exec_lo, exec_lo, s60
	s_and_saveexec_b32 s60, s61
	s_delay_alu instid0(SALU_CYCLE_1)
	s_xor_b32 s60, exec_lo, s60
	s_cbranch_execz .LBB6_616
; %bb.615:                              ;   in Loop: Header=BB6_556 Depth=3
	ds_store_b32 v0, v79
	s_trap 2
.LBB6_616:                              ;   in Loop: Header=BB6_556 Depth=3
	s_or_b32 exec_lo, exec_lo, s41
	;;#ASMSTART
	s_wakeup
	;;#ASMEND
.LBB6_617:                              ;   in Loop: Header=BB6_556 Depth=3
	s_or_b32 exec_lo, exec_lo, s40
.LBB6_618:                              ;   in Loop: Header=BB6_556 Depth=3
	s_and_not1_saveexec_b32 s27, s27
	s_cbranch_execz .LBB6_620
; %bb.619:                              ;   in Loop: Header=BB6_556 Depth=3
	;;#ASMSTART
	s_waitcnt lgkmcnt(0) vmcnt(0)
	;;#ASMEND
	s_barrier_signal -1
	s_barrier_wait -1
.LBB6_620:                              ;   in Loop: Header=BB6_556 Depth=3
	s_or_b32 exec_lo, exec_lo, s27
	v_and_b32_e32 v2, 16, v30
	s_and_not1_saveexec_b32 s27, s13
	s_cbranch_execz .LBB6_624
.LBB6_621:                              ;   in Loop: Header=BB6_556 Depth=3
	s_trap 2
	ds_load_b32 v2, v0
	v_cmp_lt_i32_e32 vcc_lo, 0, v40
	s_wait_dscnt 0x0
	v_readfirstlane_b32 s13, v2
	v_and_b32_e32 v2, 16, v30
	s_cmp_eq_u32 s13, 0
	s_delay_alu instid0(VALU_DEP_1) | instskip(SKIP_3) | instid1(SALU_CYCLE_1)
	v_cmp_ne_u32_e64 s13, 0, v2
	s_cselect_b32 s40, -1, 0
	v_and_b32_e32 v2, 16, v30
	s_and_b32 s40, vcc_lo, s40
	s_and_b32 s40, s13, s40
	s_delay_alu instid0(SALU_CYCLE_1)
	s_and_saveexec_b32 s13, s40
	s_cbranch_execz .LBB6_623
; %bb.622:                              ;   in Loop: Header=BB6_556 Depth=3
	v_mov_b32_e32 v2, 1
	global_wb scope:SCOPE_SYS
	s_wait_loadcnt 0x0
	s_wait_storecnt 0x0
	global_inv scope:SCOPE_SYS
.LBB6_623:                              ;   in Loop: Header=BB6_556 Depth=3
	s_or_b32 exec_lo, exec_lo, s13
.LBB6_624:                              ;   in Loop: Header=BB6_556 Depth=3
	s_delay_alu instid0(SALU_CYCLE_1) | instskip(NEXT) | instid1(VALU_DEP_1)
	s_or_b32 exec_lo, exec_lo, s27
	v_cmp_ne_u32_e32 vcc_lo, 0, v2
	s_xor_b32 s13, s4, -1
	s_delay_alu instid0(SALU_CYCLE_1) | instskip(NEXT) | instid1(SALU_CYCLE_1)
	s_and_b32 s27, vcc_lo, s13
	s_and_saveexec_b32 s13, s27
	s_cbranch_execz .LBB6_626
; %bb.625:                              ;   in Loop: Header=BB6_556 Depth=3
	global_wb scope:SCOPE_SYS
	s_wait_storecnt 0x0
	s_wait_loadcnt_dscnt 0x0
	flat_store_b32 v[38:39], v79 scope:SCOPE_SYS
.LBB6_626:                              ;   in Loop: Header=BB6_556 Depth=3
	s_wait_xcnt 0x0
	s_or_b32 exec_lo, exec_lo, s13
	v_and_b32_e32 v2, 48, v30
	s_mov_b32 s13, exec_lo
	s_delay_alu instid0(VALU_DEP_1)
	v_cmpx_ne_u32_e32 0, v2
	s_cbranch_execz .LBB6_555
; %bb.627:                              ;   in Loop: Header=BB6_556 Depth=3
	v_add_nc_u64_e32 v[114:115], 2, v[114:115]
	global_wb scope:SCOPE_SYS
	s_wait_storecnt 0x0
	s_wait_loadcnt_dscnt 0x0
	flat_store_b64 v[32:33], v[114:115] scope:SCOPE_SYS
	s_branch .LBB6_555
.LBB6_628:                              ;   in Loop: Header=BB6_47 Depth=1
	v_mul_u64_e32 v[8:9], s[16:17], v[112:113]
	v_mov_b32_e32 v42, 0
	s_delay_alu instid0(VALU_DEP_2) | instskip(NEXT) | instid1(VALU_DEP_1)
	v_sub_nc_u64_e32 v[10:11], v[116:117], v[8:9]
	v_min_i64 v[10:11], v[112:113], v[10:11]
	s_delay_alu instid0(VALU_DEP_1) | instskip(SKIP_1) | instid1(VALU_DEP_2)
	v_max_i32_e32 v92, 0, v10
	v_cmp_lt_i32_e32 vcc_lo, 0, v10
	v_add_nc_u32_e32 v2, 31, v92
	s_and_b32 s13, s57, vcc_lo
	s_delay_alu instid0(VALU_DEP_1) | instskip(NEXT) | instid1(VALU_DEP_1)
	v_lshrrev_b32_e32 v2, 1, v2
	v_and_b32_e32 v11, 0x3ffffff0, v2
	s_delay_alu instid0(VALU_DEP_1)
	v_dual_mov_b32 v2, 0 :: v_dual_max_i32 v40, s45, v11
	s_and_saveexec_b32 s18, s13
	s_cbranch_execz .LBB6_1073
; %bb.629:                              ;   in Loop: Header=BB6_47 Depth=1
	v_add_nc_u64_e32 v[8:9], v[8:9], v[118:119]
	v_mov_b32_e32 v42, 0
	s_mov_b32 s61, 1
	s_mov_b32 s60, -1
	s_mov_b32 s27, 0
	s_delay_alu instid0(VALU_DEP_2)
	v_lshlrev_b64_e32 v[44:45], 1, v[8:9]
	s_branch .LBB6_631
.LBB6_630:                              ;   in Loop: Header=BB6_631 Depth=2
	s_wait_xcnt 0x0
	s_or_b32 exec_lo, exec_lo, s13
	v_dual_add_nc_u32 v42, v40, v42 :: v_dual_mov_b32 v2, s61
	s_xor_b32 s13, s60, -1
	s_mov_b32 s60, 0
	s_mov_b32 s61, 2
	s_delay_alu instid0(VALU_DEP_1) | instskip(SKIP_1) | instid1(SALU_CYCLE_1)
	v_cmp_ge_i32_e32 vcc_lo, v42, v92
	s_or_b32 s13, s13, vcc_lo
	s_and_b32 s13, exec_lo, s13
	s_delay_alu instid0(SALU_CYCLE_1) | instskip(NEXT) | instid1(SALU_CYCLE_1)
	s_or_b32 s27, s13, s27
	s_and_not1_b32 exec_lo, exec_lo, s27
	s_cbranch_execz .LBB6_1072
.LBB6_631:                              ;   Parent Loop BB6_47 Depth=1
                                        ; =>  This Loop Header: Depth=2
                                        ;       Child Loop BB6_639 Depth 3
                                        ;       Child Loop BB6_667 Depth 3
	;; [unrolled: 1-line block ×5, first 2 shown]
                                        ;         Child Loop BB6_815 Depth 4
                                        ;       Child Loop BB6_825 Depth 3
                                        ;       Child Loop BB6_861 Depth 3
                                        ;         Child Loop BB6_866 Depth 4
                                        ;       Child Loop BB6_879 Depth 3
                                        ;       Child Loop BB6_948 Depth 3
	;; [unrolled: 1-line block ×6, first 2 shown]
	s_and_saveexec_b32 s13, s0
	s_cbranch_execz .LBB6_633
; %bb.632:                              ;   in Loop: Header=BB6_631 Depth=2
	s_trap 2
	ds_load_b64 v[12:13], v0
	ds_load_2addr_b64 v[8:11], v0 offset1:1
	s_wait_dscnt 0x1
	v_cmp_ne_u64_e32 vcc_lo, 0, v[12:13]
	v_ashrrev_i32_e32 v43, 31, v42
	v_add_nc_u64_e32 v[16:17], v[12:13], v[44:45]
	s_wait_dscnt 0x0
	v_add_nc_u64_e32 v[8:9], v[8:9], v[44:45]
	v_add_nc_u64_e32 v[10:11], v[10:11], v[44:45]
	v_lshlrev_b64_e32 v[14:15], 1, v[42:43]
	s_delay_alu instid0(VALU_DEP_1) | instskip(NEXT) | instid1(VALU_DEP_4)
	v_add_nc_u64_e32 v[16:17], v[16:17], v[14:15]
	v_add_nc_u64_e32 v[8:9], v[8:9], v[14:15]
	s_delay_alu instid0(VALU_DEP_4) | instskip(NEXT) | instid1(VALU_DEP_3)
	v_add_nc_u64_e32 v[10:11], v[10:11], v[14:15]
	v_dual_cndmask_b32 v13, 0, v17 :: v_dual_cndmask_b32 v12, 0, v16
	ds_store_b64 v0, v[8:9]
	ds_store_b64 v0, v[10:11]
	;; [unrolled: 1-line block ×3, first 2 shown]
.LBB6_633:                              ;   in Loop: Header=BB6_631 Depth=2
	s_or_b32 exec_lo, exec_lo, s13
	v_sub_nc_u32_e32 v2, v92, v42
	v_and_b32_e32 v8, 12, v30
	s_mov_b32 s14, exec_lo
	s_delay_alu instid0(VALU_DEP_2) | instskip(NEXT) | instid1(VALU_DEP_2)
	v_min_i32_e32 v40, v40, v2
	v_cmpx_ne_u32_e32 0, v8
	s_cbranch_execz .LBB6_659
; %bb.634:                              ;   in Loop: Header=BB6_631 Depth=2
	v_and_b32_e32 v2, 8, v30
	v_add_nc_u64_e32 v[8:9], 2, v[114:115]
	s_mov_b32 s15, exec_lo
	s_wait_loadcnt_dscnt 0x1
	s_delay_alu instid0(VALU_DEP_2) | instskip(NEXT) | instid1(VALU_DEP_1)
	v_add_nc_u64_e32 v[10:11], v[50:51], v[2:3]
	v_cmpx_lt_u64_e64 v[10:11], v[8:9]
	s_cbranch_execz .LBB6_646
; %bb.635:                              ;   in Loop: Header=BB6_631 Depth=2
	v_and_b32_e32 v10, 64, v30
	s_mov_b32 s40, 0
	s_mov_b32 s72, 0
                                        ; implicit-def: $sgpr41
                                        ; implicit-def: $sgpr62
                                        ; implicit-def: $sgpr63
	s_delay_alu instid0(VALU_DEP_1)
	v_cmp_eq_u32_e32 vcc_lo, 0, v10
	s_branch .LBB6_639
.LBB6_636:                              ;   in Loop: Header=BB6_639 Depth=3
	s_wait_loadcnt_dscnt 0x0
	v_add_nc_u64_e32 v[12:13], v[50:51], v[2:3]
	s_or_b32 s75, s75, exec_lo
	s_delay_alu instid0(VALU_DEP_1)
	v_cmp_ge_u64_e64 s13, v[12:13], v[8:9]
	s_or_not1_b32 s74, s13, exec_lo
.LBB6_637:                              ;   in Loop: Header=BB6_639 Depth=3
	s_or_b32 exec_lo, exec_lo, s77
	s_delay_alu instid0(SALU_CYCLE_1)
	s_and_not1_b32 s13, s63, exec_lo
	s_and_b32 s63, s75, exec_lo
	s_and_not1_b32 s62, s62, exec_lo
	s_and_b32 s74, s74, exec_lo
	s_or_b32 s63, s13, s63
	s_or_b32 s62, s62, s74
.LBB6_638:                              ;   in Loop: Header=BB6_639 Depth=3
	s_or_b32 exec_lo, exec_lo, s73
	s_delay_alu instid0(SALU_CYCLE_1) | instskip(NEXT) | instid1(SALU_CYCLE_1)
	s_and_b32 s13, exec_lo, s62
	s_or_b32 s40, s13, s40
	s_and_not1_b32 s13, s41, exec_lo
	s_and_b32 s41, s63, exec_lo
	s_delay_alu instid0(SALU_CYCLE_1)
	s_or_b32 s41, s13, s41
	s_and_not1_b32 exec_lo, exec_lo, s40
	s_cbranch_execz .LBB6_643
.LBB6_639:                              ;   Parent Loop BB6_47 Depth=1
                                        ;     Parent Loop BB6_631 Depth=2
                                        ; =>    This Inner Loop Header: Depth=3
	s_sleep 1
	s_wait_loadcnt_dscnt 0x0
	flat_load_b64 v[50:51], v[32:33] scope:SCOPE_SYS
	s_or_b32 s63, s63, exec_lo
	s_or_b32 s62, s62, exec_lo
                                        ; implicit-def: $vgpr10
	s_wait_xcnt 0x0
	s_and_saveexec_b32 s73, vcc_lo
	s_cbranch_execz .LBB6_638
; %bb.640:                              ;   in Loop: Header=BB6_639 Depth=3
	s_cmp_lt_i32 s72, 0x270f
	s_mov_b32 s74, -1
	s_cselect_b32 s76, -1, 0
	s_cmp_gt_i32 s72, 0x270e
	s_cbranch_scc0 .LBB6_642
; %bb.641:                              ;   in Loop: Header=BB6_639 Depth=3
	s_trap 2
	ds_load_b64 v[10:11], v0
	s_and_not1_b32 s72, s76, exec_lo
	s_mov_b32 s75, 0
	s_wait_storecnt 0x0
	s_wait_loadcnt_dscnt 0x0
	flat_load_b32 v10, v[10:11] scope:SCOPE_SYS
	s_wait_loadcnt_dscnt 0x0
	global_inv scope:SCOPE_SYS
	v_cmp_eq_u32_e64 s13, 0, v10
	s_and_b32 s13, s13, exec_lo
	s_delay_alu instid0(SALU_CYCLE_1)
	s_or_b32 s76, s72, s13
	s_mov_b32 s72, 0
	s_and_saveexec_b32 s77, s76
	s_cbranch_execz .LBB6_637
	s_branch .LBB6_636
.LBB6_642:                              ;   in Loop: Header=BB6_639 Depth=3
	s_add_co_i32 s72, s72, 1
	s_mov_b32 s75, -1
                                        ; implicit-def: $vgpr10
	s_and_saveexec_b32 s77, s76
	s_cbranch_execz .LBB6_637
	s_branch .LBB6_636
.LBB6_643:                              ;   in Loop: Header=BB6_631 Depth=2
	s_or_b32 exec_lo, exec_lo, s40
	s_xor_b32 s13, s41, -1
	s_delay_alu instid0(SALU_CYCLE_1) | instskip(NEXT) | instid1(SALU_CYCLE_1)
	s_and_saveexec_b32 s40, s13
	s_xor_b32 s13, exec_lo, s40
	s_cbranch_execz .LBB6_645
; %bb.644:                              ;   in Loop: Header=BB6_631 Depth=2
	v_or_b32_e32 v30, 64, v30
	s_wait_storecnt 0x0
	s_wait_loadcnt_dscnt 0x0
	ds_store_b32 v0, v10
	s_trap 2
.LBB6_645:                              ;   in Loop: Header=BB6_631 Depth=2
	s_or_b32 exec_lo, exec_lo, s13
.LBB6_646:                              ;   in Loop: Header=BB6_631 Depth=2
	s_delay_alu instid0(SALU_CYCLE_1) | instskip(SKIP_2) | instid1(VALU_DEP_1)
	s_or_b32 exec_lo, exec_lo, s15
	v_and_b32_e32 v10, 0x108, v30
	;;#ASMSTART
	s_wakeup
	;;#ASMEND
	v_cmp_ne_u32_e32 vcc_lo, 0x108, v10
                                        ; implicit-def: $vgpr10_vgpr11
	s_and_saveexec_b32 s13, vcc_lo
	s_delay_alu instid0(SALU_CYCLE_1)
	s_xor_b32 s13, exec_lo, s13
; %bb.647:                              ;   in Loop: Header=BB6_631 Depth=2
	v_dual_mov_b32 v11, v3 :: v_dual_bitop2_b32 v10, 7, v114 bitop3:0x40
                                        ; implicit-def: $vgpr114_vgpr115
; %bb.648:                              ;   in Loop: Header=BB6_631 Depth=2
	s_and_not1_saveexec_b32 s13, s13
	s_cbranch_execz .LBB6_650
; %bb.649:                              ;   in Loop: Header=BB6_631 Depth=2
	v_dual_ashrrev_i32 v41, 31, v40 :: v_dual_bitop2_b32 v10, 7, v114 bitop3:0x40
	v_mov_b32_e32 v11, v3
	s_delay_alu instid0(VALU_DEP_2) | instskip(NEXT) | instid1(VALU_DEP_3)
	v_mad_nc_u64_u32 v[12:13], v10, 24, v[6:7]
	v_lshlrev_b64_e32 v[14:15], 1, v[40:41]
	flat_store_b64 v[12:13], v[14:15] offset:8
.LBB6_650:                              ;   in Loop: Header=BB6_631 Depth=2
	s_wait_xcnt 0x0
	s_or_b32 exec_lo, exec_lo, s13
	v_and_b32_e32 v12, 0x100, v30
	s_mov_b32 s13, -1
	s_delay_alu instid0(VALU_DEP_1)
	v_cmp_ne_u32_e32 vcc_lo, 0, v12
                                        ; implicit-def: $vgpr12_vgpr13
	s_and_saveexec_b32 s15, vcc_lo
	s_cbranch_execz .LBB6_654
; %bb.651:                              ;   in Loop: Header=BB6_631 Depth=2
	v_mad_nc_u64_u32 v[14:15], v10, 24, v[6:7]
	s_delay_alu instid0(VALU_DEP_1)
	v_mad_u32 v15, v11, 24, v15
	flat_load_b32 v12, v[14:15]
	s_wait_loadcnt_dscnt 0x0
	v_cmp_eq_u32_e64 s13, 1, v12
	v_cmp_ne_u32_e32 vcc_lo, 1, v12
                                        ; implicit-def: $vgpr12_vgpr13
	s_wait_xcnt 0x0
	s_and_saveexec_b32 s40, s13
	s_cbranch_execz .LBB6_653
; %bb.652:                              ;   in Loop: Header=BB6_631 Depth=2
	flat_load_b32 v12, v[14:15] offset:4 scope:SCOPE_SYS
	s_wait_loadcnt_dscnt 0x0
	v_ashrrev_i32_e32 v13, 31, v12
	s_delay_alu instid0(VALU_DEP_1)
	v_lshrrev_b64 v[12:13], 1, v[12:13]
.LBB6_653:                              ;   in Loop: Header=BB6_631 Depth=2
	s_wait_xcnt 0x0
	s_or_b32 exec_lo, exec_lo, s40
	s_delay_alu instid0(SALU_CYCLE_1)
	s_or_not1_b32 s13, vcc_lo, exec_lo
.LBB6_654:                              ;   in Loop: Header=BB6_631 Depth=2
	s_or_b32 exec_lo, exec_lo, s15
	s_and_saveexec_b32 s15, s13
; %bb.655:                              ;   in Loop: Header=BB6_631 Depth=2
	v_mul_u64_e32 v[12:13], v[10:11], v[34:35]
; %bb.656:                              ;   in Loop: Header=BB6_631 Depth=2
	s_or_b32 exec_lo, exec_lo, s15
	v_cmp_eq_u32_e32 vcc_lo, 0, v2
	v_and_b32_e32 v14, 0x2000, v30
	s_delay_alu instid0(VALU_DEP_3) | instskip(SKIP_2) | instid1(VALU_DEP_1)
	v_lshl_add_u64 v[10:11], v[12:13], 1, v[36:37]
	s_mov_b32 s13, exec_lo
	v_cndmask_b32_e32 v2, 0xd0, v88, vcc_lo
	v_add_nc_u32_e32 v2, v0, v2
	ds_store_b64 v2, v[10:11] offset:584
	v_cmpx_ne_u32_e32 0, v14
	s_cbranch_execz .LBB6_658
; %bb.657:                              ;   in Loop: Header=BB6_631 Depth=2
	ds_load_b64 v[10:11], v0 offset:872
	s_wait_dscnt 0x0
	v_add_nc_u64_e32 v[10:11], 1, v[10:11]
	ds_store_b64 v0, v[10:11] offset:872
.LBB6_658:                              ;   in Loop: Header=BB6_631 Depth=2
	s_or_b32 exec_lo, exec_lo, s13
	v_mov_b64_e32 v[114:115], v[8:9]
.LBB6_659:                              ;   in Loop: Header=BB6_631 Depth=2
	s_or_b32 exec_lo, exec_lo, s14
	s_and_saveexec_b32 s13, s2
	s_cbranch_execz .LBB6_678
; %bb.660:                              ;   in Loop: Header=BB6_631 Depth=2
	s_and_saveexec_b32 s14, s3
	s_delay_alu instid0(SALU_CYCLE_1)
	s_xor_b32 s14, exec_lo, s14
	s_cbranch_execz .LBB6_675
; %bb.661:                              ;   in Loop: Header=BB6_631 Depth=2
	s_and_saveexec_b32 s15, s6
	s_cbranch_execz .LBB6_674
; %bb.662:                              ;   in Loop: Header=BB6_631 Depth=2
	s_mov_b32 s41, exec_lo
	s_mov_b32 s40, exec_lo
	v_mbcnt_lo_u32_b32 v2, s41, 0
	global_wb scope:SCOPE_DEV
	s_wait_storecnt 0x0
	s_wait_loadcnt_dscnt 0x0
	global_inv scope:SCOPE_DEV
	v_cmpx_eq_u32_e32 0, v2
	s_cbranch_execz .LBB6_664
; %bb.663:                              ;   in Loop: Header=BB6_631 Depth=2
	s_bcnt1_i32_b32 s41, s41
	s_delay_alu instid0(SALU_CYCLE_1)
	v_mov_b32_e32 v2, s41
	s_wait_loadcnt 0x0
	ds_add_u64 v0, v[2:3]
	s_trap 2
.LBB6_664:                              ;   in Loop: Header=BB6_631 Depth=2
	s_or_b32 exec_lo, exec_lo, s40
	s_trap 2
	ds_load_b64 v[8:9], v0
	s_wait_dscnt 0x0
	v_add_nc_u64_e32 v[48:49], v[48:49], v[52:53]
	s_mov_b32 s40, exec_lo
	s_delay_alu instid0(VALU_DEP_1)
	v_cmpx_lt_u64_e64 v[8:9], v[48:49]
	s_cbranch_execz .LBB6_673
; %bb.665:                              ;   in Loop: Header=BB6_631 Depth=2
	s_mov_b32 s41, 0
	s_mov_b32 s72, 0
                                        ; implicit-def: $sgpr62
                                        ; implicit-def: $sgpr63
	s_branch .LBB6_667
.LBB6_666:                              ;   in Loop: Header=BB6_667 Depth=3
	s_or_b32 exec_lo, exec_lo, s74
	s_delay_alu instid0(SALU_CYCLE_1) | instskip(NEXT) | instid1(SALU_CYCLE_1)
	s_and_b32 s73, exec_lo, s75
	s_or_b32 s41, s73, s41
	s_and_not1_b32 s62, s62, exec_lo
	s_and_b32 s73, s63, exec_lo
	s_delay_alu instid0(SALU_CYCLE_1)
	s_or_b32 s62, s62, s73
	s_and_not1_b32 exec_lo, exec_lo, s41
	s_cbranch_execz .LBB6_671
.LBB6_667:                              ;   Parent Loop BB6_47 Depth=1
                                        ;     Parent Loop BB6_631 Depth=2
                                        ; =>    This Inner Loop Header: Depth=3
	s_add_co_i32 s72, s72, 1
	s_delay_alu instid0(SALU_CYCLE_1) | instskip(SKIP_1) | instid1(SALU_CYCLE_1)
	s_cmp_lg_u32 s72, 0x2710
	s_cselect_b32 s73, -1, 0
	s_and_b32 vcc_lo, exec_lo, s73
	s_cbranch_vccz .LBB6_669
; %bb.668:                              ;   in Loop: Header=BB6_667 Depth=3
	s_mov_b32 s75, -1
	s_or_b32 s63, s63, exec_lo
	s_and_saveexec_b32 s74, s73
	s_cbranch_execz .LBB6_666
	s_branch .LBB6_670
.LBB6_669:                              ;   in Loop: Header=BB6_667 Depth=3
	s_trap 2
	ds_load_b64 v[8:9], v0
	s_and_not1_b32 s73, s73, exec_lo
	s_mov_b32 s72, 0
	s_wait_loadcnt_dscnt 0x0
	flat_load_b32 v2, v[8:9] scope:SCOPE_SYS
	s_wait_loadcnt_dscnt 0x0
	global_inv scope:SCOPE_SYS
	v_cmp_eq_u32_e32 vcc_lo, 0, v2
	s_and_b32 s74, vcc_lo, exec_lo
	s_delay_alu instid0(SALU_CYCLE_1)
	s_or_b32 s73, s73, s74
	s_mov_b32 s75, -1
	s_or_b32 s63, s63, exec_lo
	s_and_saveexec_b32 s74, s73
	s_cbranch_execz .LBB6_666
.LBB6_670:                              ;   in Loop: Header=BB6_667 Depth=3
	s_sleep 1
	s_trap 2
	ds_load_b64 v[8:9], v0
	s_wait_dscnt 0x0
	s_and_not1_b32 s63, s63, exec_lo
	v_cmp_ge_u64_e32 vcc_lo, v[8:9], v[48:49]
	s_or_not1_b32 s75, vcc_lo, exec_lo
	s_branch .LBB6_666
.LBB6_671:                              ;   in Loop: Header=BB6_631 Depth=2
	s_or_b32 exec_lo, exec_lo, s41
	s_and_saveexec_b32 s41, s62
	s_delay_alu instid0(SALU_CYCLE_1)
	s_xor_b32 s41, exec_lo, s41
	s_cbranch_execz .LBB6_673
; %bb.672:                              ;   in Loop: Header=BB6_631 Depth=2
	ds_store_b32 v0, v79
	s_trap 2
.LBB6_673:                              ;   in Loop: Header=BB6_631 Depth=2
	s_or_b32 exec_lo, exec_lo, s40
	;;#ASMSTART
	s_wakeup
	;;#ASMEND
.LBB6_674:                              ;   in Loop: Header=BB6_631 Depth=2
	s_or_b32 exec_lo, exec_lo, s15
.LBB6_675:                              ;   in Loop: Header=BB6_631 Depth=2
	s_and_not1_saveexec_b32 s14, s14
	s_cbranch_execz .LBB6_677
; %bb.676:                              ;   in Loop: Header=BB6_631 Depth=2
	global_wb scope:SCOPE_DEV
	s_wait_storecnt 0x0
	s_wait_loadcnt_dscnt 0x0
	global_inv scope:SCOPE_DEV
	s_barrier_signal -1
	s_barrier_wait -1
.LBB6_677:                              ;   in Loop: Header=BB6_631 Depth=2
	s_or_b32 exec_lo, exec_lo, s14
.LBB6_678:                              ;   in Loop: Header=BB6_631 Depth=2
	s_delay_alu instid0(SALU_CYCLE_1) | instskip(SKIP_4) | instid1(VALU_DEP_1)
	s_or_b32 exec_lo, exec_lo, s13
	s_trap 2
	ds_load_b32 v8, v0
	v_and_b32_e32 v2, 0x4000, v30
	s_xor_b32 s13, s1, -1
	v_cmp_ne_u32_e32 vcc_lo, 0, v2
	s_and_b32 s14, s13, vcc_lo
	s_delay_alu instid0(SALU_CYCLE_1)
	s_and_saveexec_b32 s13, s14
	s_cbranch_execz .LBB6_697
; %bb.679:                              ;   in Loop: Header=BB6_631 Depth=2
	s_and_saveexec_b32 s14, s3
	s_delay_alu instid0(SALU_CYCLE_1)
	s_xor_b32 s14, exec_lo, s14
	s_cbranch_execz .LBB6_694
; %bb.680:                              ;   in Loop: Header=BB6_631 Depth=2
	s_and_saveexec_b32 s15, s6
	s_cbranch_execz .LBB6_693
; %bb.681:                              ;   in Loop: Header=BB6_631 Depth=2
	s_mov_b32 s41, exec_lo
	s_mov_b32 s40, exec_lo
	v_mbcnt_lo_u32_b32 v2, s41, 0
	global_wb scope:SCOPE_DEV
	s_wait_storecnt 0x0
	s_wait_loadcnt_dscnt 0x0
	global_inv scope:SCOPE_DEV
	v_cmpx_eq_u32_e32 0, v2
	s_cbranch_execz .LBB6_683
; %bb.682:                              ;   in Loop: Header=BB6_631 Depth=2
	s_bcnt1_i32_b32 s41, s41
	s_delay_alu instid0(SALU_CYCLE_1)
	v_mov_b32_e32 v2, s41
	s_wait_loadcnt 0x0
	ds_add_u64 v0, v[2:3]
	s_trap 2
.LBB6_683:                              ;   in Loop: Header=BB6_631 Depth=2
	s_or_b32 exec_lo, exec_lo, s40
	s_trap 2
	ds_load_b64 v[10:11], v0
	s_wait_dscnt 0x0
	v_add_nc_u64_e32 v[48:49], v[48:49], v[52:53]
	s_mov_b32 s40, exec_lo
	s_delay_alu instid0(VALU_DEP_1)
	v_cmpx_lt_u64_e64 v[10:11], v[48:49]
	s_cbranch_execz .LBB6_692
; %bb.684:                              ;   in Loop: Header=BB6_631 Depth=2
	s_mov_b32 s41, 0
	s_mov_b32 s72, 0
                                        ; implicit-def: $sgpr62
                                        ; implicit-def: $sgpr63
	s_branch .LBB6_686
.LBB6_685:                              ;   in Loop: Header=BB6_686 Depth=3
	s_or_b32 exec_lo, exec_lo, s74
	s_delay_alu instid0(SALU_CYCLE_1) | instskip(NEXT) | instid1(SALU_CYCLE_1)
	s_and_b32 s73, exec_lo, s75
	s_or_b32 s41, s73, s41
	s_and_not1_b32 s62, s62, exec_lo
	s_and_b32 s73, s63, exec_lo
	s_delay_alu instid0(SALU_CYCLE_1)
	s_or_b32 s62, s62, s73
	s_and_not1_b32 exec_lo, exec_lo, s41
	s_cbranch_execz .LBB6_690
.LBB6_686:                              ;   Parent Loop BB6_47 Depth=1
                                        ;     Parent Loop BB6_631 Depth=2
                                        ; =>    This Inner Loop Header: Depth=3
	s_add_co_i32 s72, s72, 1
	s_delay_alu instid0(SALU_CYCLE_1) | instskip(SKIP_1) | instid1(SALU_CYCLE_1)
	s_cmp_lg_u32 s72, 0x2710
	s_cselect_b32 s73, -1, 0
	s_and_b32 vcc_lo, exec_lo, s73
	s_cbranch_vccz .LBB6_688
; %bb.687:                              ;   in Loop: Header=BB6_686 Depth=3
	s_mov_b32 s75, -1
	s_or_b32 s63, s63, exec_lo
	s_and_saveexec_b32 s74, s73
	s_cbranch_execz .LBB6_685
	s_branch .LBB6_689
.LBB6_688:                              ;   in Loop: Header=BB6_686 Depth=3
	s_trap 2
	ds_load_b64 v[10:11], v0
	s_and_not1_b32 s73, s73, exec_lo
	s_mov_b32 s72, 0
	s_wait_loadcnt_dscnt 0x0
	flat_load_b32 v2, v[10:11] scope:SCOPE_SYS
	s_wait_loadcnt_dscnt 0x0
	global_inv scope:SCOPE_SYS
	v_cmp_eq_u32_e32 vcc_lo, 0, v2
	s_and_b32 s74, vcc_lo, exec_lo
	s_delay_alu instid0(SALU_CYCLE_1)
	s_or_b32 s73, s73, s74
	s_mov_b32 s75, -1
	s_or_b32 s63, s63, exec_lo
	s_and_saveexec_b32 s74, s73
	s_cbranch_execz .LBB6_685
.LBB6_689:                              ;   in Loop: Header=BB6_686 Depth=3
	s_sleep 1
	s_trap 2
	ds_load_b64 v[10:11], v0
	s_wait_dscnt 0x0
	s_and_not1_b32 s63, s63, exec_lo
	v_cmp_ge_u64_e32 vcc_lo, v[10:11], v[48:49]
	s_or_not1_b32 s75, vcc_lo, exec_lo
	s_branch .LBB6_685
.LBB6_690:                              ;   in Loop: Header=BB6_631 Depth=2
	s_or_b32 exec_lo, exec_lo, s41
	s_and_saveexec_b32 s41, s62
	s_delay_alu instid0(SALU_CYCLE_1)
	s_xor_b32 s41, exec_lo, s41
	s_cbranch_execz .LBB6_692
; %bb.691:                              ;   in Loop: Header=BB6_631 Depth=2
	ds_store_b32 v0, v79
	s_trap 2
.LBB6_692:                              ;   in Loop: Header=BB6_631 Depth=2
	s_or_b32 exec_lo, exec_lo, s40
	;;#ASMSTART
	s_wakeup
	;;#ASMEND
.LBB6_693:                              ;   in Loop: Header=BB6_631 Depth=2
	s_or_b32 exec_lo, exec_lo, s15
.LBB6_694:                              ;   in Loop: Header=BB6_631 Depth=2
	s_and_not1_saveexec_b32 s14, s14
	s_cbranch_execz .LBB6_696
; %bb.695:                              ;   in Loop: Header=BB6_631 Depth=2
	global_wb scope:SCOPE_DEV
	s_wait_storecnt 0x0
	s_wait_loadcnt_dscnt 0x0
	global_inv scope:SCOPE_DEV
	s_barrier_signal -1
	s_barrier_wait -1
.LBB6_696:                              ;   in Loop: Header=BB6_631 Depth=2
	s_or_b32 exec_lo, exec_lo, s14
.LBB6_697:                              ;   in Loop: Header=BB6_631 Depth=2
	s_delay_alu instid0(SALU_CYCLE_1)
	s_or_b32 exec_lo, exec_lo, s13
	s_trap 2
	ds_load_b64 v[46:47], v0
	s_wait_dscnt 0x0
	v_cmp_eq_u64_e32 vcc_lo, 0, v[46:47]
	s_cbranch_vccnz .LBB6_706
; %bb.698:                              ;   in Loop: Header=BB6_631 Depth=2
	s_trap 2
	ds_load_b64 v[56:57], v0
	s_wait_dscnt 0x0
	v_cmp_eq_u64_e32 vcc_lo, 0, v[56:57]
	s_cbranch_vccnz .LBB6_706
; %bb.699:                              ;   in Loop: Header=BB6_631 Depth=2
	s_trap 2
	ds_load_b64 v[58:59], v0
	v_cmp_eq_u32_e32 vcc_lo, 0, v8
	s_mov_b32 s13, -1
	v_cndmask_b32_e32 v2, 0, v40, vcc_lo
	s_delay_alu instid0(VALU_DEP_1)
	v_lshlrev_b32_e32 v41, 1, v2
	s_wait_dscnt 0x0
	v_cmp_ne_u64_e32 vcc_lo, 0, v[58:59]
	s_cbranch_vccz .LBB6_869
; %bb.700:                              ;   in Loop: Header=BB6_631 Depth=2
	s_and_saveexec_b32 s14, s12
	s_cbranch_execz .LBB6_702
; %bb.701:                              ;   in Loop: Header=BB6_631 Depth=2
	ds_load_b32 v8, v0 offset:720
	s_wait_dscnt 0x0
	v_and_b32_e32 v8, 15, v8
	s_delay_alu instid0(VALU_DEP_1)
	v_cmp_eq_u32_e32 vcc_lo, 0, v8
	s_or_not1_b32 s13, vcc_lo, exec_lo
.LBB6_702:                              ;   in Loop: Header=BB6_631 Depth=2
	s_or_b32 exec_lo, exec_lo, s14
	s_and_saveexec_b32 s14, s12
	s_cbranch_execz .LBB6_704
; %bb.703:                              ;   in Loop: Header=BB6_631 Depth=2
	ds_load_b32 v8, v0 offset:784
	s_wait_dscnt 0x0
	v_and_b32_e32 v8, 15, v8
	s_delay_alu instid0(VALU_DEP_1) | instskip(SKIP_3) | instid1(SALU_CYCLE_1)
	v_cmp_eq_u32_e32 vcc_lo, 0, v8
	s_and_b32 s15, s13, vcc_lo
	s_and_not1_b32 s13, s13, exec_lo
	s_and_b32 s15, s15, exec_lo
	s_or_b32 s13, s13, s15
.LBB6_704:                              ;   in Loop: Header=BB6_631 Depth=2
	s_or_b32 exec_lo, exec_lo, s14
	s_xor_b32 s13, s13, -1
	v_dual_mov_b32 v16, 0 :: v_dual_mov_b32 v17, v41
	v_cndmask_b32_e64 v8, 0, 1, s13
	v_mov_b32_e32 v18, v0
	s_mov_b32 s13, -1
	s_delay_alu instid0(VALU_DEP_2)
	v_cmp_ne_u32_e32 vcc_lo, 0, v8
	v_mov_b32_e32 v8, v90
	s_cbranch_vccz .LBB6_711
; %bb.705:                              ;   in Loop: Header=BB6_631 Depth=2
	s_and_saveexec_b32 s15, s13
	s_cbranch_execnz .LBB6_822
	s_branch .LBB6_868
.LBB6_706:                              ;   in Loop: Header=BB6_631 Depth=2
	s_mov_b32 s13, 0
	s_and_saveexec_b32 s14, s2
	s_cbranch_execnz .LBB6_1031
.LBB6_707:                              ;   in Loop: Header=BB6_631 Depth=2
	s_or_b32 exec_lo, exec_lo, s14
                                        ; implicit-def: $vgpr2
	s_and_saveexec_b32 s14, s10
	s_delay_alu instid0(SALU_CYCLE_1)
	s_xor_b32 s14, exec_lo, s14
	s_cbranch_execz .LBB6_1049
.LBB6_708:                              ;   in Loop: Header=BB6_631 Depth=2
	v_and_b32_e32 v2, 16, v30
	s_delay_alu instid0(VALU_DEP_1) | instskip(SKIP_2) | instid1(SALU_CYCLE_1)
	v_cmp_ne_u32_e32 vcc_lo, 0, v2
	v_and_b32_e32 v2, 16, v30
	s_and_b32 s15, vcc_lo, s13
	s_and_saveexec_b32 s13, s15
	s_cbranch_execz .LBB6_710
; %bb.709:                              ;   in Loop: Header=BB6_631 Depth=2
	v_mov_b32_e32 v2, 1
	global_wb scope:SCOPE_SYS
	s_wait_storecnt 0x0
	s_wait_loadcnt_dscnt 0x0
	global_inv scope:SCOPE_SYS
.LBB6_710:                              ;   in Loop: Header=BB6_631 Depth=2
	s_or_b32 exec_lo, exec_lo, s13
	s_and_not1_saveexec_b32 s13, s14
	s_cbranch_execz .LBB6_1068
	s_branch .LBB6_1050
.LBB6_711:                              ;   in Loop: Header=BB6_631 Depth=2
	v_ashrrev_i32_e32 v8, 31, v41
	s_mov_b32 s13, exec_lo
	s_delay_alu instid0(VALU_DEP_1) | instskip(NEXT) | instid1(VALU_DEP_1)
	v_lshrrev_b32_e32 v8, 22, v8
	v_add_nc_u32_e32 v8, v41, v8
	s_delay_alu instid0(VALU_DEP_1) | instskip(NEXT) | instid1(VALU_DEP_1)
	v_ashrrev_i32_e32 v93, 10, v8
	v_sub_nc_u32_e32 v43, v93, v90
	s_delay_alu instid0(VALU_DEP_1)
	v_cmpx_lt_i32_e32 0, v43
	s_cbranch_execz .LBB6_779
; %bb.712:                              ;   in Loop: Header=BB6_631 Depth=2
	s_trap 2
	ds_load_b64 v[8:9], v0
	v_add_nc_u64_e32 v[60:61], v[56:57], v[102:103]
	v_add_nc_u64_e32 v[62:63], v[58:59], v[102:103]
	;; [unrolled: 1-line block ×3, first 2 shown]
	s_mov_b32 s14, 0
	s_wait_dscnt 0x0
	v_add_nc_u64_e32 v[74:75], v[8:9], v[102:103]
	s_branch .LBB6_714
.LBB6_713:                              ;   in Loop: Header=BB6_714 Depth=3
	s_or_b32 exec_lo, exec_lo, s15
	v_dual_lshrrev_b32 v8, 16, v76 :: v_dual_lshrrev_b32 v9, 16, v94
	v_dual_lshrrev_b32 v15, 16, v77 :: v_dual_sub_nc_u32 v43, v43, v52
	v_add_nc_u64_e32 v[72:73], v[72:73], v[82:83]
	s_delay_alu instid0(VALU_DEP_3)
	v_and_or_b32 v105, 0xffff0000, v21, v8
	v_lshrrev_b32_e32 v8, 16, v22
	v_and_or_b32 v104, 0xffff0000, v20, v9
	v_and_or_b32 v106, 0xffff0000, v18, v15
	v_dual_lshrrev_b32 v9, 16, v16 :: v_dual_lshrrev_b32 v15, 16, v23
	v_dual_lshrrev_b32 v16, 16, v17 :: v_dual_lshrrev_b32 v14, 16, v14
	v_and_or_b32 v107, 0xffff0000, v19, v8
	s_delay_alu instid0(VALU_DEP_3) | instskip(NEXT) | instid1(VALU_DEP_4)
	v_and_or_b32 v9, 0xffff0000, v13, v9
	v_and_or_b32 v8, 0xffff0000, v12, v15
	s_delay_alu instid0(VALU_DEP_4)
	v_and_or_b32 v10, 0xffff0000, v10, v16
	v_and_or_b32 v11, 0xffff0000, v11, v14
	s_clause 0x1
	global_store_b128 v[60:61], v[104:107], off th:TH_STORE_NT
	global_store_b128 v[60:61], v[8:11], off offset:512 th:TH_STORE_NT
	s_clause 0x1
	global_store_b128 v[62:63], v[104:107], off th:TH_STORE_NT
	global_store_b128 v[62:63], v[8:11], off offset:512 th:TH_STORE_NT
	v_add_nc_u64_e32 v[74:75], v[74:75], v[82:83]
	s_wait_xcnt 0x2
	v_add_nc_u64_e32 v[60:61], v[60:61], v[82:83]
	v_cmp_gt_i32_e32 vcc_lo, 1, v43
	s_wait_xcnt 0x0
	v_add_nc_u64_e32 v[62:63], v[62:63], v[82:83]
	s_or_b32 s14, vcc_lo, s14
	s_delay_alu instid0(SALU_CYCLE_1)
	s_and_not1_b32 exec_lo, exec_lo, s14
	s_cbranch_execz .LBB6_778
.LBB6_714:                              ;   Parent Loop BB6_47 Depth=1
                                        ;     Parent Loop BB6_631 Depth=2
                                        ; =>    This Inner Loop Header: Depth=3
	global_load_b128 v[16:19], v[72:73], off th:TH_LOAD_NT
	global_load_b128 v[20:23], v[74:75], off th:TH_LOAD_NT
	global_load_b128 v[8:11], v[72:73], off offset:512 th:TH_LOAD_NT
	global_load_b128 v[12:15], v[74:75], off offset:512 th:TH_LOAD_NT
	s_mov_b32 s15, exec_lo
                                        ; implicit-def: $vgpr94
	s_wait_loadcnt 0x3
	v_lshlrev_b32_e32 v76, 16, v16
	s_wait_loadcnt 0x2
	v_lshlrev_b32_e32 v77, 16, v20
	s_delay_alu instid0(VALU_DEP_1) | instskip(NEXT) | instid1(VALU_DEP_1)
	v_mul_f32_e32 v76, v76, v77
	v_and_b32_e32 v77, 0x7f800000, v76
	s_wait_xcnt 0x0
	s_delay_alu instid0(VALU_DEP_1)
	v_cmpx_ne_u32_e32 0x7f800000, v77
	s_xor_b32 s15, exec_lo, s15
; %bb.715:                              ;   in Loop: Header=BB6_714 Depth=3
	v_bfe_u32 v77, v76, 16, 1
	s_delay_alu instid0(VALU_DEP_1)
	v_add3_u32 v94, v76, v77, 0x7fff
                                        ; implicit-def: $vgpr76
; %bb.716:                              ;   in Loop: Header=BB6_714 Depth=3
	s_and_not1_saveexec_b32 s15, s15
; %bb.717:                              ;   in Loop: Header=BB6_714 Depth=3
	v_and_b32_e32 v77, 0xffff, v76
	v_or_b32_e32 v94, 0x10000, v76
	s_delay_alu instid0(VALU_DEP_2) | instskip(NEXT) | instid1(VALU_DEP_2)
	v_cmp_eq_u32_e32 vcc_lo, 0, v77
	v_cndmask_b32_e32 v94, v94, v76, vcc_lo
; %bb.718:                              ;   in Loop: Header=BB6_714 Depth=3
	s_or_b32 exec_lo, exec_lo, s15
	v_and_b32_e32 v77, 0xffff0000, v20
	v_and_b32_e32 v76, 0xffff0000, v16
	s_mov_b32 s15, exec_lo
                                        ; implicit-def: $vgpr20
	s_delay_alu instid0(VALU_DEP_2) | instskip(NEXT) | instid1(VALU_DEP_1)
	v_mov_b32_e32 v16, v77
	v_pk_mul_f32 v[76:77], v[16:17], v[76:77]
	s_delay_alu instid0(VALU_DEP_1) | instskip(NEXT) | instid1(VALU_DEP_1)
	v_and_b32_e32 v16, 0x7f800000, v76
	v_cmpx_ne_u32_e32 0x7f800000, v16
	s_xor_b32 s15, exec_lo, s15
; %bb.719:                              ;   in Loop: Header=BB6_714 Depth=3
	v_bfe_u32 v16, v76, 16, 1
	s_delay_alu instid0(VALU_DEP_1)
	v_add3_u32 v20, v76, v16, 0x7fff
                                        ; implicit-def: $vgpr76_vgpr77
; %bb.720:                              ;   in Loop: Header=BB6_714 Depth=3
	s_and_not1_saveexec_b32 s15, s15
; %bb.721:                              ;   in Loop: Header=BB6_714 Depth=3
	v_and_b32_e32 v16, 0xffff, v76
	v_or_b32_e32 v20, 0x10000, v76
	s_delay_alu instid0(VALU_DEP_2) | instskip(NEXT) | instid1(VALU_DEP_2)
	v_cmp_eq_u32_e32 vcc_lo, 0, v16
	v_cndmask_b32_e32 v20, v20, v76, vcc_lo
; %bb.722:                              ;   in Loop: Header=BB6_714 Depth=3
	s_or_b32 exec_lo, exec_lo, s15
	v_lshlrev_b32_e32 v16, 16, v17
	v_lshlrev_b32_e32 v76, 16, v21
	s_delay_alu instid0(VALU_DEP_1) | instskip(NEXT) | instid1(VALU_DEP_1)
	v_mul_f32_e32 v16, v76, v16
	v_and_b32_e32 v76, 0x7f800000, v16
	s_delay_alu instid0(VALU_DEP_1) | instskip(SKIP_1) | instid1(SALU_CYCLE_1)
	v_cmp_ne_u32_e32 vcc_lo, 0x7f800000, v76
                                        ; implicit-def: $vgpr76
	s_and_saveexec_b32 s15, vcc_lo
	s_xor_b32 s15, exec_lo, s15
; %bb.723:                              ;   in Loop: Header=BB6_714 Depth=3
	v_bfe_u32 v76, v16, 16, 1
	s_delay_alu instid0(VALU_DEP_1)
	v_add3_u32 v76, v16, v76, 0x7fff
                                        ; implicit-def: $vgpr16
; %bb.724:                              ;   in Loop: Header=BB6_714 Depth=3
	s_and_not1_saveexec_b32 s15, s15
; %bb.725:                              ;   in Loop: Header=BB6_714 Depth=3
	v_and_b32_e32 v76, 0xffff, v16
	v_or_b32_e32 v77, 0x10000, v16
	s_delay_alu instid0(VALU_DEP_2) | instskip(NEXT) | instid1(VALU_DEP_2)
	v_cmp_eq_u32_e32 vcc_lo, 0, v76
	v_cndmask_b32_e32 v76, v77, v16, vcc_lo
; %bb.726:                              ;   in Loop: Header=BB6_714 Depth=3
	s_or_b32 exec_lo, exec_lo, s15
	v_and_b32_e32 v105, 0xffff0000, v21
	v_and_b32_e32 v104, 0xffff0000, v17
	s_mov_b32 s15, exec_lo
                                        ; implicit-def: $vgpr21
	s_delay_alu instid0(VALU_DEP_2) | instskip(NEXT) | instid1(VALU_DEP_1)
	v_mov_b32_e32 v16, v105
	v_pk_mul_f32 v[16:17], v[16:17], v[104:105]
	s_delay_alu instid0(VALU_DEP_1) | instskip(NEXT) | instid1(VALU_DEP_1)
	v_and_b32_e32 v17, 0x7f800000, v16
	v_cmpx_ne_u32_e32 0x7f800000, v17
	s_xor_b32 s15, exec_lo, s15
; %bb.727:                              ;   in Loop: Header=BB6_714 Depth=3
	v_bfe_u32 v17, v16, 16, 1
	s_delay_alu instid0(VALU_DEP_1)
	v_add3_u32 v21, v16, v17, 0x7fff
                                        ; implicit-def: $vgpr16_vgpr17
; %bb.728:                              ;   in Loop: Header=BB6_714 Depth=3
	s_and_not1_saveexec_b32 s15, s15
; %bb.729:                              ;   in Loop: Header=BB6_714 Depth=3
	v_and_b32_e32 v17, 0xffff, v16
	v_or_b32_e32 v21, 0x10000, v16
	s_delay_alu instid0(VALU_DEP_2) | instskip(NEXT) | instid1(VALU_DEP_2)
	v_cmp_eq_u32_e32 vcc_lo, 0, v17
	v_cndmask_b32_e32 v21, v21, v16, vcc_lo
; %bb.730:                              ;   in Loop: Header=BB6_714 Depth=3
	s_or_b32 exec_lo, exec_lo, s15
	v_lshlrev_b32_e32 v16, 16, v18
	v_lshlrev_b32_e32 v17, 16, v22
	s_mov_b32 s15, exec_lo
                                        ; implicit-def: $vgpr77
	s_delay_alu instid0(VALU_DEP_1) | instskip(NEXT) | instid1(VALU_DEP_1)
	v_mul_f32_e32 v16, v17, v16
	v_and_b32_e32 v17, 0x7f800000, v16
	s_delay_alu instid0(VALU_DEP_1)
	v_cmpx_ne_u32_e32 0x7f800000, v17
	s_xor_b32 s15, exec_lo, s15
; %bb.731:                              ;   in Loop: Header=BB6_714 Depth=3
	v_bfe_u32 v17, v16, 16, 1
	s_delay_alu instid0(VALU_DEP_1)
	v_add3_u32 v77, v16, v17, 0x7fff
                                        ; implicit-def: $vgpr16
; %bb.732:                              ;   in Loop: Header=BB6_714 Depth=3
	s_and_not1_saveexec_b32 s15, s15
; %bb.733:                              ;   in Loop: Header=BB6_714 Depth=3
	v_and_b32_e32 v17, 0xffff, v16
	v_or_b32_e32 v77, 0x10000, v16
	s_delay_alu instid0(VALU_DEP_2) | instskip(NEXT) | instid1(VALU_DEP_2)
	v_cmp_eq_u32_e32 vcc_lo, 0, v17
	v_cndmask_b32_e32 v77, v77, v16, vcc_lo
; %bb.734:                              ;   in Loop: Header=BB6_714 Depth=3
	s_or_b32 exec_lo, exec_lo, s15
	v_and_b32_e32 v17, 0xffff0000, v22
	v_and_b32_e32 v16, 0xffff0000, v18
	s_mov_b32 s15, exec_lo
	s_delay_alu instid0(VALU_DEP_2) | instskip(NEXT) | instid1(VALU_DEP_1)
	v_mov_b32_e32 v18, v17
	v_pk_mul_f32 v[16:17], v[18:19], v[16:17]
                                        ; implicit-def: $vgpr18
	s_delay_alu instid0(VALU_DEP_1) | instskip(NEXT) | instid1(VALU_DEP_1)
	v_and_b32_e32 v17, 0x7f800000, v16
	v_cmpx_ne_u32_e32 0x7f800000, v17
	s_xor_b32 s15, exec_lo, s15
; %bb.735:                              ;   in Loop: Header=BB6_714 Depth=3
	v_bfe_u32 v17, v16, 16, 1
	s_delay_alu instid0(VALU_DEP_1)
	v_add3_u32 v18, v16, v17, 0x7fff
                                        ; implicit-def: $vgpr16_vgpr17
; %bb.736:                              ;   in Loop: Header=BB6_714 Depth=3
	s_and_not1_saveexec_b32 s15, s15
; %bb.737:                              ;   in Loop: Header=BB6_714 Depth=3
	v_and_b32_e32 v17, 0xffff, v16
	v_or_b32_e32 v18, 0x10000, v16
	s_delay_alu instid0(VALU_DEP_2) | instskip(NEXT) | instid1(VALU_DEP_2)
	v_cmp_eq_u32_e32 vcc_lo, 0, v17
	v_cndmask_b32_e32 v18, v18, v16, vcc_lo
; %bb.738:                              ;   in Loop: Header=BB6_714 Depth=3
	s_or_b32 exec_lo, exec_lo, s15
	v_lshlrev_b32_e32 v16, 16, v19
	v_lshlrev_b32_e32 v17, 16, v23
	s_mov_b32 s15, exec_lo
                                        ; implicit-def: $vgpr22
	s_delay_alu instid0(VALU_DEP_1) | instskip(NEXT) | instid1(VALU_DEP_1)
	v_mul_f32_e32 v16, v17, v16
	v_and_b32_e32 v17, 0x7f800000, v16
	s_delay_alu instid0(VALU_DEP_1)
	v_cmpx_ne_u32_e32 0x7f800000, v17
	s_xor_b32 s15, exec_lo, s15
; %bb.739:                              ;   in Loop: Header=BB6_714 Depth=3
	v_bfe_u32 v17, v16, 16, 1
	s_delay_alu instid0(VALU_DEP_1)
	v_add3_u32 v22, v16, v17, 0x7fff
                                        ; implicit-def: $vgpr16
; %bb.740:                              ;   in Loop: Header=BB6_714 Depth=3
	s_and_not1_saveexec_b32 s15, s15
; %bb.741:                              ;   in Loop: Header=BB6_714 Depth=3
	v_and_b32_e32 v17, 0xffff, v16
	v_or_b32_e32 v22, 0x10000, v16
	s_delay_alu instid0(VALU_DEP_2) | instskip(NEXT) | instid1(VALU_DEP_2)
	v_cmp_eq_u32_e32 vcc_lo, 0, v17
	v_cndmask_b32_e32 v22, v22, v16, vcc_lo
; %bb.742:                              ;   in Loop: Header=BB6_714 Depth=3
	s_or_b32 exec_lo, exec_lo, s15
	v_and_b32_e32 v17, 0xffff0000, v23
	v_and_b32_e32 v16, 0xffff0000, v19
	s_mov_b32 s15, exec_lo
                                        ; implicit-def: $vgpr19
	s_delay_alu instid0(VALU_DEP_2) | instskip(NEXT) | instid1(VALU_DEP_1)
	v_mov_b32_e32 v104, v17
	v_pk_mul_f32 v[16:17], v[104:105], v[16:17]
	s_delay_alu instid0(VALU_DEP_1) | instskip(NEXT) | instid1(VALU_DEP_1)
	v_and_b32_e32 v17, 0x7f800000, v16
	v_cmpx_ne_u32_e32 0x7f800000, v17
	s_xor_b32 s15, exec_lo, s15
; %bb.743:                              ;   in Loop: Header=BB6_714 Depth=3
	v_bfe_u32 v17, v16, 16, 1
	s_delay_alu instid0(VALU_DEP_1)
	v_add3_u32 v19, v16, v17, 0x7fff
                                        ; implicit-def: $vgpr16_vgpr17
; %bb.744:                              ;   in Loop: Header=BB6_714 Depth=3
	s_and_not1_saveexec_b32 s15, s15
; %bb.745:                              ;   in Loop: Header=BB6_714 Depth=3
	v_and_b32_e32 v17, 0xffff, v16
	v_or_b32_e32 v19, 0x10000, v16
	s_delay_alu instid0(VALU_DEP_2) | instskip(NEXT) | instid1(VALU_DEP_2)
	v_cmp_eq_u32_e32 vcc_lo, 0, v17
	v_cndmask_b32_e32 v19, v19, v16, vcc_lo
; %bb.746:                              ;   in Loop: Header=BB6_714 Depth=3
	s_or_b32 exec_lo, exec_lo, s15
	s_wait_loadcnt 0x1
	v_lshlrev_b32_e32 v16, 16, v8
	s_wait_loadcnt 0x0
	v_lshlrev_b32_e32 v17, 16, v12
	s_mov_b32 s15, exec_lo
                                        ; implicit-def: $vgpr23
	s_delay_alu instid0(VALU_DEP_1) | instskip(NEXT) | instid1(VALU_DEP_1)
	v_mul_f32_e32 v16, v17, v16
	v_and_b32_e32 v17, 0x7f800000, v16
	s_delay_alu instid0(VALU_DEP_1)
	v_cmpx_ne_u32_e32 0x7f800000, v17
	s_xor_b32 s15, exec_lo, s15
; %bb.747:                              ;   in Loop: Header=BB6_714 Depth=3
	v_bfe_u32 v17, v16, 16, 1
	s_delay_alu instid0(VALU_DEP_1)
	v_add3_u32 v23, v16, v17, 0x7fff
                                        ; implicit-def: $vgpr16
; %bb.748:                              ;   in Loop: Header=BB6_714 Depth=3
	s_and_not1_saveexec_b32 s15, s15
; %bb.749:                              ;   in Loop: Header=BB6_714 Depth=3
	v_and_b32_e32 v17, 0xffff, v16
	v_or_b32_e32 v23, 0x10000, v16
	s_delay_alu instid0(VALU_DEP_2) | instskip(NEXT) | instid1(VALU_DEP_2)
	v_cmp_eq_u32_e32 vcc_lo, 0, v17
	v_cndmask_b32_e32 v23, v23, v16, vcc_lo
; %bb.750:                              ;   in Loop: Header=BB6_714 Depth=3
	s_or_b32 exec_lo, exec_lo, s15
	v_and_b32_e32 v17, 0xffff0000, v12
	v_and_b32_e32 v16, 0xffff0000, v8
	s_mov_b32 s15, exec_lo
                                        ; implicit-def: $vgpr12
	s_delay_alu instid0(VALU_DEP_2) | instskip(NEXT) | instid1(VALU_DEP_1)
	v_mov_b32_e32 v8, v17
	v_pk_mul_f32 v[16:17], v[8:9], v[16:17]
	s_delay_alu instid0(VALU_DEP_1) | instskip(NEXT) | instid1(VALU_DEP_1)
	v_and_b32_e32 v8, 0x7f800000, v16
	v_cmpx_ne_u32_e32 0x7f800000, v8
	s_xor_b32 s15, exec_lo, s15
; %bb.751:                              ;   in Loop: Header=BB6_714 Depth=3
	v_bfe_u32 v8, v16, 16, 1
	s_delay_alu instid0(VALU_DEP_1)
	v_add3_u32 v12, v16, v8, 0x7fff
                                        ; implicit-def: $vgpr16_vgpr17
; %bb.752:                              ;   in Loop: Header=BB6_714 Depth=3
	s_and_not1_saveexec_b32 s15, s15
; %bb.753:                              ;   in Loop: Header=BB6_714 Depth=3
	v_and_b32_e32 v8, 0xffff, v16
	v_or_b32_e32 v12, 0x10000, v16
	s_delay_alu instid0(VALU_DEP_2) | instskip(NEXT) | instid1(VALU_DEP_2)
	v_cmp_eq_u32_e32 vcc_lo, 0, v8
	v_cndmask_b32_e32 v12, v12, v16, vcc_lo
; %bb.754:                              ;   in Loop: Header=BB6_714 Depth=3
	s_or_b32 exec_lo, exec_lo, s15
	v_lshlrev_b32_e32 v8, 16, v9
	v_lshlrev_b32_e32 v16, 16, v13
	s_delay_alu instid0(VALU_DEP_1) | instskip(NEXT) | instid1(VALU_DEP_1)
	v_mul_f32_e32 v8, v16, v8
	v_and_b32_e32 v16, 0x7f800000, v8
	s_delay_alu instid0(VALU_DEP_1) | instskip(SKIP_1) | instid1(SALU_CYCLE_1)
	v_cmp_ne_u32_e32 vcc_lo, 0x7f800000, v16
                                        ; implicit-def: $vgpr16
	s_and_saveexec_b32 s15, vcc_lo
	s_xor_b32 s15, exec_lo, s15
; %bb.755:                              ;   in Loop: Header=BB6_714 Depth=3
	v_bfe_u32 v16, v8, 16, 1
	s_delay_alu instid0(VALU_DEP_1)
	v_add3_u32 v16, v8, v16, 0x7fff
                                        ; implicit-def: $vgpr8
; %bb.756:                              ;   in Loop: Header=BB6_714 Depth=3
	s_and_not1_saveexec_b32 s15, s15
; %bb.757:                              ;   in Loop: Header=BB6_714 Depth=3
	v_and_b32_e32 v16, 0xffff, v8
	v_or_b32_e32 v17, 0x10000, v8
	s_delay_alu instid0(VALU_DEP_2) | instskip(NEXT) | instid1(VALU_DEP_2)
	v_cmp_eq_u32_e32 vcc_lo, 0, v16
	v_cndmask_b32_e32 v16, v17, v8, vcc_lo
; %bb.758:                              ;   in Loop: Header=BB6_714 Depth=3
	s_or_b32 exec_lo, exec_lo, s15
	v_and_b32_e32 v105, 0xffff0000, v13
	v_and_b32_e32 v104, 0xffff0000, v9
	s_mov_b32 s15, exec_lo
                                        ; implicit-def: $vgpr13
	s_delay_alu instid0(VALU_DEP_2) | instskip(NEXT) | instid1(VALU_DEP_1)
	v_mov_b32_e32 v8, v105
	v_pk_mul_f32 v[8:9], v[8:9], v[104:105]
	s_delay_alu instid0(VALU_DEP_1) | instskip(NEXT) | instid1(VALU_DEP_1)
	v_and_b32_e32 v9, 0x7f800000, v8
	v_cmpx_ne_u32_e32 0x7f800000, v9
	s_xor_b32 s15, exec_lo, s15
; %bb.759:                              ;   in Loop: Header=BB6_714 Depth=3
	v_bfe_u32 v9, v8, 16, 1
	s_delay_alu instid0(VALU_DEP_1)
	v_add3_u32 v13, v8, v9, 0x7fff
                                        ; implicit-def: $vgpr8_vgpr9
; %bb.760:                              ;   in Loop: Header=BB6_714 Depth=3
	s_and_not1_saveexec_b32 s15, s15
; %bb.761:                              ;   in Loop: Header=BB6_714 Depth=3
	v_and_b32_e32 v9, 0xffff, v8
	v_or_b32_e32 v13, 0x10000, v8
	s_delay_alu instid0(VALU_DEP_2) | instskip(NEXT) | instid1(VALU_DEP_2)
	v_cmp_eq_u32_e32 vcc_lo, 0, v9
	v_cndmask_b32_e32 v13, v13, v8, vcc_lo
; %bb.762:                              ;   in Loop: Header=BB6_714 Depth=3
	s_or_b32 exec_lo, exec_lo, s15
	v_lshlrev_b32_e32 v8, 16, v10
	v_lshlrev_b32_e32 v9, 16, v14
	s_mov_b32 s15, exec_lo
                                        ; implicit-def: $vgpr17
	s_delay_alu instid0(VALU_DEP_1) | instskip(NEXT) | instid1(VALU_DEP_1)
	v_mul_f32_e32 v8, v9, v8
	v_and_b32_e32 v9, 0x7f800000, v8
	s_delay_alu instid0(VALU_DEP_1)
	v_cmpx_ne_u32_e32 0x7f800000, v9
	s_xor_b32 s15, exec_lo, s15
; %bb.763:                              ;   in Loop: Header=BB6_714 Depth=3
	v_bfe_u32 v9, v8, 16, 1
	s_delay_alu instid0(VALU_DEP_1)
	v_add3_u32 v17, v8, v9, 0x7fff
                                        ; implicit-def: $vgpr8
; %bb.764:                              ;   in Loop: Header=BB6_714 Depth=3
	s_and_not1_saveexec_b32 s15, s15
; %bb.765:                              ;   in Loop: Header=BB6_714 Depth=3
	v_and_b32_e32 v9, 0xffff, v8
	v_or_b32_e32 v17, 0x10000, v8
	s_delay_alu instid0(VALU_DEP_2) | instskip(NEXT) | instid1(VALU_DEP_2)
	v_cmp_eq_u32_e32 vcc_lo, 0, v9
	v_cndmask_b32_e32 v17, v17, v8, vcc_lo
; %bb.766:                              ;   in Loop: Header=BB6_714 Depth=3
	s_or_b32 exec_lo, exec_lo, s15
	v_and_b32_e32 v9, 0xffff0000, v14
	v_and_b32_e32 v8, 0xffff0000, v10
	s_mov_b32 s15, exec_lo
	s_delay_alu instid0(VALU_DEP_2) | instskip(NEXT) | instid1(VALU_DEP_1)
	v_mov_b32_e32 v10, v9
	v_pk_mul_f32 v[8:9], v[10:11], v[8:9]
                                        ; implicit-def: $vgpr10
	s_delay_alu instid0(VALU_DEP_1) | instskip(NEXT) | instid1(VALU_DEP_1)
	v_and_b32_e32 v9, 0x7f800000, v8
	v_cmpx_ne_u32_e32 0x7f800000, v9
	s_xor_b32 s15, exec_lo, s15
; %bb.767:                              ;   in Loop: Header=BB6_714 Depth=3
	v_bfe_u32 v9, v8, 16, 1
	s_delay_alu instid0(VALU_DEP_1)
	v_add3_u32 v10, v8, v9, 0x7fff
                                        ; implicit-def: $vgpr8_vgpr9
; %bb.768:                              ;   in Loop: Header=BB6_714 Depth=3
	s_and_not1_saveexec_b32 s15, s15
; %bb.769:                              ;   in Loop: Header=BB6_714 Depth=3
	v_and_b32_e32 v9, 0xffff, v8
	v_or_b32_e32 v10, 0x10000, v8
	s_delay_alu instid0(VALU_DEP_2) | instskip(NEXT) | instid1(VALU_DEP_2)
	v_cmp_eq_u32_e32 vcc_lo, 0, v9
	v_cndmask_b32_e32 v10, v10, v8, vcc_lo
; %bb.770:                              ;   in Loop: Header=BB6_714 Depth=3
	s_or_b32 exec_lo, exec_lo, s15
	v_lshlrev_b32_e32 v8, 16, v11
	v_lshlrev_b32_e32 v9, 16, v15
	s_mov_b32 s15, exec_lo
                                        ; implicit-def: $vgpr14
	s_delay_alu instid0(VALU_DEP_1) | instskip(NEXT) | instid1(VALU_DEP_1)
	v_mul_f32_e32 v8, v9, v8
	v_and_b32_e32 v9, 0x7f800000, v8
	s_delay_alu instid0(VALU_DEP_1)
	v_cmpx_ne_u32_e32 0x7f800000, v9
	s_xor_b32 s15, exec_lo, s15
; %bb.771:                              ;   in Loop: Header=BB6_714 Depth=3
	v_bfe_u32 v9, v8, 16, 1
	s_delay_alu instid0(VALU_DEP_1)
	v_add3_u32 v14, v8, v9, 0x7fff
                                        ; implicit-def: $vgpr8
; %bb.772:                              ;   in Loop: Header=BB6_714 Depth=3
	s_and_not1_saveexec_b32 s15, s15
; %bb.773:                              ;   in Loop: Header=BB6_714 Depth=3
	v_and_b32_e32 v9, 0xffff, v8
	v_or_b32_e32 v14, 0x10000, v8
	s_delay_alu instid0(VALU_DEP_2) | instskip(NEXT) | instid1(VALU_DEP_2)
	v_cmp_eq_u32_e32 vcc_lo, 0, v9
	v_cndmask_b32_e32 v14, v14, v8, vcc_lo
; %bb.774:                              ;   in Loop: Header=BB6_714 Depth=3
	s_or_b32 exec_lo, exec_lo, s15
	v_and_b32_e32 v9, 0xffff0000, v15
	v_and_b32_e32 v8, 0xffff0000, v11
	s_mov_b32 s15, exec_lo
                                        ; implicit-def: $vgpr11
	s_delay_alu instid0(VALU_DEP_2) | instskip(NEXT) | instid1(VALU_DEP_1)
	v_mov_b32_e32 v104, v9
	v_pk_mul_f32 v[8:9], v[104:105], v[8:9]
	s_delay_alu instid0(VALU_DEP_1) | instskip(NEXT) | instid1(VALU_DEP_1)
	v_and_b32_e32 v9, 0x7f800000, v8
	v_cmpx_ne_u32_e32 0x7f800000, v9
	s_xor_b32 s15, exec_lo, s15
; %bb.775:                              ;   in Loop: Header=BB6_714 Depth=3
	v_bfe_u32 v9, v8, 16, 1
	s_delay_alu instid0(VALU_DEP_1)
	v_add3_u32 v11, v8, v9, 0x7fff
                                        ; implicit-def: $vgpr8_vgpr9
; %bb.776:                              ;   in Loop: Header=BB6_714 Depth=3
	s_and_not1_saveexec_b32 s15, s15
	s_cbranch_execz .LBB6_713
; %bb.777:                              ;   in Loop: Header=BB6_714 Depth=3
	v_and_b32_e32 v9, 0xffff, v8
	v_or_b32_e32 v11, 0x10000, v8
	s_delay_alu instid0(VALU_DEP_2) | instskip(NEXT) | instid1(VALU_DEP_2)
	v_cmp_eq_u32_e32 vcc_lo, 0, v9
	v_cndmask_b32_e32 v11, v11, v8, vcc_lo
	s_branch .LBB6_713
.LBB6_778:                              ;   in Loop: Header=BB6_631 Depth=2
	s_or_b32 exec_lo, exec_lo, s14
.LBB6_779:                              ;   in Loop: Header=BB6_631 Depth=2
	s_delay_alu instid0(SALU_CYCLE_1) | instskip(SKIP_3) | instid1(VALU_DEP_1)
	s_or_b32 exec_lo, exec_lo, s13
	v_dual_lshlrev_b32 v60, 10, v93 :: v_dual_mov_b32 v16, 0
	s_mov_b32 s13, 0
	s_mov_b32 s62, exec_lo
                                        ; implicit-def: $vgpr17
                                        ; implicit-def: $vgpr18
                                        ; implicit-def: $vgpr8
	v_cmpx_ne_u32_e64 v41, v60
	s_cbranch_execz .LBB6_821
; %bb.780:                              ;   in Loop: Header=BB6_631 Depth=2
	v_dual_lshlrev_b32 v8, 5, v43 :: v_dual_sub_nc_u32 v10, v41, v60
	s_mov_b32 s63, exec_lo
	s_delay_alu instid0(VALU_DEP_1) | instskip(NEXT) | instid1(VALU_DEP_1)
	v_dual_sub_nc_u32 v8, v91, v8 :: v_dual_ashrrev_i32 v11, 31, v10
	v_dual_ashrrev_i32 v9, 31, v8 :: v_dual_lshrrev_b32 v11, 23, v11
	s_delay_alu instid0(VALU_DEP_1) | instskip(NEXT) | instid1(VALU_DEP_1)
	v_lshrrev_b32_e32 v9, 27, v9
	v_add_nc_u32_e32 v9, v8, v9
	s_delay_alu instid0(VALU_DEP_1) | instskip(NEXT) | instid1(VALU_DEP_1)
	v_and_b32_e32 v12, 0xffffffe0, v9
	v_dual_add_nc_u32 v11, v10, v11 :: v_dual_sub_nc_u32 v61, v8, v12
	s_delay_alu instid0(VALU_DEP_1) | instskip(SKIP_1) | instid1(VALU_DEP_2)
	v_and_b32_e32 v43, 0xfffffe00, v11
	v_dual_ashrrev_i32 v9, 5, v9 :: v_dual_ashrrev_i32 v11, 9, v11
	v_dual_lshlrev_b32 v8, 4, v61 :: v_dual_sub_nc_u32 v62, v10, v43
	s_delay_alu instid0(VALU_DEP_1) | instskip(NEXT) | instid1(VALU_DEP_2)
	v_lshl_add_u32 v8, v9, 9, v8
	v_cmp_lt_i32_e64 s13, 15, v62
	s_delay_alu instid0(VALU_DEP_1) | instskip(NEXT) | instid1(VALU_DEP_1)
	v_add_co_ci_u32_e64 v11, null, 0, v11, s13
	v_dual_sub_nc_u32 v72, v10, v8 :: v_dual_sub_nc_u32 v63, v11, v9
	s_delay_alu instid0(VALU_DEP_1)
	v_cmpx_lt_i32_e32 15, v72
	s_cbranch_execz .LBB6_818
; %bb.781:                              ;   in Loop: Header=BB6_631 Depth=2
	s_trap 2
	ds_load_b64 v[10:11], v0
	v_add_nc_u32_e32 v8, v8, v60
	s_mov_b32 s72, 0
	s_delay_alu instid0(VALU_DEP_1) | instskip(NEXT) | instid1(VALU_DEP_1)
	v_ashrrev_i32_e32 v9, 31, v8
	v_add_nc_u64_e32 v[16:17], v[8:9], v[56:57]
	v_add_nc_u64_e32 v[18:19], v[8:9], v[58:59]
	v_add_nc_u64_e32 v[20:21], v[8:9], v[46:47]
	s_wait_dscnt 0x0
	v_add_nc_u64_e32 v[22:23], v[10:11], v[8:9]
.LBB6_782:                              ;   Parent Loop BB6_47 Depth=1
                                        ;     Parent Loop BB6_631 Depth=2
                                        ; =>    This Loop Header: Depth=3
                                        ;         Child Loop BB6_815 Depth 4
	global_load_b128 v[8:11], v[22:23], off th:TH_LOAD_NT
	global_load_b128 v[12:15], v[20:21], off th:TH_LOAD_NT
	s_wait_loadcnt 0x1
	v_lshlrev_b32_e32 v73, 16, v8
	s_wait_loadcnt 0x0
	v_lshlrev_b32_e32 v74, 16, v12
	s_delay_alu instid0(VALU_DEP_1) | instskip(NEXT) | instid1(VALU_DEP_1)
	v_mul_f32_e32 v74, v74, v73
	v_and_b32_e32 v73, 0x7f800000, v74
	s_delay_alu instid0(VALU_DEP_1) | instskip(SKIP_2) | instid1(SALU_CYCLE_1)
	v_cmp_ne_u32_e32 vcc_lo, 0x7f800000, v73
                                        ; implicit-def: $vgpr73
	s_wait_xcnt 0x0
	s_and_saveexec_b32 s14, vcc_lo
	s_xor_b32 s14, exec_lo, s14
; %bb.783:                              ;   in Loop: Header=BB6_782 Depth=3
	v_bfe_u32 v73, v74, 16, 1
	s_delay_alu instid0(VALU_DEP_1)
	v_add3_u32 v73, v74, v73, 0x7fff
                                        ; implicit-def: $vgpr74
; %bb.784:                              ;   in Loop: Header=BB6_782 Depth=3
	s_and_not1_saveexec_b32 s14, s14
; %bb.785:                              ;   in Loop: Header=BB6_782 Depth=3
	v_and_b32_e32 v73, 0xffff, v74
	v_or_b32_e32 v75, 0x10000, v74
	s_delay_alu instid0(VALU_DEP_2) | instskip(NEXT) | instid1(VALU_DEP_2)
	v_cmp_eq_u32_e32 vcc_lo, 0, v73
	v_cndmask_b32_e32 v73, v75, v74, vcc_lo
; %bb.786:                              ;   in Loop: Header=BB6_782 Depth=3
	s_or_b32 exec_lo, exec_lo, s14
	v_and_b32_e32 v8, 0xffff0000, v8
	v_and_b32_e32 v12, 0xffff0000, v12
	s_delay_alu instid0(VALU_DEP_1) | instskip(NEXT) | instid1(VALU_DEP_1)
	v_mul_f32_e32 v12, v12, v8
	v_and_b32_e32 v8, 0x7f800000, v12
	s_delay_alu instid0(VALU_DEP_1) | instskip(SKIP_1) | instid1(SALU_CYCLE_1)
	v_cmp_ne_u32_e32 vcc_lo, 0x7f800000, v8
                                        ; implicit-def: $vgpr8
	s_and_saveexec_b32 s14, vcc_lo
	s_xor_b32 s14, exec_lo, s14
; %bb.787:                              ;   in Loop: Header=BB6_782 Depth=3
	v_bfe_u32 v8, v12, 16, 1
	s_delay_alu instid0(VALU_DEP_1)
	v_add3_u32 v8, v12, v8, 0x7fff
                                        ; implicit-def: $vgpr12
; %bb.788:                              ;   in Loop: Header=BB6_782 Depth=3
	s_and_not1_saveexec_b32 s14, s14
; %bb.789:                              ;   in Loop: Header=BB6_782 Depth=3
	v_and_b32_e32 v8, 0xffff, v12
	v_or_b32_e32 v74, 0x10000, v12
	s_delay_alu instid0(VALU_DEP_2) | instskip(NEXT) | instid1(VALU_DEP_2)
	v_cmp_eq_u32_e32 vcc_lo, 0, v8
	v_cndmask_b32_e32 v8, v74, v12, vcc_lo
; %bb.790:                              ;   in Loop: Header=BB6_782 Depth=3
	s_or_b32 exec_lo, exec_lo, s14
	v_lshlrev_b32_e32 v12, 16, v9
	v_lshlrev_b32_e32 v74, 16, v13
	s_delay_alu instid0(VALU_DEP_1) | instskip(NEXT) | instid1(VALU_DEP_1)
	v_mul_f32_e32 v74, v74, v12
	v_and_b32_e32 v12, 0x7f800000, v74
	s_delay_alu instid0(VALU_DEP_1) | instskip(SKIP_1) | instid1(SALU_CYCLE_1)
	v_cmp_ne_u32_e32 vcc_lo, 0x7f800000, v12
                                        ; implicit-def: $vgpr12
	s_and_saveexec_b32 s14, vcc_lo
	s_xor_b32 s14, exec_lo, s14
; %bb.791:                              ;   in Loop: Header=BB6_782 Depth=3
	v_bfe_u32 v12, v74, 16, 1
	s_delay_alu instid0(VALU_DEP_1)
	v_add3_u32 v12, v74, v12, 0x7fff
                                        ; implicit-def: $vgpr74
; %bb.792:                              ;   in Loop: Header=BB6_782 Depth=3
	s_and_not1_saveexec_b32 s14, s14
; %bb.793:                              ;   in Loop: Header=BB6_782 Depth=3
	v_and_b32_e32 v12, 0xffff, v74
	v_or_b32_e32 v75, 0x10000, v74
	s_delay_alu instid0(VALU_DEP_2) | instskip(NEXT) | instid1(VALU_DEP_2)
	v_cmp_eq_u32_e32 vcc_lo, 0, v12
	v_cndmask_b32_e32 v12, v75, v74, vcc_lo
; %bb.794:                              ;   in Loop: Header=BB6_782 Depth=3
	s_or_b32 exec_lo, exec_lo, s14
	v_and_b32_e32 v13, 0xffff0000, v13
	v_and_b32_e32 v9, 0xffff0000, v9
	s_delay_alu instid0(VALU_DEP_1) | instskip(NEXT) | instid1(VALU_DEP_1)
	v_mul_f32_e32 v13, v13, v9
	v_and_b32_e32 v9, 0x7f800000, v13
	s_delay_alu instid0(VALU_DEP_1) | instskip(SKIP_1) | instid1(SALU_CYCLE_1)
	v_cmp_ne_u32_e32 vcc_lo, 0x7f800000, v9
                                        ; implicit-def: $vgpr9
	s_and_saveexec_b32 s14, vcc_lo
	s_xor_b32 s14, exec_lo, s14
; %bb.795:                              ;   in Loop: Header=BB6_782 Depth=3
	v_bfe_u32 v9, v13, 16, 1
	s_delay_alu instid0(VALU_DEP_1)
	v_add3_u32 v9, v13, v9, 0x7fff
                                        ; implicit-def: $vgpr13
; %bb.796:                              ;   in Loop: Header=BB6_782 Depth=3
	s_and_not1_saveexec_b32 s14, s14
; %bb.797:                              ;   in Loop: Header=BB6_782 Depth=3
	v_and_b32_e32 v9, 0xffff, v13
	v_or_b32_e32 v74, 0x10000, v13
	s_delay_alu instid0(VALU_DEP_2) | instskip(NEXT) | instid1(VALU_DEP_2)
	v_cmp_eq_u32_e32 vcc_lo, 0, v9
	v_cndmask_b32_e32 v9, v74, v13, vcc_lo
; %bb.798:                              ;   in Loop: Header=BB6_782 Depth=3
	s_or_b32 exec_lo, exec_lo, s14
	v_lshlrev_b32_e32 v13, 16, v10
	v_lshlrev_b32_e32 v74, 16, v14
	s_delay_alu instid0(VALU_DEP_1) | instskip(NEXT) | instid1(VALU_DEP_1)
	v_mul_f32_e32 v74, v74, v13
	v_and_b32_e32 v13, 0x7f800000, v74
	s_delay_alu instid0(VALU_DEP_1) | instskip(SKIP_1) | instid1(SALU_CYCLE_1)
	v_cmp_ne_u32_e32 vcc_lo, 0x7f800000, v13
                                        ; implicit-def: $vgpr13
	s_and_saveexec_b32 s14, vcc_lo
	s_xor_b32 s14, exec_lo, s14
; %bb.799:                              ;   in Loop: Header=BB6_782 Depth=3
	v_bfe_u32 v13, v74, 16, 1
	s_delay_alu instid0(VALU_DEP_1)
	v_add3_u32 v13, v74, v13, 0x7fff
                                        ; implicit-def: $vgpr74
; %bb.800:                              ;   in Loop: Header=BB6_782 Depth=3
	s_and_not1_saveexec_b32 s14, s14
; %bb.801:                              ;   in Loop: Header=BB6_782 Depth=3
	v_and_b32_e32 v13, 0xffff, v74
	v_or_b32_e32 v75, 0x10000, v74
	s_delay_alu instid0(VALU_DEP_2) | instskip(NEXT) | instid1(VALU_DEP_2)
	v_cmp_eq_u32_e32 vcc_lo, 0, v13
	v_cndmask_b32_e32 v13, v75, v74, vcc_lo
; %bb.802:                              ;   in Loop: Header=BB6_782 Depth=3
	s_or_b32 exec_lo, exec_lo, s14
	v_and_b32_e32 v14, 0xffff0000, v14
	v_and_b32_e32 v10, 0xffff0000, v10
	s_delay_alu instid0(VALU_DEP_1) | instskip(NEXT) | instid1(VALU_DEP_1)
	v_mul_f32_e32 v14, v14, v10
	v_and_b32_e32 v10, 0x7f800000, v14
	s_delay_alu instid0(VALU_DEP_1) | instskip(SKIP_1) | instid1(SALU_CYCLE_1)
	v_cmp_ne_u32_e32 vcc_lo, 0x7f800000, v10
                                        ; implicit-def: $vgpr10
	s_and_saveexec_b32 s14, vcc_lo
	s_xor_b32 s14, exec_lo, s14
; %bb.803:                              ;   in Loop: Header=BB6_782 Depth=3
	v_bfe_u32 v10, v14, 16, 1
	s_delay_alu instid0(VALU_DEP_1)
	v_add3_u32 v10, v14, v10, 0x7fff
                                        ; implicit-def: $vgpr14
; %bb.804:                              ;   in Loop: Header=BB6_782 Depth=3
	s_and_not1_saveexec_b32 s14, s14
; %bb.805:                              ;   in Loop: Header=BB6_782 Depth=3
	v_and_b32_e32 v10, 0xffff, v14
	v_or_b32_e32 v74, 0x10000, v14
	s_delay_alu instid0(VALU_DEP_2) | instskip(NEXT) | instid1(VALU_DEP_2)
	v_cmp_eq_u32_e32 vcc_lo, 0, v10
	v_cndmask_b32_e32 v10, v74, v14, vcc_lo
; %bb.806:                              ;   in Loop: Header=BB6_782 Depth=3
	s_or_b32 exec_lo, exec_lo, s14
	v_lshlrev_b32_e32 v14, 16, v11
	v_lshlrev_b32_e32 v74, 16, v15
	s_delay_alu instid0(VALU_DEP_1) | instskip(NEXT) | instid1(VALU_DEP_1)
	v_mul_f32_e32 v74, v74, v14
	v_and_b32_e32 v14, 0x7f800000, v74
	s_delay_alu instid0(VALU_DEP_1) | instskip(SKIP_1) | instid1(SALU_CYCLE_1)
	v_cmp_ne_u32_e32 vcc_lo, 0x7f800000, v14
                                        ; implicit-def: $vgpr14
	s_and_saveexec_b32 s14, vcc_lo
	s_xor_b32 s14, exec_lo, s14
; %bb.807:                              ;   in Loop: Header=BB6_782 Depth=3
	v_bfe_u32 v14, v74, 16, 1
	s_delay_alu instid0(VALU_DEP_1)
	v_add3_u32 v14, v74, v14, 0x7fff
                                        ; implicit-def: $vgpr74
; %bb.808:                              ;   in Loop: Header=BB6_782 Depth=3
	s_and_not1_saveexec_b32 s14, s14
; %bb.809:                              ;   in Loop: Header=BB6_782 Depth=3
	v_and_b32_e32 v14, 0xffff, v74
	v_or_b32_e32 v75, 0x10000, v74
	s_delay_alu instid0(VALU_DEP_2) | instskip(NEXT) | instid1(VALU_DEP_2)
	v_cmp_eq_u32_e32 vcc_lo, 0, v14
	v_cndmask_b32_e32 v14, v75, v74, vcc_lo
; %bb.810:                              ;   in Loop: Header=BB6_782 Depth=3
	s_or_b32 exec_lo, exec_lo, s14
	v_and_b32_e32 v15, 0xffff0000, v15
	v_and_b32_e32 v11, 0xffff0000, v11
	s_delay_alu instid0(VALU_DEP_1) | instskip(NEXT) | instid1(VALU_DEP_1)
	v_mul_f32_e32 v15, v15, v11
	v_and_b32_e32 v11, 0x7f800000, v15
	s_delay_alu instid0(VALU_DEP_1) | instskip(SKIP_1) | instid1(SALU_CYCLE_1)
	v_cmp_ne_u32_e32 vcc_lo, 0x7f800000, v11
                                        ; implicit-def: $vgpr11
	s_and_saveexec_b32 s14, vcc_lo
	s_xor_b32 s14, exec_lo, s14
; %bb.811:                              ;   in Loop: Header=BB6_782 Depth=3
	v_bfe_u32 v11, v15, 16, 1
	s_delay_alu instid0(VALU_DEP_1)
	v_add3_u32 v11, v15, v11, 0x7fff
                                        ; implicit-def: $vgpr15
; %bb.812:                              ;   in Loop: Header=BB6_782 Depth=3
	s_and_not1_saveexec_b32 s14, s14
; %bb.813:                              ;   in Loop: Header=BB6_782 Depth=3
	v_and_b32_e32 v11, 0xffff, v15
	v_or_b32_e32 v74, 0x10000, v15
	s_delay_alu instid0(VALU_DEP_2) | instskip(NEXT) | instid1(VALU_DEP_2)
	v_cmp_eq_u32_e32 vcc_lo, 0, v11
	v_cndmask_b32_e32 v11, v74, v15, vcc_lo
; %bb.814:                              ;   in Loop: Header=BB6_782 Depth=3
	s_or_b32 exec_lo, exec_lo, s14
	v_dual_lshrrev_b32 v12, 16, v12 :: v_dual_lshrrev_b32 v15, 16, v73
	v_dual_lshrrev_b32 v13, 16, v13 :: v_dual_lshrrev_b32 v14, 16, v14
	s_mov_b64 s[40:41], 0
	s_delay_alu instid0(VALU_DEP_2) | instskip(NEXT) | instid1(VALU_DEP_3)
	v_and_or_b32 v9, 0xffff0000, v9, v12
	v_and_or_b32 v8, 0xffff0000, v8, v15
	s_delay_alu instid0(VALU_DEP_3)
	v_and_or_b32 v10, 0xffff0000, v10, v13
	v_and_or_b32 v11, 0xffff0000, v11, v14
	s_mov_b32 s73, -1
.LBB6_815:                              ;   Parent Loop BB6_47 Depth=1
                                        ;     Parent Loop BB6_631 Depth=2
                                        ;       Parent Loop BB6_782 Depth=3
                                        ; =>      This Inner Loop Header: Depth=4
	s_cmp_eq_u32 s40, 1
	s_cselect_b32 vcc_lo, -1, 0
	s_cmp_eq_u32 s40, 0
	s_wait_xcnt 0x0
	v_dual_cndmask_b32 v13, v17, v19 :: v_dual_cndmask_b32 v12, v16, v18
	s_cselect_b32 s14, -1, 0
	s_and_b32 s15, exec_lo, s73
	s_mov_b64 s[40:41], 1
	s_mov_b32 s73, 0
	v_add_nc_u64_e32 v[14:15], 0x200, v[12:13]
	global_store_b128 v[12:13], v[8:11], off th:TH_STORE_NT
	v_dual_cndmask_b32 v19, v19, v15 :: v_dual_cndmask_b32 v18, v18, v14
	v_dual_cndmask_b32 v17, v17, v15, s14 :: v_dual_cndmask_b32 v16, v16, v14, s14
	s_mov_b32 vcc_lo, s15
	s_cbranch_vccnz .LBB6_815
; %bb.816:                              ;   in Loop: Header=BB6_782 Depth=3
	v_dual_sub_nc_u32 v72, v72, v70 :: v_dual_sub_nc_u32 v63, v63, v52
	v_add_nc_u64_e32 v[20:21], v[20:21], v[96:97]
	v_add_nc_u64_e32 v[22:23], v[22:23], v[96:97]
	;; [unrolled: 1-line block ×3, first 2 shown]
	s_delay_alu instid0(VALU_DEP_4)
	v_cmp_gt_i32_e32 vcc_lo, 16, v72
	v_add_nc_u64_e32 v[18:19], v[18:19], v[84:85]
	s_or_b32 s72, vcc_lo, s72
	s_wait_xcnt 0x0
	s_and_not1_b32 exec_lo, exec_lo, s72
	s_cbranch_execnz .LBB6_782
; %bb.817:                              ;   in Loop: Header=BB6_631 Depth=2
	s_or_b32 exec_lo, exec_lo, s72
.LBB6_818:                              ;   in Loop: Header=BB6_631 Depth=2
	s_delay_alu instid0(SALU_CYCLE_1) | instskip(SKIP_3) | instid1(VALU_DEP_1)
	s_or_b32 exec_lo, exec_lo, s63
	v_dual_mov_b32 v16, 0 :: v_dual_bitop2_b32 v9, 14, v41 bitop3:0x40
	s_mov_b32 s14, 0
	s_mov_b32 s15, exec_lo
                                        ; implicit-def: $vgpr18
                                        ; implicit-def: $vgpr8
	v_cndmask_b32_e64 v17, v62, v9, s13
	s_delay_alu instid0(VALU_DEP_1)
	v_cmpx_ne_u32_e32 0, v17
	s_cbranch_execz .LBB6_820
; %bb.819:                              ;   in Loop: Header=BB6_631 Depth=2
	v_cmp_lt_i32_e32 vcc_lo, 0, v63
	s_mov_b32 s14, exec_lo
	v_dual_cndmask_b32 v8, 0, v52 :: v_dual_sub_nc_u32 v9, v62, v9
	s_delay_alu instid0(VALU_DEP_1) | instskip(NEXT) | instid1(VALU_DEP_1)
	v_dual_cndmask_b32 v9, 0, v9, s13 :: v_dual_sub_nc_u32 v8, v8, v63
	v_add3_u32 v16, v43, v60, v9
	s_delay_alu instid0(VALU_DEP_2) | instskip(NEXT) | instid1(VALU_DEP_1)
	v_lshl_add_u32 v18, v8, 5, v61
	v_ashrrev_i32_e32 v8, 31, v18
	s_delay_alu instid0(VALU_DEP_1) | instskip(NEXT) | instid1(VALU_DEP_1)
	v_lshrrev_b32_e32 v8, 27, v8
	v_add_nc_u32_e32 v8, v18, v8
	s_delay_alu instid0(VALU_DEP_1)
	v_ashrrev_i32_e32 v8, 5, v8
.LBB6_820:                              ;   in Loop: Header=BB6_631 Depth=2
	s_or_b32 exec_lo, exec_lo, s15
	s_delay_alu instid0(SALU_CYCLE_1)
	s_and_b32 s13, s14, exec_lo
.LBB6_821:                              ;   in Loop: Header=BB6_631 Depth=2
	s_or_b32 exec_lo, exec_lo, s62
	s_and_saveexec_b32 s15, s13
	s_cbranch_execz .LBB6_868
.LBB6_822:                              ;   in Loop: Header=BB6_631 Depth=2
	v_ashrrev_i32_e32 v9, 31, v17
	s_mov_b32 s13, exec_lo
	s_delay_alu instid0(VALU_DEP_1) | instskip(NEXT) | instid1(VALU_DEP_1)
	v_lshrrev_b32_e32 v9, 23, v9
	v_add_nc_u32_e32 v9, v17, v9
	s_delay_alu instid0(VALU_DEP_1) | instskip(NEXT) | instid1(VALU_DEP_1)
	v_dual_ashrrev_i32 v21, 9, v9 :: v_dual_ashrrev_i32 v9, 31, v18
	v_dual_sub_nc_u32 v19, v21, v8 :: v_dual_lshrrev_b32 v20, 27, v9
	s_delay_alu instid0(VALU_DEP_1)
	v_cmpx_lt_i32_e32 0, v19
	s_cbranch_execz .LBB6_858
; %bb.823:                              ;   in Loop: Header=BB6_631 Depth=2
	s_delay_alu instid0(VALU_DEP_2)
	v_add_nc_u32_e32 v9, v18, v20
	s_trap 2
	ds_load_b64 v[14:15], v0
	s_mov_b32 s14, 0
	v_lshlrev_b32_e32 v8, 9, v8
	v_and_b32_e32 v9, 0x7fffffe0, v9
	s_delay_alu instid0(VALU_DEP_1) | instskip(NEXT) | instid1(VALU_DEP_1)
	v_sub_nc_u32_e32 v9, v18, v9
	v_lshlrev_b32_e32 v9, 1, v9
	s_delay_alu instid0(VALU_DEP_1) | instskip(NEXT) | instid1(VALU_DEP_1)
	v_add3_u32 v22, v9, v16, v8
	v_ashrrev_i32_e32 v23, 31, v22
	s_delay_alu instid0(VALU_DEP_1)
	v_add_nc_u64_e32 v[8:9], v[22:23], v[56:57]
	v_add_nc_u64_e32 v[10:11], v[22:23], v[58:59]
	;; [unrolled: 1-line block ×3, first 2 shown]
	s_wait_dscnt 0x0
	v_add_nc_u64_e32 v[14:15], v[14:15], v[22:23]
	s_branch .LBB6_825
.LBB6_824:                              ;   in Loop: Header=BB6_825 Depth=3
	s_or_b32 exec_lo, exec_lo, s40
	v_dual_lshrrev_b32 v62, 16, v75 :: v_dual_lshrrev_b32 v22, 16, v22
	v_sub_nc_u32_e32 v19, v19, v52
	v_dual_lshrrev_b32 v60, 16, v60 :: v_dual_lshrrev_b32 v63, 16, v63
	v_dual_lshrrev_b32 v43, 16, v61 :: v_dual_lshrrev_b32 v61, 16, v72
	;; [unrolled: 1-line block ×3, first 2 shown]
	s_clause 0x7
	flat_store_b16 v[8:9], v22 th:TH_STORE_NT
	flat_store_b16 v[8:9], v60 offset:64 th:TH_STORE_NT
	flat_store_b16 v[8:9], v63 offset:128 th:TH_STORE_NT
	;; [unrolled: 1-line block ×7, first 2 shown]
	s_clause 0x7
	flat_store_b16 v[10:11], v22 th:TH_STORE_NT
	flat_store_b16 v[10:11], v60 offset:64 th:TH_STORE_NT
	flat_store_b16 v[10:11], v63 offset:128 th:TH_STORE_NT
	;; [unrolled: 1-line block ×7, first 2 shown]
	v_add_nc_u64_e32 v[12:13], v[12:13], v[70:71]
	v_add_nc_u64_e32 v[14:15], v[14:15], v[70:71]
	s_wait_xcnt 0x8
	v_add_nc_u64_e32 v[8:9], v[8:9], v[70:71]
	v_cmp_gt_i32_e32 vcc_lo, 1, v19
	s_wait_xcnt 0x0
	v_add_nc_u64_e32 v[10:11], v[10:11], v[70:71]
	s_or_b32 s14, vcc_lo, s14
	s_delay_alu instid0(SALU_CYCLE_1)
	s_and_not1_b32 exec_lo, exec_lo, s14
	s_cbranch_execz .LBB6_857
.LBB6_825:                              ;   Parent Loop BB6_47 Depth=1
                                        ;     Parent Loop BB6_631 Depth=2
                                        ; =>    This Inner Loop Header: Depth=3
	s_clause 0x6
	flat_load_u16 v63, v[12:13] offset:128 th:TH_LOAD_NT
	flat_load_u16 v74, v[12:13] offset:192 th:TH_LOAD_NT
	;; [unrolled: 1-line block ×6, first 2 shown]
	flat_load_u16 v22, v[12:13] th:TH_LOAD_NT
	s_clause 0x6
	flat_load_u16 v93, v[14:15] offset:128 th:TH_LOAD_NT
	flat_load_u16 v77, v[14:15] offset:192 th:TH_LOAD_NT
	;; [unrolled: 1-line block ×6, first 2 shown]
	flat_load_u16 v95, v[14:15] th:TH_LOAD_NT
	flat_load_u16 v60, v[12:13] offset:64 th:TH_LOAD_NT
	flat_load_u16 v94, v[14:15] offset:64 th:TH_LOAD_NT
	s_wait_loadcnt_dscnt 0x202
	v_dual_lshlrev_b32 v22, 16, v22 :: v_dual_lshlrev_b32 v95, 16, v95
	s_delay_alu instid0(VALU_DEP_1) | instskip(NEXT) | instid1(VALU_DEP_1)
	v_mul_f32_e32 v95, v95, v22
	v_and_b32_e32 v22, 0x7f800000, v95
	s_delay_alu instid0(VALU_DEP_1) | instskip(SKIP_2) | instid1(SALU_CYCLE_1)
	v_cmp_ne_u32_e32 vcc_lo, 0x7f800000, v22
                                        ; implicit-def: $vgpr22
	s_wait_xcnt 0x0
	s_and_saveexec_b32 s40, vcc_lo
	s_xor_b32 s40, exec_lo, s40
; %bb.826:                              ;   in Loop: Header=BB6_825 Depth=3
	v_bfe_u32 v22, v95, 16, 1
	s_delay_alu instid0(VALU_DEP_1)
	v_add3_u32 v22, v95, v22, 0x7fff
                                        ; implicit-def: $vgpr95
; %bb.827:                              ;   in Loop: Header=BB6_825 Depth=3
	s_and_not1_saveexec_b32 s40, s40
; %bb.828:                              ;   in Loop: Header=BB6_825 Depth=3
	v_and_b32_e32 v22, 0xffff, v95
	v_or_b32_e32 v104, 0x10000, v95
	s_delay_alu instid0(VALU_DEP_2) | instskip(NEXT) | instid1(VALU_DEP_2)
	v_cmp_eq_u32_e32 vcc_lo, 0, v22
	v_cndmask_b32_e32 v22, v104, v95, vcc_lo
; %bb.829:                              ;   in Loop: Header=BB6_825 Depth=3
	s_or_b32 exec_lo, exec_lo, s40
	s_wait_loadcnt_dscnt 0x0
	v_dual_lshlrev_b32 v60, 16, v60 :: v_dual_lshlrev_b32 v94, 16, v94
	s_delay_alu instid0(VALU_DEP_1) | instskip(NEXT) | instid1(VALU_DEP_1)
	v_mul_f32_e32 v94, v94, v60
	v_and_b32_e32 v60, 0x7f800000, v94
	s_delay_alu instid0(VALU_DEP_1) | instskip(SKIP_1) | instid1(SALU_CYCLE_1)
	v_cmp_ne_u32_e32 vcc_lo, 0x7f800000, v60
                                        ; implicit-def: $vgpr60
	s_and_saveexec_b32 s40, vcc_lo
	s_xor_b32 s40, exec_lo, s40
; %bb.830:                              ;   in Loop: Header=BB6_825 Depth=3
	v_bfe_u32 v60, v94, 16, 1
	s_delay_alu instid0(VALU_DEP_1)
	v_add3_u32 v60, v94, v60, 0x7fff
                                        ; implicit-def: $vgpr94
; %bb.831:                              ;   in Loop: Header=BB6_825 Depth=3
	s_and_not1_saveexec_b32 s40, s40
; %bb.832:                              ;   in Loop: Header=BB6_825 Depth=3
	v_and_b32_e32 v60, 0xffff, v94
	v_or_b32_e32 v95, 0x10000, v94
	s_delay_alu instid0(VALU_DEP_2) | instskip(NEXT) | instid1(VALU_DEP_2)
	v_cmp_eq_u32_e32 vcc_lo, 0, v60
	v_cndmask_b32_e32 v60, v95, v94, vcc_lo
; %bb.833:                              ;   in Loop: Header=BB6_825 Depth=3
	s_or_b32 exec_lo, exec_lo, s40
	v_dual_lshlrev_b32 v63, 16, v63 :: v_dual_lshlrev_b32 v93, 16, v93
	s_delay_alu instid0(VALU_DEP_1) | instskip(NEXT) | instid1(VALU_DEP_1)
	v_mul_f32_e32 v93, v93, v63
	v_and_b32_e32 v63, 0x7f800000, v93
	s_delay_alu instid0(VALU_DEP_1) | instskip(SKIP_1) | instid1(SALU_CYCLE_1)
	v_cmp_ne_u32_e32 vcc_lo, 0x7f800000, v63
                                        ; implicit-def: $vgpr63
	s_and_saveexec_b32 s40, vcc_lo
	s_xor_b32 s40, exec_lo, s40
; %bb.834:                              ;   in Loop: Header=BB6_825 Depth=3
	v_bfe_u32 v63, v93, 16, 1
	s_delay_alu instid0(VALU_DEP_1)
	v_add3_u32 v63, v93, v63, 0x7fff
                                        ; implicit-def: $vgpr93
; %bb.835:                              ;   in Loop: Header=BB6_825 Depth=3
	s_and_not1_saveexec_b32 s40, s40
; %bb.836:                              ;   in Loop: Header=BB6_825 Depth=3
	v_and_b32_e32 v63, 0xffff, v93
	v_or_b32_e32 v94, 0x10000, v93
	s_delay_alu instid0(VALU_DEP_2) | instskip(NEXT) | instid1(VALU_DEP_2)
	v_cmp_eq_u32_e32 vcc_lo, 0, v63
	v_cndmask_b32_e32 v63, v94, v93, vcc_lo
; %bb.837:                              ;   in Loop: Header=BB6_825 Depth=3
	s_or_b32 exec_lo, exec_lo, s40
	v_dual_lshlrev_b32 v74, 16, v74 :: v_dual_lshlrev_b32 v77, 16, v77
	s_delay_alu instid0(VALU_DEP_1) | instskip(NEXT) | instid1(VALU_DEP_1)
	v_mul_f32_e32 v77, v77, v74
	v_and_b32_e32 v74, 0x7f800000, v77
	s_delay_alu instid0(VALU_DEP_1) | instskip(SKIP_1) | instid1(SALU_CYCLE_1)
	v_cmp_ne_u32_e32 vcc_lo, 0x7f800000, v74
                                        ; implicit-def: $vgpr74
	s_and_saveexec_b32 s40, vcc_lo
	s_xor_b32 s40, exec_lo, s40
; %bb.838:                              ;   in Loop: Header=BB6_825 Depth=3
	v_bfe_u32 v74, v77, 16, 1
	s_delay_alu instid0(VALU_DEP_1)
	v_add3_u32 v74, v77, v74, 0x7fff
                                        ; implicit-def: $vgpr77
; %bb.839:                              ;   in Loop: Header=BB6_825 Depth=3
	s_and_not1_saveexec_b32 s40, s40
; %bb.840:                              ;   in Loop: Header=BB6_825 Depth=3
	v_and_b32_e32 v74, 0xffff, v77
	v_or_b32_e32 v93, 0x10000, v77
	s_delay_alu instid0(VALU_DEP_2) | instskip(NEXT) | instid1(VALU_DEP_2)
	v_cmp_eq_u32_e32 vcc_lo, 0, v74
	v_cndmask_b32_e32 v74, v93, v77, vcc_lo
; %bb.841:                              ;   in Loop: Header=BB6_825 Depth=3
	s_or_b32 exec_lo, exec_lo, s40
	v_dual_lshlrev_b32 v75, 16, v75 :: v_dual_lshlrev_b32 v76, 16, v76
	s_delay_alu instid0(VALU_DEP_1) | instskip(NEXT) | instid1(VALU_DEP_1)
	v_mul_f32_e32 v76, v76, v75
	v_and_b32_e32 v75, 0x7f800000, v76
	s_delay_alu instid0(VALU_DEP_1) | instskip(SKIP_1) | instid1(SALU_CYCLE_1)
	v_cmp_ne_u32_e32 vcc_lo, 0x7f800000, v75
                                        ; implicit-def: $vgpr75
	s_and_saveexec_b32 s40, vcc_lo
	s_xor_b32 s40, exec_lo, s40
; %bb.842:                              ;   in Loop: Header=BB6_825 Depth=3
	v_bfe_u32 v75, v76, 16, 1
	s_delay_alu instid0(VALU_DEP_1)
	v_add3_u32 v75, v76, v75, 0x7fff
                                        ; implicit-def: $vgpr76
; %bb.843:                              ;   in Loop: Header=BB6_825 Depth=3
	s_and_not1_saveexec_b32 s40, s40
; %bb.844:                              ;   in Loop: Header=BB6_825 Depth=3
	v_and_b32_e32 v75, 0xffff, v76
	v_or_b32_e32 v77, 0x10000, v76
	s_delay_alu instid0(VALU_DEP_2) | instskip(NEXT) | instid1(VALU_DEP_2)
	v_cmp_eq_u32_e32 vcc_lo, 0, v75
	v_cndmask_b32_e32 v75, v77, v76, vcc_lo
; %bb.845:                              ;   in Loop: Header=BB6_825 Depth=3
	s_or_b32 exec_lo, exec_lo, s40
	v_dual_lshlrev_b32 v72, 16, v72 :: v_dual_lshlrev_b32 v73, 16, v73
	s_delay_alu instid0(VALU_DEP_1) | instskip(NEXT) | instid1(VALU_DEP_1)
	v_mul_f32_e32 v73, v73, v72
	v_and_b32_e32 v72, 0x7f800000, v73
	s_delay_alu instid0(VALU_DEP_1) | instskip(SKIP_1) | instid1(SALU_CYCLE_1)
	v_cmp_ne_u32_e32 vcc_lo, 0x7f800000, v72
                                        ; implicit-def: $vgpr72
	s_and_saveexec_b32 s40, vcc_lo
	s_xor_b32 s40, exec_lo, s40
; %bb.846:                              ;   in Loop: Header=BB6_825 Depth=3
	v_bfe_u32 v72, v73, 16, 1
	s_delay_alu instid0(VALU_DEP_1)
	v_add3_u32 v72, v73, v72, 0x7fff
                                        ; implicit-def: $vgpr73
; %bb.847:                              ;   in Loop: Header=BB6_825 Depth=3
	s_and_not1_saveexec_b32 s40, s40
; %bb.848:                              ;   in Loop: Header=BB6_825 Depth=3
	v_and_b32_e32 v72, 0xffff, v73
	v_or_b32_e32 v76, 0x10000, v73
	s_delay_alu instid0(VALU_DEP_2) | instskip(NEXT) | instid1(VALU_DEP_2)
	v_cmp_eq_u32_e32 vcc_lo, 0, v72
	v_cndmask_b32_e32 v72, v76, v73, vcc_lo
; %bb.849:                              ;   in Loop: Header=BB6_825 Depth=3
	s_or_b32 exec_lo, exec_lo, s40
	v_dual_lshlrev_b32 v61, 16, v61 :: v_dual_lshlrev_b32 v62, 16, v62
	s_delay_alu instid0(VALU_DEP_1) | instskip(NEXT) | instid1(VALU_DEP_1)
	v_mul_f32_e32 v62, v62, v61
	v_and_b32_e32 v61, 0x7f800000, v62
	s_delay_alu instid0(VALU_DEP_1) | instskip(SKIP_1) | instid1(SALU_CYCLE_1)
	v_cmp_ne_u32_e32 vcc_lo, 0x7f800000, v61
                                        ; implicit-def: $vgpr61
	s_and_saveexec_b32 s40, vcc_lo
	s_xor_b32 s40, exec_lo, s40
; %bb.850:                              ;   in Loop: Header=BB6_825 Depth=3
	v_bfe_u32 v61, v62, 16, 1
	s_delay_alu instid0(VALU_DEP_1)
	v_add3_u32 v61, v62, v61, 0x7fff
                                        ; implicit-def: $vgpr62
; %bb.851:                              ;   in Loop: Header=BB6_825 Depth=3
	s_and_not1_saveexec_b32 s40, s40
; %bb.852:                              ;   in Loop: Header=BB6_825 Depth=3
	v_and_b32_e32 v61, 0xffff, v62
	v_or_b32_e32 v73, 0x10000, v62
	s_delay_alu instid0(VALU_DEP_2) | instskip(NEXT) | instid1(VALU_DEP_2)
	v_cmp_eq_u32_e32 vcc_lo, 0, v61
	v_cndmask_b32_e32 v61, v73, v62, vcc_lo
; %bb.853:                              ;   in Loop: Header=BB6_825 Depth=3
	s_or_b32 exec_lo, exec_lo, s40
	v_lshlrev_b32_e32 v23, 16, v23
	v_lshlrev_b32_e32 v43, 16, v43
	s_delay_alu instid0(VALU_DEP_1) | instskip(NEXT) | instid1(VALU_DEP_1)
	v_mul_f32_e32 v43, v43, v23
	v_and_b32_e32 v23, 0x7f800000, v43
	s_delay_alu instid0(VALU_DEP_1) | instskip(SKIP_1) | instid1(SALU_CYCLE_1)
	v_cmp_ne_u32_e32 vcc_lo, 0x7f800000, v23
                                        ; implicit-def: $vgpr23
	s_and_saveexec_b32 s40, vcc_lo
	s_xor_b32 s40, exec_lo, s40
; %bb.854:                              ;   in Loop: Header=BB6_825 Depth=3
	v_bfe_u32 v23, v43, 16, 1
	s_delay_alu instid0(VALU_DEP_1)
	v_add3_u32 v23, v43, v23, 0x7fff
                                        ; implicit-def: $vgpr43
; %bb.855:                              ;   in Loop: Header=BB6_825 Depth=3
	s_and_not1_saveexec_b32 s40, s40
	s_cbranch_execz .LBB6_824
; %bb.856:                              ;   in Loop: Header=BB6_825 Depth=3
	v_and_b32_e32 v23, 0xffff, v43
	v_or_b32_e32 v62, 0x10000, v43
	s_delay_alu instid0(VALU_DEP_2) | instskip(NEXT) | instid1(VALU_DEP_2)
	v_cmp_eq_u32_e32 vcc_lo, 0, v23
	v_cndmask_b32_e32 v23, v62, v43, vcc_lo
	s_branch .LBB6_824
.LBB6_857:                              ;   in Loop: Header=BB6_631 Depth=2
	s_or_b32 exec_lo, exec_lo, s14
.LBB6_858:                              ;   in Loop: Header=BB6_631 Depth=2
	s_delay_alu instid0(SALU_CYCLE_1) | instskip(SKIP_1) | instid1(VALU_DEP_1)
	s_or_b32 exec_lo, exec_lo, s13
	v_lshlrev_b32_e32 v8, 9, v21
	v_cmp_ne_u32_e32 vcc_lo, v17, v8
	s_and_b32 exec_lo, exec_lo, vcc_lo
	s_cbranch_execz .LBB6_868
; %bb.859:                              ;   in Loop: Header=BB6_631 Depth=2
	v_dual_add_nc_u32 v9, v18, v20 :: v_dual_lshlrev_b32 v10, 5, v19
	s_delay_alu instid0(VALU_DEP_1) | instskip(NEXT) | instid1(VALU_DEP_1)
	v_and_b32_e32 v9, 0xffffffe0, v9
	v_sub_nc_u32_e32 v9, v18, v9
	s_delay_alu instid0(VALU_DEP_1) | instskip(NEXT) | instid1(VALU_DEP_1)
	v_sub_nc_u32_e32 v9, v9, v10
	v_ashrrev_i32_e32 v10, 31, v9
	s_delay_alu instid0(VALU_DEP_1) | instskip(NEXT) | instid1(VALU_DEP_1)
	v_lshrrev_b32_e32 v10, 27, v10
	v_add_nc_u32_e32 v10, v9, v10
	s_delay_alu instid0(VALU_DEP_1) | instskip(NEXT) | instid1(VALU_DEP_1)
	v_and_b32_e32 v11, 0x7fffffe0, v10
	v_dual_lshlrev_b32 v10, 1, v10 :: v_dual_sub_nc_u32 v9, v9, v11
	s_delay_alu instid0(VALU_DEP_1) | instskip(NEXT) | instid1(VALU_DEP_2)
	v_and_b32_e32 v10, 0xffffffc0, v10
	v_lshlrev_b32_e32 v9, 1, v9
	s_delay_alu instid0(VALU_DEP_1) | instskip(NEXT) | instid1(VALU_DEP_1)
	v_add3_u32 v8, v10, v9, v8
	v_sub_nc_u32_e32 v17, v17, v8
	s_delay_alu instid0(VALU_DEP_1)
	v_cmp_lt_i32_e32 vcc_lo, 1, v17
	s_and_b32 exec_lo, exec_lo, vcc_lo
	s_cbranch_execz .LBB6_868
; %bb.860:                              ;   in Loop: Header=BB6_631 Depth=2
	s_trap 2
	ds_load_b64 v[14:15], v0
	v_add_nc_u32_e32 v18, v8, v16
	s_mov_b32 s62, 0
	s_delay_alu instid0(VALU_DEP_1) | instskip(NEXT) | instid1(VALU_DEP_1)
	v_ashrrev_i32_e32 v19, 31, v18
	v_add_nc_u64_e32 v[8:9], v[18:19], v[56:57]
	v_add_nc_u64_e32 v[10:11], v[18:19], v[58:59]
	;; [unrolled: 1-line block ×3, first 2 shown]
	s_wait_dscnt 0x0
	v_add_nc_u64_e32 v[14:15], v[14:15], v[18:19]
.LBB6_861:                              ;   Parent Loop BB6_47 Depth=1
                                        ;     Parent Loop BB6_631 Depth=2
                                        ; =>    This Loop Header: Depth=3
                                        ;         Child Loop BB6_866 Depth 4
	flat_load_u16 v16, v[12:13] th:TH_LOAD_NT
	flat_load_u16 v18, v[14:15] th:TH_LOAD_NT
	s_wait_loadcnt_dscnt 0x0
	v_dual_lshlrev_b32 v16, 16, v16 :: v_dual_lshlrev_b32 v18, 16, v18
	s_delay_alu instid0(VALU_DEP_1) | instskip(NEXT) | instid1(VALU_DEP_1)
	v_mul_f32_e32 v16, v18, v16
	v_and_b32_e32 v18, 0x7f800000, v16
	s_delay_alu instid0(VALU_DEP_1) | instskip(SKIP_2) | instid1(SALU_CYCLE_1)
	v_cmp_ne_u32_e32 vcc_lo, 0x7f800000, v18
                                        ; implicit-def: $vgpr18
	s_wait_xcnt 0x0
	s_and_saveexec_b32 s13, vcc_lo
	s_xor_b32 s13, exec_lo, s13
; %bb.862:                              ;   in Loop: Header=BB6_861 Depth=3
	v_bfe_u32 v18, v16, 16, 1
	s_delay_alu instid0(VALU_DEP_1)
	v_add3_u32 v18, v16, v18, 0x7fff
                                        ; implicit-def: $vgpr16
; %bb.863:                              ;   in Loop: Header=BB6_861 Depth=3
	s_and_not1_saveexec_b32 s13, s13
; %bb.864:                              ;   in Loop: Header=BB6_861 Depth=3
	v_and_b32_e32 v18, 0xffff, v16
	v_or_b32_e32 v19, 0x10000, v16
	s_delay_alu instid0(VALU_DEP_2) | instskip(NEXT) | instid1(VALU_DEP_2)
	v_cmp_eq_u32_e32 vcc_lo, 0, v18
	v_cndmask_b32_e32 v18, v19, v16, vcc_lo
; %bb.865:                              ;   in Loop: Header=BB6_861 Depth=3
	s_or_b32 exec_lo, exec_lo, s13
	s_delay_alu instid0(VALU_DEP_1)
	v_lshrrev_b32_e32 v16, 16, v18
	s_mov_b64 s[40:41], 0
	s_mov_b32 s63, -1
.LBB6_866:                              ;   Parent Loop BB6_47 Depth=1
                                        ;     Parent Loop BB6_631 Depth=2
                                        ;       Parent Loop BB6_861 Depth=3
                                        ; =>      This Inner Loop Header: Depth=4
	s_cmp_eq_u32 s40, 1
	s_cselect_b32 vcc_lo, -1, 0
	s_cmp_eq_u32 s40, 0
	s_wait_xcnt 0x0
	v_dual_cndmask_b32 v19, v9, v11 :: v_dual_cndmask_b32 v18, v8, v10
	s_cselect_b32 s13, -1, 0
	s_and_b32 s14, exec_lo, s63
	s_mov_b64 s[40:41], 1
	s_mov_b32 s63, 0
	v_add_nc_u64_e32 v[20:21], 64, v[18:19]
	flat_store_b16 v[18:19], v16 th:TH_STORE_NT
	v_dual_cndmask_b32 v11, v11, v21 :: v_dual_cndmask_b32 v10, v10, v20
	v_dual_cndmask_b32 v9, v9, v21, s13 :: v_dual_cndmask_b32 v8, v8, v20, s13
	s_mov_b32 vcc_lo, s14
	s_cbranch_vccnz .LBB6_866
; %bb.867:                              ;   in Loop: Header=BB6_861 Depth=3
	v_sub_nc_u32_e32 v17, v17, v80
	v_add_nc_u64_e32 v[12:13], v[12:13], v[100:101]
	v_add_nc_u64_e32 v[14:15], v[14:15], v[100:101]
	;; [unrolled: 1-line block ×4, first 2 shown]
	v_cmp_gt_i32_e32 vcc_lo, 2, v17
	s_or_b32 s62, vcc_lo, s62
	s_wait_xcnt 0x0
	s_and_not1_b32 exec_lo, exec_lo, s62
	s_cbranch_execnz .LBB6_861
.LBB6_868:                              ;   in Loop: Header=BB6_631 Depth=2
	s_or_b32 exec_lo, exec_lo, s15
	s_mov_b32 s13, 0
.LBB6_869:                              ;   in Loop: Header=BB6_631 Depth=2
	s_delay_alu instid0(SALU_CYCLE_1)
	s_and_b32 vcc_lo, exec_lo, s13
	s_cbranch_vccz .LBB6_1030
; %bb.870:                              ;   in Loop: Header=BB6_631 Depth=2
	s_mov_b32 s13, -1
	s_and_saveexec_b32 s14, s12
	s_cbranch_execz .LBB6_872
; %bb.871:                              ;   in Loop: Header=BB6_631 Depth=2
	ds_load_b32 v8, v0 offset:720
	s_wait_dscnt 0x0
	v_and_b32_e32 v8, 15, v8
	s_delay_alu instid0(VALU_DEP_1)
	v_cmp_eq_u32_e32 vcc_lo, 0, v8
	s_or_not1_b32 s13, vcc_lo, exec_lo
.LBB6_872:                              ;   in Loop: Header=BB6_631 Depth=2
	s_or_b32 exec_lo, exec_lo, s14
	s_and_saveexec_b32 s14, s7
	s_cbranch_execz .LBB6_874
; %bb.873:                              ;   in Loop: Header=BB6_631 Depth=2
	ds_load_b32 v8, v0 offset:784
	s_wait_dscnt 0x0
	v_and_b32_e32 v8, 15, v8
	s_delay_alu instid0(VALU_DEP_1) | instskip(SKIP_3) | instid1(SALU_CYCLE_1)
	v_cmp_eq_u32_e32 vcc_lo, 0, v8
	s_and_b32 s15, s13, vcc_lo
	s_and_not1_b32 s13, s13, exec_lo
	s_and_b32 s15, s15, exec_lo
	s_or_b32 s13, s13, s15
.LBB6_874:                              ;   in Loop: Header=BB6_631 Depth=2
	s_or_b32 exec_lo, exec_lo, s14
	s_xor_b32 s13, s13, -1
	v_mov_b32_e32 v14, 0
	v_cndmask_b32_e64 v8, 0, 1, s13
	s_mov_b32 s15, -1
	s_delay_alu instid0(VALU_DEP_1)
	v_cmp_ne_u32_e32 vcc_lo, 0, v8
	s_cbranch_vccz .LBB6_876
; %bb.875:                              ;   in Loop: Header=BB6_631 Depth=2
	v_dual_mov_b32 v15, v0 :: v_dual_mov_b32 v8, v90
	s_and_saveexec_b32 s13, s15
	s_cbranch_execnz .LBB6_985
	s_branch .LBB6_1029
.LBB6_876:                              ;   in Loop: Header=BB6_631 Depth=2
	v_ashrrev_i32_e32 v8, 31, v41
	s_mov_b32 s13, exec_lo
	s_delay_alu instid0(VALU_DEP_1) | instskip(NEXT) | instid1(VALU_DEP_1)
	v_lshrrev_b32_e32 v8, 22, v8
	v_add_nc_u32_e32 v8, v41, v8
	s_delay_alu instid0(VALU_DEP_1) | instskip(NEXT) | instid1(VALU_DEP_1)
	v_ashrrev_i32_e32 v74, 10, v8
	v_sub_nc_u32_e32 v43, v74, v90
	s_delay_alu instid0(VALU_DEP_1)
	v_cmpx_lt_i32_e32 0, v43
	s_cbranch_execz .LBB6_944
; %bb.877:                              ;   in Loop: Header=BB6_631 Depth=2
	s_trap 2
	ds_load_b64 v[8:9], v0
	v_add_nc_u64_e32 v[58:59], v[46:47], v[102:103]
	v_add_nc_u64_e32 v[62:63], v[56:57], v[102:103]
	s_mov_b32 s14, 0
	s_wait_dscnt 0x0
	v_add_nc_u64_e32 v[60:61], v[8:9], v[102:103]
	s_branch .LBB6_879
.LBB6_878:                              ;   in Loop: Header=BB6_879 Depth=3
	s_or_b32 exec_lo, exec_lo, s15
	v_dual_lshrrev_b32 v8, 16, v72 :: v_dual_lshrrev_b32 v9, 16, v75
	v_dual_lshrrev_b32 v15, 16, v73 :: v_dual_sub_nc_u32 v43, v43, v52
	v_add_nc_u64_e32 v[58:59], v[58:59], v[82:83]
	s_delay_alu instid0(VALU_DEP_3)
	v_and_or_b32 v105, 0xffff0000, v21, v8
	v_lshrrev_b32_e32 v8, 16, v22
	v_and_or_b32 v104, 0xffff0000, v20, v9
	v_and_or_b32 v106, 0xffff0000, v18, v15
	v_dual_lshrrev_b32 v9, 16, v16 :: v_dual_lshrrev_b32 v15, 16, v23
	v_dual_lshrrev_b32 v16, 16, v17 :: v_dual_lshrrev_b32 v14, 16, v14
	v_and_or_b32 v107, 0xffff0000, v19, v8
	s_delay_alu instid0(VALU_DEP_3) | instskip(NEXT) | instid1(VALU_DEP_4)
	v_and_or_b32 v9, 0xffff0000, v13, v9
	v_and_or_b32 v8, 0xffff0000, v12, v15
	s_delay_alu instid0(VALU_DEP_4)
	v_and_or_b32 v10, 0xffff0000, v10, v16
	v_and_or_b32 v11, 0xffff0000, v11, v14
	s_clause 0x1
	global_store_b128 v[62:63], v[104:107], off th:TH_STORE_NT
	global_store_b128 v[62:63], v[8:11], off offset:512 th:TH_STORE_NT
	v_add_nc_u64_e32 v[60:61], v[60:61], v[82:83]
	v_cmp_gt_i32_e32 vcc_lo, 1, v43
	s_wait_xcnt 0x0
	v_add_nc_u64_e32 v[62:63], v[62:63], v[82:83]
	s_or_b32 s14, vcc_lo, s14
	s_delay_alu instid0(SALU_CYCLE_1)
	s_and_not1_b32 exec_lo, exec_lo, s14
	s_cbranch_execz .LBB6_943
.LBB6_879:                              ;   Parent Loop BB6_47 Depth=1
                                        ;     Parent Loop BB6_631 Depth=2
                                        ; =>    This Inner Loop Header: Depth=3
	global_load_b128 v[16:19], v[58:59], off th:TH_LOAD_NT
	global_load_b128 v[20:23], v[60:61], off th:TH_LOAD_NT
	global_load_b128 v[8:11], v[58:59], off offset:512 th:TH_LOAD_NT
	global_load_b128 v[12:15], v[60:61], off offset:512 th:TH_LOAD_NT
	s_mov_b32 s15, exec_lo
                                        ; implicit-def: $vgpr75
	s_wait_loadcnt 0x3
	v_lshlrev_b32_e32 v72, 16, v16
	s_wait_loadcnt 0x2
	v_lshlrev_b32_e32 v73, 16, v20
	s_delay_alu instid0(VALU_DEP_1) | instskip(NEXT) | instid1(VALU_DEP_1)
	v_mul_f32_e32 v72, v72, v73
	v_and_b32_e32 v73, 0x7f800000, v72
	s_wait_xcnt 0x0
	s_delay_alu instid0(VALU_DEP_1)
	v_cmpx_ne_u32_e32 0x7f800000, v73
	s_xor_b32 s15, exec_lo, s15
; %bb.880:                              ;   in Loop: Header=BB6_879 Depth=3
	v_bfe_u32 v73, v72, 16, 1
	s_delay_alu instid0(VALU_DEP_1)
	v_add3_u32 v75, v72, v73, 0x7fff
                                        ; implicit-def: $vgpr72
; %bb.881:                              ;   in Loop: Header=BB6_879 Depth=3
	s_and_not1_saveexec_b32 s15, s15
; %bb.882:                              ;   in Loop: Header=BB6_879 Depth=3
	v_and_b32_e32 v73, 0xffff, v72
	v_or_b32_e32 v75, 0x10000, v72
	s_delay_alu instid0(VALU_DEP_2) | instskip(NEXT) | instid1(VALU_DEP_2)
	v_cmp_eq_u32_e32 vcc_lo, 0, v73
	v_cndmask_b32_e32 v75, v75, v72, vcc_lo
; %bb.883:                              ;   in Loop: Header=BB6_879 Depth=3
	s_or_b32 exec_lo, exec_lo, s15
	v_and_b32_e32 v73, 0xffff0000, v20
	v_and_b32_e32 v72, 0xffff0000, v16
	s_mov_b32 s15, exec_lo
                                        ; implicit-def: $vgpr20
	s_delay_alu instid0(VALU_DEP_2) | instskip(NEXT) | instid1(VALU_DEP_1)
	v_mov_b32_e32 v16, v73
	v_pk_mul_f32 v[72:73], v[16:17], v[72:73]
	s_delay_alu instid0(VALU_DEP_1) | instskip(NEXT) | instid1(VALU_DEP_1)
	v_and_b32_e32 v16, 0x7f800000, v72
	v_cmpx_ne_u32_e32 0x7f800000, v16
	s_xor_b32 s15, exec_lo, s15
; %bb.884:                              ;   in Loop: Header=BB6_879 Depth=3
	v_bfe_u32 v16, v72, 16, 1
	s_delay_alu instid0(VALU_DEP_1)
	v_add3_u32 v20, v72, v16, 0x7fff
                                        ; implicit-def: $vgpr72_vgpr73
; %bb.885:                              ;   in Loop: Header=BB6_879 Depth=3
	s_and_not1_saveexec_b32 s15, s15
; %bb.886:                              ;   in Loop: Header=BB6_879 Depth=3
	v_and_b32_e32 v16, 0xffff, v72
	v_or_b32_e32 v20, 0x10000, v72
	s_delay_alu instid0(VALU_DEP_2) | instskip(NEXT) | instid1(VALU_DEP_2)
	v_cmp_eq_u32_e32 vcc_lo, 0, v16
	v_cndmask_b32_e32 v20, v20, v72, vcc_lo
; %bb.887:                              ;   in Loop: Header=BB6_879 Depth=3
	s_or_b32 exec_lo, exec_lo, s15
	v_lshlrev_b32_e32 v16, 16, v17
	v_lshlrev_b32_e32 v72, 16, v21
	s_delay_alu instid0(VALU_DEP_1) | instskip(NEXT) | instid1(VALU_DEP_1)
	v_mul_f32_e32 v16, v72, v16
	v_and_b32_e32 v72, 0x7f800000, v16
	s_delay_alu instid0(VALU_DEP_1) | instskip(SKIP_1) | instid1(SALU_CYCLE_1)
	v_cmp_ne_u32_e32 vcc_lo, 0x7f800000, v72
                                        ; implicit-def: $vgpr72
	s_and_saveexec_b32 s15, vcc_lo
	s_xor_b32 s15, exec_lo, s15
; %bb.888:                              ;   in Loop: Header=BB6_879 Depth=3
	v_bfe_u32 v72, v16, 16, 1
	s_delay_alu instid0(VALU_DEP_1)
	v_add3_u32 v72, v16, v72, 0x7fff
                                        ; implicit-def: $vgpr16
; %bb.889:                              ;   in Loop: Header=BB6_879 Depth=3
	s_and_not1_saveexec_b32 s15, s15
; %bb.890:                              ;   in Loop: Header=BB6_879 Depth=3
	v_and_b32_e32 v72, 0xffff, v16
	v_or_b32_e32 v73, 0x10000, v16
	s_delay_alu instid0(VALU_DEP_2) | instskip(NEXT) | instid1(VALU_DEP_2)
	v_cmp_eq_u32_e32 vcc_lo, 0, v72
	v_cndmask_b32_e32 v72, v73, v16, vcc_lo
; %bb.891:                              ;   in Loop: Header=BB6_879 Depth=3
	s_or_b32 exec_lo, exec_lo, s15
	v_and_b32_e32 v77, 0xffff0000, v21
	v_and_b32_e32 v76, 0xffff0000, v17
	s_mov_b32 s15, exec_lo
                                        ; implicit-def: $vgpr21
	s_delay_alu instid0(VALU_DEP_2) | instskip(NEXT) | instid1(VALU_DEP_1)
	v_mov_b32_e32 v16, v77
	v_pk_mul_f32 v[16:17], v[16:17], v[76:77]
	s_delay_alu instid0(VALU_DEP_1) | instskip(NEXT) | instid1(VALU_DEP_1)
	v_and_b32_e32 v17, 0x7f800000, v16
	v_cmpx_ne_u32_e32 0x7f800000, v17
	s_xor_b32 s15, exec_lo, s15
; %bb.892:                              ;   in Loop: Header=BB6_879 Depth=3
	v_bfe_u32 v17, v16, 16, 1
	s_delay_alu instid0(VALU_DEP_1)
	v_add3_u32 v21, v16, v17, 0x7fff
                                        ; implicit-def: $vgpr16_vgpr17
; %bb.893:                              ;   in Loop: Header=BB6_879 Depth=3
	s_and_not1_saveexec_b32 s15, s15
; %bb.894:                              ;   in Loop: Header=BB6_879 Depth=3
	v_and_b32_e32 v17, 0xffff, v16
	v_or_b32_e32 v21, 0x10000, v16
	s_delay_alu instid0(VALU_DEP_2) | instskip(NEXT) | instid1(VALU_DEP_2)
	v_cmp_eq_u32_e32 vcc_lo, 0, v17
	v_cndmask_b32_e32 v21, v21, v16, vcc_lo
; %bb.895:                              ;   in Loop: Header=BB6_879 Depth=3
	s_or_b32 exec_lo, exec_lo, s15
	v_lshlrev_b32_e32 v16, 16, v18
	v_lshlrev_b32_e32 v17, 16, v22
	s_mov_b32 s15, exec_lo
                                        ; implicit-def: $vgpr73
	s_delay_alu instid0(VALU_DEP_1) | instskip(NEXT) | instid1(VALU_DEP_1)
	v_mul_f32_e32 v16, v17, v16
	v_and_b32_e32 v17, 0x7f800000, v16
	s_delay_alu instid0(VALU_DEP_1)
	v_cmpx_ne_u32_e32 0x7f800000, v17
	s_xor_b32 s15, exec_lo, s15
; %bb.896:                              ;   in Loop: Header=BB6_879 Depth=3
	v_bfe_u32 v17, v16, 16, 1
	s_delay_alu instid0(VALU_DEP_1)
	v_add3_u32 v73, v16, v17, 0x7fff
                                        ; implicit-def: $vgpr16
; %bb.897:                              ;   in Loop: Header=BB6_879 Depth=3
	s_and_not1_saveexec_b32 s15, s15
; %bb.898:                              ;   in Loop: Header=BB6_879 Depth=3
	v_and_b32_e32 v17, 0xffff, v16
	v_or_b32_e32 v73, 0x10000, v16
	s_delay_alu instid0(VALU_DEP_2) | instskip(NEXT) | instid1(VALU_DEP_2)
	v_cmp_eq_u32_e32 vcc_lo, 0, v17
	v_cndmask_b32_e32 v73, v73, v16, vcc_lo
; %bb.899:                              ;   in Loop: Header=BB6_879 Depth=3
	s_or_b32 exec_lo, exec_lo, s15
	v_and_b32_e32 v17, 0xffff0000, v22
	v_and_b32_e32 v16, 0xffff0000, v18
	s_mov_b32 s15, exec_lo
	s_delay_alu instid0(VALU_DEP_2) | instskip(NEXT) | instid1(VALU_DEP_1)
	v_mov_b32_e32 v18, v17
	v_pk_mul_f32 v[16:17], v[18:19], v[16:17]
                                        ; implicit-def: $vgpr18
	s_delay_alu instid0(VALU_DEP_1) | instskip(NEXT) | instid1(VALU_DEP_1)
	v_and_b32_e32 v17, 0x7f800000, v16
	v_cmpx_ne_u32_e32 0x7f800000, v17
	s_xor_b32 s15, exec_lo, s15
; %bb.900:                              ;   in Loop: Header=BB6_879 Depth=3
	v_bfe_u32 v17, v16, 16, 1
	s_delay_alu instid0(VALU_DEP_1)
	v_add3_u32 v18, v16, v17, 0x7fff
                                        ; implicit-def: $vgpr16_vgpr17
; %bb.901:                              ;   in Loop: Header=BB6_879 Depth=3
	s_and_not1_saveexec_b32 s15, s15
; %bb.902:                              ;   in Loop: Header=BB6_879 Depth=3
	v_and_b32_e32 v17, 0xffff, v16
	v_or_b32_e32 v18, 0x10000, v16
	s_delay_alu instid0(VALU_DEP_2) | instskip(NEXT) | instid1(VALU_DEP_2)
	v_cmp_eq_u32_e32 vcc_lo, 0, v17
	v_cndmask_b32_e32 v18, v18, v16, vcc_lo
; %bb.903:                              ;   in Loop: Header=BB6_879 Depth=3
	s_or_b32 exec_lo, exec_lo, s15
	v_lshlrev_b32_e32 v16, 16, v19
	v_lshlrev_b32_e32 v17, 16, v23
	s_mov_b32 s15, exec_lo
                                        ; implicit-def: $vgpr22
	s_delay_alu instid0(VALU_DEP_1) | instskip(NEXT) | instid1(VALU_DEP_1)
	v_mul_f32_e32 v16, v17, v16
	v_and_b32_e32 v17, 0x7f800000, v16
	s_delay_alu instid0(VALU_DEP_1)
	v_cmpx_ne_u32_e32 0x7f800000, v17
	s_xor_b32 s15, exec_lo, s15
; %bb.904:                              ;   in Loop: Header=BB6_879 Depth=3
	v_bfe_u32 v17, v16, 16, 1
	s_delay_alu instid0(VALU_DEP_1)
	v_add3_u32 v22, v16, v17, 0x7fff
                                        ; implicit-def: $vgpr16
; %bb.905:                              ;   in Loop: Header=BB6_879 Depth=3
	s_and_not1_saveexec_b32 s15, s15
; %bb.906:                              ;   in Loop: Header=BB6_879 Depth=3
	v_and_b32_e32 v17, 0xffff, v16
	v_or_b32_e32 v22, 0x10000, v16
	s_delay_alu instid0(VALU_DEP_2) | instskip(NEXT) | instid1(VALU_DEP_2)
	v_cmp_eq_u32_e32 vcc_lo, 0, v17
	v_cndmask_b32_e32 v22, v22, v16, vcc_lo
; %bb.907:                              ;   in Loop: Header=BB6_879 Depth=3
	s_or_b32 exec_lo, exec_lo, s15
	v_and_b32_e32 v17, 0xffff0000, v23
	v_and_b32_e32 v16, 0xffff0000, v19
	s_mov_b32 s15, exec_lo
                                        ; implicit-def: $vgpr19
	s_delay_alu instid0(VALU_DEP_2) | instskip(NEXT) | instid1(VALU_DEP_1)
	v_mov_b32_e32 v76, v17
	v_pk_mul_f32 v[16:17], v[76:77], v[16:17]
	s_delay_alu instid0(VALU_DEP_1) | instskip(NEXT) | instid1(VALU_DEP_1)
	v_and_b32_e32 v17, 0x7f800000, v16
	v_cmpx_ne_u32_e32 0x7f800000, v17
	s_xor_b32 s15, exec_lo, s15
; %bb.908:                              ;   in Loop: Header=BB6_879 Depth=3
	v_bfe_u32 v17, v16, 16, 1
	s_delay_alu instid0(VALU_DEP_1)
	v_add3_u32 v19, v16, v17, 0x7fff
                                        ; implicit-def: $vgpr16_vgpr17
; %bb.909:                              ;   in Loop: Header=BB6_879 Depth=3
	s_and_not1_saveexec_b32 s15, s15
; %bb.910:                              ;   in Loop: Header=BB6_879 Depth=3
	v_and_b32_e32 v17, 0xffff, v16
	v_or_b32_e32 v19, 0x10000, v16
	s_delay_alu instid0(VALU_DEP_2) | instskip(NEXT) | instid1(VALU_DEP_2)
	v_cmp_eq_u32_e32 vcc_lo, 0, v17
	v_cndmask_b32_e32 v19, v19, v16, vcc_lo
; %bb.911:                              ;   in Loop: Header=BB6_879 Depth=3
	s_or_b32 exec_lo, exec_lo, s15
	s_wait_loadcnt 0x1
	v_lshlrev_b32_e32 v16, 16, v8
	s_wait_loadcnt 0x0
	v_lshlrev_b32_e32 v17, 16, v12
	s_mov_b32 s15, exec_lo
                                        ; implicit-def: $vgpr23
	s_delay_alu instid0(VALU_DEP_1) | instskip(NEXT) | instid1(VALU_DEP_1)
	v_mul_f32_e32 v16, v17, v16
	v_and_b32_e32 v17, 0x7f800000, v16
	s_delay_alu instid0(VALU_DEP_1)
	v_cmpx_ne_u32_e32 0x7f800000, v17
	s_xor_b32 s15, exec_lo, s15
; %bb.912:                              ;   in Loop: Header=BB6_879 Depth=3
	v_bfe_u32 v17, v16, 16, 1
	s_delay_alu instid0(VALU_DEP_1)
	v_add3_u32 v23, v16, v17, 0x7fff
                                        ; implicit-def: $vgpr16
; %bb.913:                              ;   in Loop: Header=BB6_879 Depth=3
	s_and_not1_saveexec_b32 s15, s15
; %bb.914:                              ;   in Loop: Header=BB6_879 Depth=3
	v_and_b32_e32 v17, 0xffff, v16
	v_or_b32_e32 v23, 0x10000, v16
	s_delay_alu instid0(VALU_DEP_2) | instskip(NEXT) | instid1(VALU_DEP_2)
	v_cmp_eq_u32_e32 vcc_lo, 0, v17
	v_cndmask_b32_e32 v23, v23, v16, vcc_lo
; %bb.915:                              ;   in Loop: Header=BB6_879 Depth=3
	s_or_b32 exec_lo, exec_lo, s15
	v_and_b32_e32 v17, 0xffff0000, v12
	v_and_b32_e32 v16, 0xffff0000, v8
	s_mov_b32 s15, exec_lo
                                        ; implicit-def: $vgpr12
	s_delay_alu instid0(VALU_DEP_2) | instskip(NEXT) | instid1(VALU_DEP_1)
	v_mov_b32_e32 v8, v17
	v_pk_mul_f32 v[16:17], v[8:9], v[16:17]
	s_delay_alu instid0(VALU_DEP_1) | instskip(NEXT) | instid1(VALU_DEP_1)
	v_and_b32_e32 v8, 0x7f800000, v16
	v_cmpx_ne_u32_e32 0x7f800000, v8
	s_xor_b32 s15, exec_lo, s15
; %bb.916:                              ;   in Loop: Header=BB6_879 Depth=3
	v_bfe_u32 v8, v16, 16, 1
	s_delay_alu instid0(VALU_DEP_1)
	v_add3_u32 v12, v16, v8, 0x7fff
                                        ; implicit-def: $vgpr16_vgpr17
; %bb.917:                              ;   in Loop: Header=BB6_879 Depth=3
	s_and_not1_saveexec_b32 s15, s15
; %bb.918:                              ;   in Loop: Header=BB6_879 Depth=3
	v_and_b32_e32 v8, 0xffff, v16
	v_or_b32_e32 v12, 0x10000, v16
	s_delay_alu instid0(VALU_DEP_2) | instskip(NEXT) | instid1(VALU_DEP_2)
	v_cmp_eq_u32_e32 vcc_lo, 0, v8
	v_cndmask_b32_e32 v12, v12, v16, vcc_lo
; %bb.919:                              ;   in Loop: Header=BB6_879 Depth=3
	s_or_b32 exec_lo, exec_lo, s15
	v_lshlrev_b32_e32 v8, 16, v9
	v_lshlrev_b32_e32 v16, 16, v13
	s_delay_alu instid0(VALU_DEP_1) | instskip(NEXT) | instid1(VALU_DEP_1)
	v_mul_f32_e32 v8, v16, v8
	v_and_b32_e32 v16, 0x7f800000, v8
	s_delay_alu instid0(VALU_DEP_1) | instskip(SKIP_1) | instid1(SALU_CYCLE_1)
	v_cmp_ne_u32_e32 vcc_lo, 0x7f800000, v16
                                        ; implicit-def: $vgpr16
	s_and_saveexec_b32 s15, vcc_lo
	s_xor_b32 s15, exec_lo, s15
; %bb.920:                              ;   in Loop: Header=BB6_879 Depth=3
	v_bfe_u32 v16, v8, 16, 1
	s_delay_alu instid0(VALU_DEP_1)
	v_add3_u32 v16, v8, v16, 0x7fff
                                        ; implicit-def: $vgpr8
; %bb.921:                              ;   in Loop: Header=BB6_879 Depth=3
	s_and_not1_saveexec_b32 s15, s15
; %bb.922:                              ;   in Loop: Header=BB6_879 Depth=3
	v_and_b32_e32 v16, 0xffff, v8
	v_or_b32_e32 v17, 0x10000, v8
	s_delay_alu instid0(VALU_DEP_2) | instskip(NEXT) | instid1(VALU_DEP_2)
	v_cmp_eq_u32_e32 vcc_lo, 0, v16
	v_cndmask_b32_e32 v16, v17, v8, vcc_lo
; %bb.923:                              ;   in Loop: Header=BB6_879 Depth=3
	s_or_b32 exec_lo, exec_lo, s15
	v_and_b32_e32 v77, 0xffff0000, v13
	v_and_b32_e32 v76, 0xffff0000, v9
	s_mov_b32 s15, exec_lo
                                        ; implicit-def: $vgpr13
	s_delay_alu instid0(VALU_DEP_2) | instskip(NEXT) | instid1(VALU_DEP_1)
	v_mov_b32_e32 v8, v77
	v_pk_mul_f32 v[8:9], v[8:9], v[76:77]
	s_delay_alu instid0(VALU_DEP_1) | instskip(NEXT) | instid1(VALU_DEP_1)
	v_and_b32_e32 v9, 0x7f800000, v8
	v_cmpx_ne_u32_e32 0x7f800000, v9
	s_xor_b32 s15, exec_lo, s15
; %bb.924:                              ;   in Loop: Header=BB6_879 Depth=3
	v_bfe_u32 v9, v8, 16, 1
	s_delay_alu instid0(VALU_DEP_1)
	v_add3_u32 v13, v8, v9, 0x7fff
                                        ; implicit-def: $vgpr8_vgpr9
; %bb.925:                              ;   in Loop: Header=BB6_879 Depth=3
	s_and_not1_saveexec_b32 s15, s15
; %bb.926:                              ;   in Loop: Header=BB6_879 Depth=3
	v_and_b32_e32 v9, 0xffff, v8
	v_or_b32_e32 v13, 0x10000, v8
	s_delay_alu instid0(VALU_DEP_2) | instskip(NEXT) | instid1(VALU_DEP_2)
	v_cmp_eq_u32_e32 vcc_lo, 0, v9
	v_cndmask_b32_e32 v13, v13, v8, vcc_lo
; %bb.927:                              ;   in Loop: Header=BB6_879 Depth=3
	s_or_b32 exec_lo, exec_lo, s15
	v_lshlrev_b32_e32 v8, 16, v10
	v_lshlrev_b32_e32 v9, 16, v14
	s_mov_b32 s15, exec_lo
                                        ; implicit-def: $vgpr17
	s_delay_alu instid0(VALU_DEP_1) | instskip(NEXT) | instid1(VALU_DEP_1)
	v_mul_f32_e32 v8, v9, v8
	v_and_b32_e32 v9, 0x7f800000, v8
	s_delay_alu instid0(VALU_DEP_1)
	v_cmpx_ne_u32_e32 0x7f800000, v9
	s_xor_b32 s15, exec_lo, s15
; %bb.928:                              ;   in Loop: Header=BB6_879 Depth=3
	v_bfe_u32 v9, v8, 16, 1
	s_delay_alu instid0(VALU_DEP_1)
	v_add3_u32 v17, v8, v9, 0x7fff
                                        ; implicit-def: $vgpr8
; %bb.929:                              ;   in Loop: Header=BB6_879 Depth=3
	s_and_not1_saveexec_b32 s15, s15
; %bb.930:                              ;   in Loop: Header=BB6_879 Depth=3
	v_and_b32_e32 v9, 0xffff, v8
	v_or_b32_e32 v17, 0x10000, v8
	s_delay_alu instid0(VALU_DEP_2) | instskip(NEXT) | instid1(VALU_DEP_2)
	v_cmp_eq_u32_e32 vcc_lo, 0, v9
	v_cndmask_b32_e32 v17, v17, v8, vcc_lo
; %bb.931:                              ;   in Loop: Header=BB6_879 Depth=3
	s_or_b32 exec_lo, exec_lo, s15
	v_and_b32_e32 v9, 0xffff0000, v14
	v_and_b32_e32 v8, 0xffff0000, v10
	s_mov_b32 s15, exec_lo
	s_delay_alu instid0(VALU_DEP_2) | instskip(NEXT) | instid1(VALU_DEP_1)
	v_mov_b32_e32 v10, v9
	v_pk_mul_f32 v[8:9], v[10:11], v[8:9]
                                        ; implicit-def: $vgpr10
	s_delay_alu instid0(VALU_DEP_1) | instskip(NEXT) | instid1(VALU_DEP_1)
	v_and_b32_e32 v9, 0x7f800000, v8
	v_cmpx_ne_u32_e32 0x7f800000, v9
	s_xor_b32 s15, exec_lo, s15
; %bb.932:                              ;   in Loop: Header=BB6_879 Depth=3
	v_bfe_u32 v9, v8, 16, 1
	s_delay_alu instid0(VALU_DEP_1)
	v_add3_u32 v10, v8, v9, 0x7fff
                                        ; implicit-def: $vgpr8_vgpr9
; %bb.933:                              ;   in Loop: Header=BB6_879 Depth=3
	s_and_not1_saveexec_b32 s15, s15
; %bb.934:                              ;   in Loop: Header=BB6_879 Depth=3
	v_and_b32_e32 v9, 0xffff, v8
	v_or_b32_e32 v10, 0x10000, v8
	s_delay_alu instid0(VALU_DEP_2) | instskip(NEXT) | instid1(VALU_DEP_2)
	v_cmp_eq_u32_e32 vcc_lo, 0, v9
	v_cndmask_b32_e32 v10, v10, v8, vcc_lo
; %bb.935:                              ;   in Loop: Header=BB6_879 Depth=3
	s_or_b32 exec_lo, exec_lo, s15
	v_lshlrev_b32_e32 v8, 16, v11
	v_lshlrev_b32_e32 v9, 16, v15
	s_mov_b32 s15, exec_lo
                                        ; implicit-def: $vgpr14
	s_delay_alu instid0(VALU_DEP_1) | instskip(NEXT) | instid1(VALU_DEP_1)
	v_mul_f32_e32 v8, v9, v8
	v_and_b32_e32 v9, 0x7f800000, v8
	s_delay_alu instid0(VALU_DEP_1)
	v_cmpx_ne_u32_e32 0x7f800000, v9
	s_xor_b32 s15, exec_lo, s15
; %bb.936:                              ;   in Loop: Header=BB6_879 Depth=3
	v_bfe_u32 v9, v8, 16, 1
	s_delay_alu instid0(VALU_DEP_1)
	v_add3_u32 v14, v8, v9, 0x7fff
                                        ; implicit-def: $vgpr8
; %bb.937:                              ;   in Loop: Header=BB6_879 Depth=3
	s_and_not1_saveexec_b32 s15, s15
; %bb.938:                              ;   in Loop: Header=BB6_879 Depth=3
	v_and_b32_e32 v9, 0xffff, v8
	v_or_b32_e32 v14, 0x10000, v8
	s_delay_alu instid0(VALU_DEP_2) | instskip(NEXT) | instid1(VALU_DEP_2)
	v_cmp_eq_u32_e32 vcc_lo, 0, v9
	v_cndmask_b32_e32 v14, v14, v8, vcc_lo
; %bb.939:                              ;   in Loop: Header=BB6_879 Depth=3
	s_or_b32 exec_lo, exec_lo, s15
	v_and_b32_e32 v9, 0xffff0000, v15
	v_and_b32_e32 v8, 0xffff0000, v11
	s_mov_b32 s15, exec_lo
                                        ; implicit-def: $vgpr11
	s_delay_alu instid0(VALU_DEP_2) | instskip(NEXT) | instid1(VALU_DEP_1)
	v_mov_b32_e32 v76, v9
	v_pk_mul_f32 v[8:9], v[76:77], v[8:9]
	s_delay_alu instid0(VALU_DEP_1) | instskip(NEXT) | instid1(VALU_DEP_1)
	v_and_b32_e32 v9, 0x7f800000, v8
	v_cmpx_ne_u32_e32 0x7f800000, v9
	s_xor_b32 s15, exec_lo, s15
; %bb.940:                              ;   in Loop: Header=BB6_879 Depth=3
	v_bfe_u32 v9, v8, 16, 1
	s_delay_alu instid0(VALU_DEP_1)
	v_add3_u32 v11, v8, v9, 0x7fff
                                        ; implicit-def: $vgpr8_vgpr9
; %bb.941:                              ;   in Loop: Header=BB6_879 Depth=3
	s_and_not1_saveexec_b32 s15, s15
	s_cbranch_execz .LBB6_878
; %bb.942:                              ;   in Loop: Header=BB6_879 Depth=3
	v_and_b32_e32 v9, 0xffff, v8
	v_or_b32_e32 v11, 0x10000, v8
	s_delay_alu instid0(VALU_DEP_2) | instskip(NEXT) | instid1(VALU_DEP_2)
	v_cmp_eq_u32_e32 vcc_lo, 0, v9
	v_cndmask_b32_e32 v11, v11, v8, vcc_lo
	s_branch .LBB6_878
.LBB6_943:                              ;   in Loop: Header=BB6_631 Depth=2
	s_or_b32 exec_lo, exec_lo, s14
.LBB6_944:                              ;   in Loop: Header=BB6_631 Depth=2
	s_delay_alu instid0(SALU_CYCLE_1) | instskip(SKIP_3) | instid1(VALU_DEP_1)
	s_or_b32 exec_lo, exec_lo, s13
	v_dual_lshlrev_b32 v22, 10, v74 :: v_dual_mov_b32 v14, 0
	s_mov_b32 s15, 0
	s_mov_b32 s14, exec_lo
                                        ; implicit-def: $vgpr15
                                        ; implicit-def: $vgpr8
	v_cmpx_ne_u32_e64 v41, v22
	s_cbranch_execz .LBB6_984
; %bb.945:                              ;   in Loop: Header=BB6_631 Depth=2
	v_dual_lshlrev_b32 v8, 5, v43 :: v_dual_sub_nc_u32 v10, v41, v22
	s_mov_b32 s15, exec_lo
	s_delay_alu instid0(VALU_DEP_1) | instskip(NEXT) | instid1(VALU_DEP_1)
	v_dual_sub_nc_u32 v8, v91, v8 :: v_dual_ashrrev_i32 v11, 31, v10
	v_dual_ashrrev_i32 v9, 31, v8 :: v_dual_lshrrev_b32 v11, 23, v11
	s_delay_alu instid0(VALU_DEP_1) | instskip(NEXT) | instid1(VALU_DEP_1)
	v_lshrrev_b32_e32 v9, 27, v9
	v_add_nc_u32_e32 v9, v8, v9
	s_delay_alu instid0(VALU_DEP_1) | instskip(NEXT) | instid1(VALU_DEP_1)
	v_and_b32_e32 v12, 0xffffffe0, v9
	v_dual_add_nc_u32 v11, v10, v11 :: v_dual_sub_nc_u32 v43, v8, v12
	s_delay_alu instid0(VALU_DEP_1) | instskip(SKIP_1) | instid1(VALU_DEP_3)
	v_and_b32_e32 v23, 0xfffffe00, v11
	v_dual_ashrrev_i32 v9, 5, v9 :: v_dual_ashrrev_i32 v11, 9, v11
	v_lshlrev_b32_e32 v8, 4, v43
	s_delay_alu instid0(VALU_DEP_1) | instskip(NEXT) | instid1(VALU_DEP_1)
	v_lshl_add_u32 v8, v9, 9, v8
	v_dual_sub_nc_u32 v58, v10, v23 :: v_dual_sub_nc_u32 v60, v10, v8
	s_delay_alu instid0(VALU_DEP_1) | instskip(SKIP_1) | instid1(VALU_DEP_1)
	v_cmp_lt_i32_e32 vcc_lo, 15, v58
	v_add_co_ci_u32_e64 v11, null, 0, v11, vcc_lo
	v_sub_nc_u32_e32 v59, v11, v9
	s_delay_alu instid0(VALU_DEP_4)
	v_cmpx_lt_i32_e32 15, v60
	s_cbranch_execz .LBB6_981
; %bb.946:                              ;   in Loop: Header=BB6_631 Depth=2
	s_trap 2
	ds_load_b64 v[10:11], v0
	v_add_nc_u32_e32 v8, v8, v22
	s_mov_b32 s40, 0
	s_delay_alu instid0(VALU_DEP_1) | instskip(NEXT) | instid1(VALU_DEP_1)
	v_ashrrev_i32_e32 v9, 31, v8
	v_add_nc_u64_e32 v[16:17], v[8:9], v[46:47]
	v_add_nc_u64_e32 v[20:21], v[8:9], v[56:57]
	s_wait_dscnt 0x0
	v_add_nc_u64_e32 v[18:19], v[10:11], v[8:9]
	s_branch .LBB6_948
.LBB6_947:                              ;   in Loop: Header=BB6_948 Depth=3
	s_or_b32 exec_lo, exec_lo, s41
	v_dual_lshrrev_b32 v12, 16, v12 :: v_dual_lshrrev_b32 v15, 16, v61
	v_dual_lshrrev_b32 v13, 16, v13 :: v_dual_lshrrev_b32 v14, 16, v14
	v_dual_sub_nc_u32 v60, v60, v70 :: v_dual_sub_nc_u32 v59, v59, v52
	s_delay_alu instid0(VALU_DEP_3) | instskip(NEXT) | instid1(VALU_DEP_4)
	v_and_or_b32 v9, 0xffff0000, v9, v12
	v_and_or_b32 v8, 0xffff0000, v8, v15
	s_delay_alu instid0(VALU_DEP_4)
	v_and_or_b32 v10, 0xffff0000, v10, v13
	v_and_or_b32 v11, 0xffff0000, v11, v14
	v_add_nc_u64_e32 v[16:17], v[16:17], v[70:71]
	v_add_nc_u64_e32 v[18:19], v[18:19], v[70:71]
	v_cmp_gt_i32_e64 s13, 16, v60
	global_store_b128 v[20:21], v[8:11], off th:TH_STORE_NT
	s_wait_xcnt 0x0
	v_add_nc_u64_e32 v[20:21], v[20:21], v[70:71]
	s_or_b32 s40, s13, s40
	s_delay_alu instid0(SALU_CYCLE_1)
	s_and_not1_b32 exec_lo, exec_lo, s40
	s_cbranch_execz .LBB6_980
.LBB6_948:                              ;   Parent Loop BB6_47 Depth=1
                                        ;     Parent Loop BB6_631 Depth=2
                                        ; =>    This Inner Loop Header: Depth=3
	global_load_b128 v[8:11], v[18:19], off th:TH_LOAD_NT
	global_load_b128 v[12:15], v[16:17], off th:TH_LOAD_NT
	s_wait_loadcnt 0x1
	v_lshlrev_b32_e32 v61, 16, v8
	s_wait_loadcnt 0x0
	v_lshlrev_b32_e32 v62, 16, v12
	s_delay_alu instid0(VALU_DEP_1) | instskip(NEXT) | instid1(VALU_DEP_1)
	v_mul_f32_e32 v62, v62, v61
	v_and_b32_e32 v61, 0x7f800000, v62
	s_delay_alu instid0(VALU_DEP_1) | instskip(SKIP_2) | instid1(SALU_CYCLE_1)
	v_cmp_ne_u32_e64 s13, 0x7f800000, v61
                                        ; implicit-def: $vgpr61
	s_wait_xcnt 0x0
	s_and_saveexec_b32 s41, s13
	s_xor_b32 s13, exec_lo, s41
; %bb.949:                              ;   in Loop: Header=BB6_948 Depth=3
	v_bfe_u32 v61, v62, 16, 1
	s_delay_alu instid0(VALU_DEP_1)
	v_add3_u32 v61, v62, v61, 0x7fff
                                        ; implicit-def: $vgpr62
; %bb.950:                              ;   in Loop: Header=BB6_948 Depth=3
	s_and_not1_saveexec_b32 s41, s13
; %bb.951:                              ;   in Loop: Header=BB6_948 Depth=3
	v_and_b32_e32 v61, 0xffff, v62
	v_or_b32_e32 v63, 0x10000, v62
	s_delay_alu instid0(VALU_DEP_2) | instskip(NEXT) | instid1(VALU_DEP_1)
	v_cmp_eq_u32_e64 s13, 0, v61
	v_cndmask_b32_e64 v61, v63, v62, s13
; %bb.952:                              ;   in Loop: Header=BB6_948 Depth=3
	s_or_b32 exec_lo, exec_lo, s41
	v_and_b32_e32 v8, 0xffff0000, v8
	v_and_b32_e32 v12, 0xffff0000, v12
	s_delay_alu instid0(VALU_DEP_1) | instskip(NEXT) | instid1(VALU_DEP_1)
	v_mul_f32_e32 v12, v12, v8
	v_and_b32_e32 v8, 0x7f800000, v12
	s_delay_alu instid0(VALU_DEP_1) | instskip(SKIP_1) | instid1(SALU_CYCLE_1)
	v_cmp_ne_u32_e64 s13, 0x7f800000, v8
                                        ; implicit-def: $vgpr8
	s_and_saveexec_b32 s41, s13
	s_xor_b32 s13, exec_lo, s41
; %bb.953:                              ;   in Loop: Header=BB6_948 Depth=3
	v_bfe_u32 v8, v12, 16, 1
	s_delay_alu instid0(VALU_DEP_1)
	v_add3_u32 v8, v12, v8, 0x7fff
                                        ; implicit-def: $vgpr12
; %bb.954:                              ;   in Loop: Header=BB6_948 Depth=3
	s_and_not1_saveexec_b32 s41, s13
; %bb.955:                              ;   in Loop: Header=BB6_948 Depth=3
	v_and_b32_e32 v8, 0xffff, v12
	v_or_b32_e32 v62, 0x10000, v12
	s_delay_alu instid0(VALU_DEP_2) | instskip(NEXT) | instid1(VALU_DEP_1)
	v_cmp_eq_u32_e64 s13, 0, v8
	v_cndmask_b32_e64 v8, v62, v12, s13
; %bb.956:                              ;   in Loop: Header=BB6_948 Depth=3
	s_or_b32 exec_lo, exec_lo, s41
	v_lshlrev_b32_e32 v12, 16, v9
	v_lshlrev_b32_e32 v62, 16, v13
	s_delay_alu instid0(VALU_DEP_1) | instskip(NEXT) | instid1(VALU_DEP_1)
	v_mul_f32_e32 v62, v62, v12
	v_and_b32_e32 v12, 0x7f800000, v62
	s_delay_alu instid0(VALU_DEP_1) | instskip(SKIP_1) | instid1(SALU_CYCLE_1)
	v_cmp_ne_u32_e64 s13, 0x7f800000, v12
                                        ; implicit-def: $vgpr12
	s_and_saveexec_b32 s41, s13
	s_xor_b32 s13, exec_lo, s41
; %bb.957:                              ;   in Loop: Header=BB6_948 Depth=3
	v_bfe_u32 v12, v62, 16, 1
	s_delay_alu instid0(VALU_DEP_1)
	v_add3_u32 v12, v62, v12, 0x7fff
                                        ; implicit-def: $vgpr62
; %bb.958:                              ;   in Loop: Header=BB6_948 Depth=3
	s_and_not1_saveexec_b32 s41, s13
; %bb.959:                              ;   in Loop: Header=BB6_948 Depth=3
	v_and_b32_e32 v12, 0xffff, v62
	v_or_b32_e32 v63, 0x10000, v62
	s_delay_alu instid0(VALU_DEP_2) | instskip(NEXT) | instid1(VALU_DEP_1)
	v_cmp_eq_u32_e64 s13, 0, v12
	v_cndmask_b32_e64 v12, v63, v62, s13
; %bb.960:                              ;   in Loop: Header=BB6_948 Depth=3
	s_or_b32 exec_lo, exec_lo, s41
	v_and_b32_e32 v13, 0xffff0000, v13
	v_and_b32_e32 v9, 0xffff0000, v9
	s_delay_alu instid0(VALU_DEP_1) | instskip(NEXT) | instid1(VALU_DEP_1)
	v_mul_f32_e32 v13, v13, v9
	v_and_b32_e32 v9, 0x7f800000, v13
	s_delay_alu instid0(VALU_DEP_1) | instskip(SKIP_1) | instid1(SALU_CYCLE_1)
	v_cmp_ne_u32_e64 s13, 0x7f800000, v9
                                        ; implicit-def: $vgpr9
	s_and_saveexec_b32 s41, s13
	s_xor_b32 s13, exec_lo, s41
; %bb.961:                              ;   in Loop: Header=BB6_948 Depth=3
	v_bfe_u32 v9, v13, 16, 1
	s_delay_alu instid0(VALU_DEP_1)
	v_add3_u32 v9, v13, v9, 0x7fff
                                        ; implicit-def: $vgpr13
; %bb.962:                              ;   in Loop: Header=BB6_948 Depth=3
	s_and_not1_saveexec_b32 s41, s13
; %bb.963:                              ;   in Loop: Header=BB6_948 Depth=3
	v_and_b32_e32 v9, 0xffff, v13
	v_or_b32_e32 v62, 0x10000, v13
	s_delay_alu instid0(VALU_DEP_2) | instskip(NEXT) | instid1(VALU_DEP_1)
	v_cmp_eq_u32_e64 s13, 0, v9
	v_cndmask_b32_e64 v9, v62, v13, s13
; %bb.964:                              ;   in Loop: Header=BB6_948 Depth=3
	s_or_b32 exec_lo, exec_lo, s41
	v_lshlrev_b32_e32 v13, 16, v10
	v_lshlrev_b32_e32 v62, 16, v14
	s_delay_alu instid0(VALU_DEP_1) | instskip(NEXT) | instid1(VALU_DEP_1)
	v_mul_f32_e32 v62, v62, v13
	v_and_b32_e32 v13, 0x7f800000, v62
	s_delay_alu instid0(VALU_DEP_1) | instskip(SKIP_1) | instid1(SALU_CYCLE_1)
	v_cmp_ne_u32_e64 s13, 0x7f800000, v13
                                        ; implicit-def: $vgpr13
	s_and_saveexec_b32 s41, s13
	s_xor_b32 s13, exec_lo, s41
; %bb.965:                              ;   in Loop: Header=BB6_948 Depth=3
	v_bfe_u32 v13, v62, 16, 1
	s_delay_alu instid0(VALU_DEP_1)
	v_add3_u32 v13, v62, v13, 0x7fff
                                        ; implicit-def: $vgpr62
; %bb.966:                              ;   in Loop: Header=BB6_948 Depth=3
	s_and_not1_saveexec_b32 s41, s13
; %bb.967:                              ;   in Loop: Header=BB6_948 Depth=3
	v_and_b32_e32 v13, 0xffff, v62
	v_or_b32_e32 v63, 0x10000, v62
	s_delay_alu instid0(VALU_DEP_2) | instskip(NEXT) | instid1(VALU_DEP_1)
	v_cmp_eq_u32_e64 s13, 0, v13
	v_cndmask_b32_e64 v13, v63, v62, s13
; %bb.968:                              ;   in Loop: Header=BB6_948 Depth=3
	s_or_b32 exec_lo, exec_lo, s41
	v_and_b32_e32 v14, 0xffff0000, v14
	v_and_b32_e32 v10, 0xffff0000, v10
	s_delay_alu instid0(VALU_DEP_1) | instskip(NEXT) | instid1(VALU_DEP_1)
	v_mul_f32_e32 v14, v14, v10
	v_and_b32_e32 v10, 0x7f800000, v14
	s_delay_alu instid0(VALU_DEP_1) | instskip(SKIP_1) | instid1(SALU_CYCLE_1)
	v_cmp_ne_u32_e64 s13, 0x7f800000, v10
                                        ; implicit-def: $vgpr10
	s_and_saveexec_b32 s41, s13
	s_xor_b32 s13, exec_lo, s41
; %bb.969:                              ;   in Loop: Header=BB6_948 Depth=3
	v_bfe_u32 v10, v14, 16, 1
	s_delay_alu instid0(VALU_DEP_1)
	v_add3_u32 v10, v14, v10, 0x7fff
                                        ; implicit-def: $vgpr14
; %bb.970:                              ;   in Loop: Header=BB6_948 Depth=3
	s_and_not1_saveexec_b32 s41, s13
; %bb.971:                              ;   in Loop: Header=BB6_948 Depth=3
	v_and_b32_e32 v10, 0xffff, v14
	v_or_b32_e32 v62, 0x10000, v14
	s_delay_alu instid0(VALU_DEP_2) | instskip(NEXT) | instid1(VALU_DEP_1)
	v_cmp_eq_u32_e64 s13, 0, v10
	v_cndmask_b32_e64 v10, v62, v14, s13
; %bb.972:                              ;   in Loop: Header=BB6_948 Depth=3
	s_or_b32 exec_lo, exec_lo, s41
	v_lshlrev_b32_e32 v14, 16, v11
	v_lshlrev_b32_e32 v62, 16, v15
	s_delay_alu instid0(VALU_DEP_1) | instskip(NEXT) | instid1(VALU_DEP_1)
	v_mul_f32_e32 v62, v62, v14
	v_and_b32_e32 v14, 0x7f800000, v62
	s_delay_alu instid0(VALU_DEP_1) | instskip(SKIP_1) | instid1(SALU_CYCLE_1)
	v_cmp_ne_u32_e64 s13, 0x7f800000, v14
                                        ; implicit-def: $vgpr14
	s_and_saveexec_b32 s41, s13
	s_xor_b32 s13, exec_lo, s41
; %bb.973:                              ;   in Loop: Header=BB6_948 Depth=3
	v_bfe_u32 v14, v62, 16, 1
	s_delay_alu instid0(VALU_DEP_1)
	v_add3_u32 v14, v62, v14, 0x7fff
                                        ; implicit-def: $vgpr62
; %bb.974:                              ;   in Loop: Header=BB6_948 Depth=3
	s_and_not1_saveexec_b32 s41, s13
; %bb.975:                              ;   in Loop: Header=BB6_948 Depth=3
	v_and_b32_e32 v14, 0xffff, v62
	v_or_b32_e32 v63, 0x10000, v62
	s_delay_alu instid0(VALU_DEP_2) | instskip(NEXT) | instid1(VALU_DEP_1)
	v_cmp_eq_u32_e64 s13, 0, v14
	v_cndmask_b32_e64 v14, v63, v62, s13
; %bb.976:                              ;   in Loop: Header=BB6_948 Depth=3
	s_or_b32 exec_lo, exec_lo, s41
	v_and_b32_e32 v15, 0xffff0000, v15
	v_and_b32_e32 v11, 0xffff0000, v11
	s_delay_alu instid0(VALU_DEP_1) | instskip(NEXT) | instid1(VALU_DEP_1)
	v_mul_f32_e32 v15, v15, v11
	v_and_b32_e32 v11, 0x7f800000, v15
	s_delay_alu instid0(VALU_DEP_1) | instskip(SKIP_1) | instid1(SALU_CYCLE_1)
	v_cmp_ne_u32_e64 s13, 0x7f800000, v11
                                        ; implicit-def: $vgpr11
	s_and_saveexec_b32 s41, s13
	s_xor_b32 s13, exec_lo, s41
; %bb.977:                              ;   in Loop: Header=BB6_948 Depth=3
	v_bfe_u32 v11, v15, 16, 1
	s_delay_alu instid0(VALU_DEP_1)
	v_add3_u32 v11, v15, v11, 0x7fff
                                        ; implicit-def: $vgpr15
; %bb.978:                              ;   in Loop: Header=BB6_948 Depth=3
	s_and_not1_saveexec_b32 s41, s13
	s_cbranch_execz .LBB6_947
; %bb.979:                              ;   in Loop: Header=BB6_948 Depth=3
	v_and_b32_e32 v11, 0xffff, v15
	v_or_b32_e32 v62, 0x10000, v15
	s_delay_alu instid0(VALU_DEP_2) | instskip(NEXT) | instid1(VALU_DEP_1)
	v_cmp_eq_u32_e64 s13, 0, v11
	v_cndmask_b32_e64 v11, v62, v15, s13
	s_branch .LBB6_947
.LBB6_980:                              ;   in Loop: Header=BB6_631 Depth=2
	s_or_b32 exec_lo, exec_lo, s40
.LBB6_981:                              ;   in Loop: Header=BB6_631 Depth=2
	s_delay_alu instid0(SALU_CYCLE_1) | instskip(SKIP_3) | instid1(VALU_DEP_1)
	s_or_b32 exec_lo, exec_lo, s15
	v_dual_mov_b32 v14, 0 :: v_dual_bitop2_b32 v9, 14, v41 bitop3:0x40
	s_mov_b32 s15, 0
	s_mov_b32 s40, exec_lo
                                        ; implicit-def: $vgpr15
                                        ; implicit-def: $vgpr8
	v_cndmask_b32_e32 v41, v58, v9, vcc_lo
	s_delay_alu instid0(VALU_DEP_1)
	v_cmpx_ne_u32_e32 0, v41
	s_cbranch_execz .LBB6_983
; %bb.982:                              ;   in Loop: Header=BB6_631 Depth=2
	v_cmp_lt_i32_e64 s13, 0, v59
	s_mov_b32 s15, exec_lo
	v_dual_sub_nc_u32 v9, v58, v9 :: v_dual_cndmask_b32 v8, 0, v52, s13
	s_delay_alu instid0(VALU_DEP_1) | instskip(NEXT) | instid1(VALU_DEP_1)
	v_dual_cndmask_b32 v9, 0, v9 :: v_dual_sub_nc_u32 v8, v8, v59
	v_add3_u32 v14, v23, v22, v9
	s_delay_alu instid0(VALU_DEP_2) | instskip(NEXT) | instid1(VALU_DEP_1)
	v_lshl_add_u32 v15, v8, 5, v43
	v_ashrrev_i32_e32 v8, 31, v15
	s_delay_alu instid0(VALU_DEP_1) | instskip(NEXT) | instid1(VALU_DEP_1)
	v_lshrrev_b32_e32 v8, 27, v8
	v_add_nc_u32_e32 v8, v15, v8
	s_delay_alu instid0(VALU_DEP_1)
	v_ashrrev_i32_e32 v8, 5, v8
.LBB6_983:                              ;   in Loop: Header=BB6_631 Depth=2
	s_or_b32 exec_lo, exec_lo, s40
	s_delay_alu instid0(SALU_CYCLE_1)
	s_and_b32 s15, s15, exec_lo
.LBB6_984:                              ;   in Loop: Header=BB6_631 Depth=2
	s_or_b32 exec_lo, exec_lo, s14
	s_and_saveexec_b32 s13, s15
	s_cbranch_execz .LBB6_1029
.LBB6_985:                              ;   in Loop: Header=BB6_631 Depth=2
	v_ashrrev_i32_e32 v9, 31, v41
	s_mov_b32 s14, exec_lo
	s_delay_alu instid0(VALU_DEP_1) | instskip(NEXT) | instid1(VALU_DEP_1)
	v_lshrrev_b32_e32 v9, 23, v9
	v_add_nc_u32_e32 v9, v41, v9
	s_delay_alu instid0(VALU_DEP_1) | instskip(NEXT) | instid1(VALU_DEP_1)
	v_ashrrev_i32_e32 v17, 9, v9
	v_sub_nc_u32_e32 v16, v17, v8
	s_delay_alu instid0(VALU_DEP_1)
	v_cmpx_lt_i32_e32 0, v16
	s_cbranch_execz .LBB6_1021
; %bb.986:                              ;   in Loop: Header=BB6_631 Depth=2
	v_dual_ashrrev_i32 v9, 31, v15 :: v_dual_lshlrev_b32 v8, 9, v8
	s_trap 2
	ds_load_b64 v[10:11], v0
	v_add_nc_u64_e32 v[18:19], 0x1c0, v[56:57]
	v_lshrrev_b32_e32 v9, 27, v9
	s_mov_b32 s15, 0
	s_delay_alu instid0(VALU_DEP_1) | instskip(NEXT) | instid1(VALU_DEP_1)
	v_add_nc_u32_e32 v9, v15, v9
	v_and_b32_e32 v9, 0x7fffffe0, v9
	s_delay_alu instid0(VALU_DEP_1) | instskip(NEXT) | instid1(VALU_DEP_1)
	v_sub_nc_u32_e32 v9, v15, v9
	v_lshlrev_b32_e32 v9, 1, v9
	s_delay_alu instid0(VALU_DEP_1) | instskip(NEXT) | instid1(VALU_DEP_1)
	v_add3_u32 v12, v9, v14, v8
	v_ashrrev_i32_e32 v13, 31, v12
	s_delay_alu instid0(VALU_DEP_1)
	v_add_nc_u64_e32 v[8:9], v[12:13], v[46:47]
	s_wait_dscnt 0x0
	v_add_nc_u64_e32 v[10:11], v[10:11], v[12:13]
	v_add_nc_u64_e32 v[12:13], v[18:19], v[12:13]
	s_branch .LBB6_988
.LBB6_987:                              ;   in Loop: Header=BB6_988 Depth=3
	s_or_b32 exec_lo, exec_lo, s40
	v_sub_nc_u32_e32 v16, v16, v52
	s_clause 0x7
	flat_store_d16_hi_b16 v[12:13], v18 offset:-448 th:TH_STORE_NT
	flat_store_d16_hi_b16 v[12:13], v21 offset:-384 th:TH_STORE_NT
	;; [unrolled: 1-line block ×7, first 2 shown]
	flat_store_d16_hi_b16 v[12:13], v19 th:TH_STORE_NT
	v_add_nc_u64_e32 v[8:9], v[8:9], v[70:71]
	v_add_nc_u64_e32 v[10:11], v[10:11], v[70:71]
	s_wait_xcnt 0x0
	v_add_nc_u64_e32 v[12:13], v[12:13], v[70:71]
	v_cmp_gt_i32_e32 vcc_lo, 1, v16
	s_or_b32 s15, vcc_lo, s15
	s_delay_alu instid0(SALU_CYCLE_1)
	s_and_not1_b32 exec_lo, exec_lo, s15
	s_cbranch_execz .LBB6_1020
.LBB6_988:                              ;   Parent Loop BB6_47 Depth=1
                                        ;     Parent Loop BB6_631 Depth=2
                                        ; =>    This Inner Loop Header: Depth=3
	s_clause 0x6
	flat_load_u16 v43, v[8:9] offset:128 th:TH_LOAD_NT
	flat_load_u16 v60, v[8:9] offset:192 th:TH_LOAD_NT
	;; [unrolled: 1-line block ×6, first 2 shown]
	flat_load_u16 v18, v[8:9] th:TH_LOAD_NT
	s_clause 0x6
	flat_load_u16 v72, v[10:11] offset:128 th:TH_LOAD_NT
	flat_load_u16 v63, v[10:11] offset:192 th:TH_LOAD_NT
	flat_load_u16 v62, v[10:11] offset:256 th:TH_LOAD_NT
	flat_load_u16 v59, v[10:11] offset:320 th:TH_LOAD_NT
	flat_load_u16 v23, v[10:11] offset:384 th:TH_LOAD_NT
	flat_load_u16 v20, v[10:11] offset:448 th:TH_LOAD_NT
	flat_load_u16 v74, v[10:11] th:TH_LOAD_NT
	flat_load_u16 v21, v[8:9] offset:64 th:TH_LOAD_NT
	flat_load_u16 v73, v[10:11] offset:64 th:TH_LOAD_NT
	s_wait_loadcnt_dscnt 0x909
	v_lshlrev_b32_e32 v18, 16, v18
	s_wait_loadcnt_dscnt 0x202
	v_lshlrev_b32_e32 v74, 16, v74
	s_delay_alu instid0(VALU_DEP_1) | instskip(NEXT) | instid1(VALU_DEP_1)
	v_mul_f32_e32 v74, v74, v18
	v_and_b32_e32 v18, 0x7f800000, v74
	s_delay_alu instid0(VALU_DEP_1) | instskip(SKIP_2) | instid1(SALU_CYCLE_1)
	v_cmp_ne_u32_e32 vcc_lo, 0x7f800000, v18
                                        ; implicit-def: $vgpr18
	s_wait_xcnt 0x0
	s_and_saveexec_b32 s40, vcc_lo
	s_xor_b32 s40, exec_lo, s40
; %bb.989:                              ;   in Loop: Header=BB6_988 Depth=3
	v_bfe_u32 v18, v74, 16, 1
	s_delay_alu instid0(VALU_DEP_1)
	v_add3_u32 v18, v74, v18, 0x7fff
                                        ; implicit-def: $vgpr74
; %bb.990:                              ;   in Loop: Header=BB6_988 Depth=3
	s_and_not1_saveexec_b32 s40, s40
; %bb.991:                              ;   in Loop: Header=BB6_988 Depth=3
	v_and_b32_e32 v18, 0xffff, v74
	v_or_b32_e32 v75, 0x10000, v74
	s_delay_alu instid0(VALU_DEP_2) | instskip(NEXT) | instid1(VALU_DEP_2)
	v_cmp_eq_u32_e32 vcc_lo, 0, v18
	v_cndmask_b32_e32 v18, v75, v74, vcc_lo
; %bb.992:                              ;   in Loop: Header=BB6_988 Depth=3
	s_or_b32 exec_lo, exec_lo, s40
	s_wait_loadcnt_dscnt 0x101
	v_lshlrev_b32_e32 v21, 16, v21
	s_wait_loadcnt_dscnt 0x0
	v_lshlrev_b32_e32 v73, 16, v73
	s_delay_alu instid0(VALU_DEP_1) | instskip(NEXT) | instid1(VALU_DEP_1)
	v_mul_f32_e32 v73, v73, v21
	v_and_b32_e32 v21, 0x7f800000, v73
	s_delay_alu instid0(VALU_DEP_1) | instskip(SKIP_1) | instid1(SALU_CYCLE_1)
	v_cmp_ne_u32_e32 vcc_lo, 0x7f800000, v21
                                        ; implicit-def: $vgpr21
	s_and_saveexec_b32 s40, vcc_lo
	s_xor_b32 s40, exec_lo, s40
; %bb.993:                              ;   in Loop: Header=BB6_988 Depth=3
	v_bfe_u32 v21, v73, 16, 1
	s_delay_alu instid0(VALU_DEP_1)
	v_add3_u32 v21, v73, v21, 0x7fff
                                        ; implicit-def: $vgpr73
; %bb.994:                              ;   in Loop: Header=BB6_988 Depth=3
	s_and_not1_saveexec_b32 s40, s40
; %bb.995:                              ;   in Loop: Header=BB6_988 Depth=3
	v_and_b32_e32 v21, 0xffff, v73
	v_or_b32_e32 v74, 0x10000, v73
	s_delay_alu instid0(VALU_DEP_2) | instskip(NEXT) | instid1(VALU_DEP_2)
	v_cmp_eq_u32_e32 vcc_lo, 0, v21
	v_cndmask_b32_e32 v21, v74, v73, vcc_lo
; %bb.996:                              ;   in Loop: Header=BB6_988 Depth=3
	s_or_b32 exec_lo, exec_lo, s40
	v_dual_lshlrev_b32 v43, 16, v43 :: v_dual_lshlrev_b32 v72, 16, v72
	s_delay_alu instid0(VALU_DEP_1) | instskip(NEXT) | instid1(VALU_DEP_1)
	v_mul_f32_e32 v72, v72, v43
	v_and_b32_e32 v43, 0x7f800000, v72
	s_delay_alu instid0(VALU_DEP_1) | instskip(SKIP_1) | instid1(SALU_CYCLE_1)
	v_cmp_ne_u32_e32 vcc_lo, 0x7f800000, v43
                                        ; implicit-def: $vgpr43
	s_and_saveexec_b32 s40, vcc_lo
	s_xor_b32 s40, exec_lo, s40
; %bb.997:                              ;   in Loop: Header=BB6_988 Depth=3
	v_bfe_u32 v43, v72, 16, 1
	s_delay_alu instid0(VALU_DEP_1)
	v_add3_u32 v43, v72, v43, 0x7fff
                                        ; implicit-def: $vgpr72
; %bb.998:                              ;   in Loop: Header=BB6_988 Depth=3
	s_and_not1_saveexec_b32 s40, s40
; %bb.999:                              ;   in Loop: Header=BB6_988 Depth=3
	v_and_b32_e32 v43, 0xffff, v72
	v_or_b32_e32 v73, 0x10000, v72
	s_delay_alu instid0(VALU_DEP_2) | instskip(NEXT) | instid1(VALU_DEP_2)
	v_cmp_eq_u32_e32 vcc_lo, 0, v43
	v_cndmask_b32_e32 v43, v73, v72, vcc_lo
; %bb.1000:                             ;   in Loop: Header=BB6_988 Depth=3
	s_or_b32 exec_lo, exec_lo, s40
	v_dual_lshlrev_b32 v60, 16, v60 :: v_dual_lshlrev_b32 v63, 16, v63
	s_delay_alu instid0(VALU_DEP_1) | instskip(NEXT) | instid1(VALU_DEP_1)
	v_mul_f32_e32 v63, v63, v60
	v_and_b32_e32 v60, 0x7f800000, v63
	s_delay_alu instid0(VALU_DEP_1) | instskip(SKIP_1) | instid1(SALU_CYCLE_1)
	v_cmp_ne_u32_e32 vcc_lo, 0x7f800000, v60
                                        ; implicit-def: $vgpr60
	s_and_saveexec_b32 s40, vcc_lo
	s_xor_b32 s40, exec_lo, s40
; %bb.1001:                             ;   in Loop: Header=BB6_988 Depth=3
	v_bfe_u32 v60, v63, 16, 1
	s_delay_alu instid0(VALU_DEP_1)
	v_add3_u32 v60, v63, v60, 0x7fff
                                        ; implicit-def: $vgpr63
; %bb.1002:                             ;   in Loop: Header=BB6_988 Depth=3
	s_and_not1_saveexec_b32 s40, s40
; %bb.1003:                             ;   in Loop: Header=BB6_988 Depth=3
	v_and_b32_e32 v60, 0xffff, v63
	v_or_b32_e32 v72, 0x10000, v63
	s_delay_alu instid0(VALU_DEP_2) | instskip(NEXT) | instid1(VALU_DEP_2)
	v_cmp_eq_u32_e32 vcc_lo, 0, v60
	v_cndmask_b32_e32 v60, v72, v63, vcc_lo
; %bb.1004:                             ;   in Loop: Header=BB6_988 Depth=3
	s_or_b32 exec_lo, exec_lo, s40
	v_dual_lshlrev_b32 v61, 16, v61 :: v_dual_lshlrev_b32 v62, 16, v62
	s_delay_alu instid0(VALU_DEP_1) | instskip(NEXT) | instid1(VALU_DEP_1)
	v_mul_f32_e32 v62, v62, v61
	v_and_b32_e32 v61, 0x7f800000, v62
	s_delay_alu instid0(VALU_DEP_1) | instskip(SKIP_1) | instid1(SALU_CYCLE_1)
	v_cmp_ne_u32_e32 vcc_lo, 0x7f800000, v61
                                        ; implicit-def: $vgpr61
	s_and_saveexec_b32 s40, vcc_lo
	s_xor_b32 s40, exec_lo, s40
; %bb.1005:                             ;   in Loop: Header=BB6_988 Depth=3
	v_bfe_u32 v61, v62, 16, 1
	s_delay_alu instid0(VALU_DEP_1)
	v_add3_u32 v61, v62, v61, 0x7fff
                                        ; implicit-def: $vgpr62
; %bb.1006:                             ;   in Loop: Header=BB6_988 Depth=3
	s_and_not1_saveexec_b32 s40, s40
; %bb.1007:                             ;   in Loop: Header=BB6_988 Depth=3
	v_and_b32_e32 v61, 0xffff, v62
	v_or_b32_e32 v63, 0x10000, v62
	s_delay_alu instid0(VALU_DEP_2) | instskip(NEXT) | instid1(VALU_DEP_2)
	v_cmp_eq_u32_e32 vcc_lo, 0, v61
	v_cndmask_b32_e32 v61, v63, v62, vcc_lo
; %bb.1008:                             ;   in Loop: Header=BB6_988 Depth=3
	s_or_b32 exec_lo, exec_lo, s40
	v_dual_lshlrev_b32 v58, 16, v58 :: v_dual_lshlrev_b32 v59, 16, v59
	s_delay_alu instid0(VALU_DEP_1) | instskip(NEXT) | instid1(VALU_DEP_1)
	v_mul_f32_e32 v59, v59, v58
	v_and_b32_e32 v58, 0x7f800000, v59
	s_delay_alu instid0(VALU_DEP_1) | instskip(SKIP_1) | instid1(SALU_CYCLE_1)
	v_cmp_ne_u32_e32 vcc_lo, 0x7f800000, v58
                                        ; implicit-def: $vgpr58
	s_and_saveexec_b32 s40, vcc_lo
	s_xor_b32 s40, exec_lo, s40
; %bb.1009:                             ;   in Loop: Header=BB6_988 Depth=3
	v_bfe_u32 v58, v59, 16, 1
	s_delay_alu instid0(VALU_DEP_1)
	v_add3_u32 v58, v59, v58, 0x7fff
                                        ; implicit-def: $vgpr59
; %bb.1010:                             ;   in Loop: Header=BB6_988 Depth=3
	s_and_not1_saveexec_b32 s40, s40
; %bb.1011:                             ;   in Loop: Header=BB6_988 Depth=3
	v_and_b32_e32 v58, 0xffff, v59
	v_or_b32_e32 v62, 0x10000, v59
	s_delay_alu instid0(VALU_DEP_2) | instskip(NEXT) | instid1(VALU_DEP_2)
	v_cmp_eq_u32_e32 vcc_lo, 0, v58
	v_cndmask_b32_e32 v58, v62, v59, vcc_lo
; %bb.1012:                             ;   in Loop: Header=BB6_988 Depth=3
	s_or_b32 exec_lo, exec_lo, s40
	v_dual_lshlrev_b32 v22, 16, v22 :: v_dual_lshlrev_b32 v23, 16, v23
	s_delay_alu instid0(VALU_DEP_1) | instskip(NEXT) | instid1(VALU_DEP_1)
	v_mul_f32_e32 v23, v23, v22
	v_and_b32_e32 v22, 0x7f800000, v23
	s_delay_alu instid0(VALU_DEP_1) | instskip(SKIP_1) | instid1(SALU_CYCLE_1)
	v_cmp_ne_u32_e32 vcc_lo, 0x7f800000, v22
                                        ; implicit-def: $vgpr22
	s_and_saveexec_b32 s40, vcc_lo
	s_xor_b32 s40, exec_lo, s40
; %bb.1013:                             ;   in Loop: Header=BB6_988 Depth=3
	v_bfe_u32 v22, v23, 16, 1
	s_delay_alu instid0(VALU_DEP_1)
	v_add3_u32 v22, v23, v22, 0x7fff
                                        ; implicit-def: $vgpr23
; %bb.1014:                             ;   in Loop: Header=BB6_988 Depth=3
	s_and_not1_saveexec_b32 s40, s40
; %bb.1015:                             ;   in Loop: Header=BB6_988 Depth=3
	v_and_b32_e32 v22, 0xffff, v23
	v_or_b32_e32 v59, 0x10000, v23
	s_delay_alu instid0(VALU_DEP_2) | instskip(NEXT) | instid1(VALU_DEP_2)
	v_cmp_eq_u32_e32 vcc_lo, 0, v22
	v_cndmask_b32_e32 v22, v59, v23, vcc_lo
; %bb.1016:                             ;   in Loop: Header=BB6_988 Depth=3
	s_or_b32 exec_lo, exec_lo, s40
	v_dual_lshlrev_b32 v19, 16, v19 :: v_dual_lshlrev_b32 v20, 16, v20
	s_delay_alu instid0(VALU_DEP_1) | instskip(NEXT) | instid1(VALU_DEP_1)
	v_mul_f32_e32 v20, v20, v19
	v_and_b32_e32 v19, 0x7f800000, v20
	s_delay_alu instid0(VALU_DEP_1) | instskip(SKIP_1) | instid1(SALU_CYCLE_1)
	v_cmp_ne_u32_e32 vcc_lo, 0x7f800000, v19
                                        ; implicit-def: $vgpr19
	s_and_saveexec_b32 s40, vcc_lo
	s_xor_b32 s40, exec_lo, s40
; %bb.1017:                             ;   in Loop: Header=BB6_988 Depth=3
	v_bfe_u32 v19, v20, 16, 1
	s_delay_alu instid0(VALU_DEP_1)
	v_add3_u32 v19, v20, v19, 0x7fff
                                        ; implicit-def: $vgpr20
; %bb.1018:                             ;   in Loop: Header=BB6_988 Depth=3
	s_and_not1_saveexec_b32 s40, s40
	s_cbranch_execz .LBB6_987
; %bb.1019:                             ;   in Loop: Header=BB6_988 Depth=3
	v_and_b32_e32 v19, 0xffff, v20
	v_or_b32_e32 v23, 0x10000, v20
	s_delay_alu instid0(VALU_DEP_2) | instskip(NEXT) | instid1(VALU_DEP_2)
	v_cmp_eq_u32_e32 vcc_lo, 0, v19
	v_cndmask_b32_e32 v19, v23, v20, vcc_lo
	s_branch .LBB6_987
.LBB6_1020:                             ;   in Loop: Header=BB6_631 Depth=2
	s_or_b32 exec_lo, exec_lo, s15
.LBB6_1021:                             ;   in Loop: Header=BB6_631 Depth=2
	s_delay_alu instid0(SALU_CYCLE_1) | instskip(SKIP_1) | instid1(VALU_DEP_1)
	s_or_b32 exec_lo, exec_lo, s14
	v_lshlrev_b32_e32 v8, 9, v17
	v_cmp_ne_u32_e32 vcc_lo, v41, v8
	s_and_b32 exec_lo, exec_lo, vcc_lo
	s_cbranch_execz .LBB6_1029
; %bb.1022:                             ;   in Loop: Header=BB6_631 Depth=2
	v_dual_ashrrev_i32 v9, 31, v15 :: v_dual_lshlrev_b32 v10, 5, v16
	s_delay_alu instid0(VALU_DEP_1) | instskip(NEXT) | instid1(VALU_DEP_1)
	v_lshrrev_b32_e32 v9, 27, v9
	v_add_nc_u32_e32 v9, v15, v9
	s_delay_alu instid0(VALU_DEP_1) | instskip(NEXT) | instid1(VALU_DEP_1)
	v_and_b32_e32 v9, 0xffffffe0, v9
	v_sub_nc_u32_e32 v9, v15, v9
	s_delay_alu instid0(VALU_DEP_1) | instskip(NEXT) | instid1(VALU_DEP_1)
	v_sub_nc_u32_e32 v9, v9, v10
	v_ashrrev_i32_e32 v10, 31, v9
	s_delay_alu instid0(VALU_DEP_1) | instskip(NEXT) | instid1(VALU_DEP_1)
	v_lshrrev_b32_e32 v10, 27, v10
	v_add_nc_u32_e32 v10, v9, v10
	s_delay_alu instid0(VALU_DEP_1) | instskip(NEXT) | instid1(VALU_DEP_1)
	v_and_b32_e32 v11, 0x7fffffe0, v10
	v_sub_nc_u32_e32 v9, v9, v11
	s_delay_alu instid0(VALU_DEP_1) | instskip(NEXT) | instid1(VALU_DEP_1)
	v_dual_lshlrev_b32 v9, 1, v9 :: v_dual_lshlrev_b32 v10, 1, v10
	v_and_b32_e32 v10, 0xffffffc0, v10
	s_delay_alu instid0(VALU_DEP_1) | instskip(NEXT) | instid1(VALU_DEP_1)
	v_add3_u32 v8, v10, v9, v8
	v_sub_nc_u32_e32 v15, v41, v8
	s_delay_alu instid0(VALU_DEP_1)
	v_cmp_lt_i32_e32 vcc_lo, 1, v15
	s_and_b32 exec_lo, exec_lo, vcc_lo
	s_cbranch_execz .LBB6_1029
; %bb.1023:                             ;   in Loop: Header=BB6_631 Depth=2
	s_trap 2
	ds_load_b64 v[10:11], v0
	v_add_nc_u32_e32 v12, v8, v14
	s_mov_b32 s14, 0
	s_delay_alu instid0(VALU_DEP_1) | instskip(NEXT) | instid1(VALU_DEP_1)
	v_ashrrev_i32_e32 v13, 31, v12
	v_add_nc_u64_e32 v[8:9], v[12:13], v[46:47]
	s_wait_dscnt 0x0
	v_add_nc_u64_e32 v[10:11], v[10:11], v[12:13]
	v_add_nc_u64_e32 v[12:13], v[12:13], v[56:57]
	s_branch .LBB6_1025
.LBB6_1024:                             ;   in Loop: Header=BB6_1025 Depth=3
	s_or_b32 exec_lo, exec_lo, s15
	v_sub_nc_u32_e32 v15, v15, v80
	flat_store_d16_hi_b16 v[12:13], v14 th:TH_STORE_NT
	v_add_nc_u64_e32 v[8:9], v[8:9], v[80:81]
	v_add_nc_u64_e32 v[10:11], v[10:11], v[80:81]
	s_wait_xcnt 0x0
	v_add_nc_u64_e32 v[12:13], v[12:13], v[80:81]
	v_cmp_gt_i32_e32 vcc_lo, 2, v15
	s_or_b32 s14, vcc_lo, s14
	s_delay_alu instid0(SALU_CYCLE_1)
	s_and_not1_b32 exec_lo, exec_lo, s14
	s_cbranch_execz .LBB6_1029
.LBB6_1025:                             ;   Parent Loop BB6_47 Depth=1
                                        ;     Parent Loop BB6_631 Depth=2
                                        ; =>    This Inner Loop Header: Depth=3
	flat_load_u16 v14, v[8:9] th:TH_LOAD_NT
	flat_load_u16 v16, v[10:11] th:TH_LOAD_NT
	s_wait_loadcnt_dscnt 0x0
	v_dual_lshlrev_b32 v14, 16, v14 :: v_dual_lshlrev_b32 v16, 16, v16
	s_delay_alu instid0(VALU_DEP_1) | instskip(NEXT) | instid1(VALU_DEP_1)
	v_mul_f32_e32 v16, v16, v14
	v_and_b32_e32 v14, 0x7f800000, v16
	s_delay_alu instid0(VALU_DEP_1) | instskip(SKIP_2) | instid1(SALU_CYCLE_1)
	v_cmp_ne_u32_e32 vcc_lo, 0x7f800000, v14
                                        ; implicit-def: $vgpr14
	s_wait_xcnt 0x0
	s_and_saveexec_b32 s15, vcc_lo
	s_xor_b32 s15, exec_lo, s15
; %bb.1026:                             ;   in Loop: Header=BB6_1025 Depth=3
	v_bfe_u32 v14, v16, 16, 1
	s_delay_alu instid0(VALU_DEP_1)
	v_add3_u32 v14, v16, v14, 0x7fff
                                        ; implicit-def: $vgpr16
; %bb.1027:                             ;   in Loop: Header=BB6_1025 Depth=3
	s_and_not1_saveexec_b32 s15, s15
	s_cbranch_execz .LBB6_1024
; %bb.1028:                             ;   in Loop: Header=BB6_1025 Depth=3
	v_and_b32_e32 v14, 0xffff, v16
	v_or_b32_e32 v17, 0x10000, v16
	s_delay_alu instid0(VALU_DEP_2) | instskip(NEXT) | instid1(VALU_DEP_2)
	v_cmp_eq_u32_e32 vcc_lo, 0, v14
	v_cndmask_b32_e32 v14, v17, v16, vcc_lo
	s_branch .LBB6_1024
.LBB6_1029:                             ;   in Loop: Header=BB6_631 Depth=2
	s_or_b32 exec_lo, exec_lo, s13
.LBB6_1030:                             ;   in Loop: Header=BB6_631 Depth=2
	v_cmp_lt_i32_e64 s13, 0, v2
	s_and_saveexec_b32 s14, s2
	s_cbranch_execz .LBB6_707
.LBB6_1031:                             ;   in Loop: Header=BB6_631 Depth=2
	s_and_saveexec_b32 s15, s3
	s_delay_alu instid0(SALU_CYCLE_1)
	s_xor_b32 s15, exec_lo, s15
	s_cbranch_execz .LBB6_1046
; %bb.1032:                             ;   in Loop: Header=BB6_631 Depth=2
	s_and_saveexec_b32 s40, s6
	s_cbranch_execz .LBB6_1045
; %bb.1033:                             ;   in Loop: Header=BB6_631 Depth=2
	s_mov_b32 s62, exec_lo
	s_mov_b32 s41, exec_lo
	v_mbcnt_lo_u32_b32 v2, s62, 0
	global_wb scope:SCOPE_DEV
	s_wait_storecnt 0x0
	s_wait_loadcnt_dscnt 0x0
	global_inv scope:SCOPE_DEV
	v_cmpx_eq_u32_e32 0, v2
	s_cbranch_execz .LBB6_1035
; %bb.1034:                             ;   in Loop: Header=BB6_631 Depth=2
	s_bcnt1_i32_b32 s62, s62
	s_delay_alu instid0(SALU_CYCLE_1)
	v_mov_b32_e32 v2, s62
	s_wait_loadcnt 0x0
	ds_add_u64 v0, v[2:3]
	s_trap 2
.LBB6_1035:                             ;   in Loop: Header=BB6_631 Depth=2
	s_or_b32 exec_lo, exec_lo, s41
	s_trap 2
	ds_load_b64 v[8:9], v0
	s_wait_dscnt 0x0
	v_add_nc_u64_e32 v[48:49], v[48:49], v[52:53]
	s_mov_b32 s41, exec_lo
	s_delay_alu instid0(VALU_DEP_1)
	v_cmpx_lt_u64_e64 v[8:9], v[48:49]
	s_cbranch_execz .LBB6_1044
; %bb.1036:                             ;   in Loop: Header=BB6_631 Depth=2
	s_mov_b32 s62, 0
	s_mov_b32 s73, 0
                                        ; implicit-def: $sgpr63
                                        ; implicit-def: $sgpr72
	s_branch .LBB6_1038
.LBB6_1037:                             ;   in Loop: Header=BB6_1038 Depth=3
	s_or_b32 exec_lo, exec_lo, s75
	s_delay_alu instid0(SALU_CYCLE_1) | instskip(NEXT) | instid1(SALU_CYCLE_1)
	s_and_b32 s74, exec_lo, s76
	s_or_b32 s62, s74, s62
	s_and_not1_b32 s63, s63, exec_lo
	s_and_b32 s74, s72, exec_lo
	s_delay_alu instid0(SALU_CYCLE_1)
	s_or_b32 s63, s63, s74
	s_and_not1_b32 exec_lo, exec_lo, s62
	s_cbranch_execz .LBB6_1042
.LBB6_1038:                             ;   Parent Loop BB6_47 Depth=1
                                        ;     Parent Loop BB6_631 Depth=2
                                        ; =>    This Inner Loop Header: Depth=3
	s_add_co_i32 s73, s73, 1
	s_delay_alu instid0(SALU_CYCLE_1) | instskip(SKIP_1) | instid1(SALU_CYCLE_1)
	s_cmp_lg_u32 s73, 0x2710
	s_cselect_b32 s74, -1, 0
	s_and_b32 vcc_lo, exec_lo, s74
	s_cbranch_vccz .LBB6_1040
; %bb.1039:                             ;   in Loop: Header=BB6_1038 Depth=3
	s_mov_b32 s76, -1
	s_or_b32 s72, s72, exec_lo
	s_and_saveexec_b32 s75, s74
	s_cbranch_execz .LBB6_1037
	s_branch .LBB6_1041
.LBB6_1040:                             ;   in Loop: Header=BB6_1038 Depth=3
	s_trap 2
	ds_load_b64 v[8:9], v0
	s_and_not1_b32 s74, s74, exec_lo
	s_mov_b32 s73, 0
	s_wait_loadcnt_dscnt 0x0
	flat_load_b32 v2, v[8:9] scope:SCOPE_SYS
	s_wait_loadcnt_dscnt 0x0
	global_inv scope:SCOPE_SYS
	v_cmp_eq_u32_e32 vcc_lo, 0, v2
	s_and_b32 s75, vcc_lo, exec_lo
	s_delay_alu instid0(SALU_CYCLE_1)
	s_or_b32 s74, s74, s75
	s_mov_b32 s76, -1
	s_or_b32 s72, s72, exec_lo
	s_and_saveexec_b32 s75, s74
	s_cbranch_execz .LBB6_1037
.LBB6_1041:                             ;   in Loop: Header=BB6_1038 Depth=3
	s_sleep 1
	s_trap 2
	ds_load_b64 v[8:9], v0
	s_wait_dscnt 0x0
	s_and_not1_b32 s72, s72, exec_lo
	v_cmp_ge_u64_e32 vcc_lo, v[8:9], v[48:49]
	s_or_not1_b32 s76, vcc_lo, exec_lo
	s_branch .LBB6_1037
.LBB6_1042:                             ;   in Loop: Header=BB6_631 Depth=2
	s_or_b32 exec_lo, exec_lo, s62
	s_and_saveexec_b32 s62, s63
	s_delay_alu instid0(SALU_CYCLE_1)
	s_xor_b32 s62, exec_lo, s62
	s_cbranch_execz .LBB6_1044
; %bb.1043:                             ;   in Loop: Header=BB6_631 Depth=2
	ds_store_b32 v0, v79
	s_trap 2
.LBB6_1044:                             ;   in Loop: Header=BB6_631 Depth=2
	s_or_b32 exec_lo, exec_lo, s41
	;;#ASMSTART
	s_wakeup
	;;#ASMEND
.LBB6_1045:                             ;   in Loop: Header=BB6_631 Depth=2
	s_or_b32 exec_lo, exec_lo, s40
.LBB6_1046:                             ;   in Loop: Header=BB6_631 Depth=2
	s_and_not1_saveexec_b32 s15, s15
	s_cbranch_execz .LBB6_1048
; %bb.1047:                             ;   in Loop: Header=BB6_631 Depth=2
	global_wb scope:SCOPE_DEV
	s_wait_storecnt 0x0
	s_wait_loadcnt_dscnt 0x0
	global_inv scope:SCOPE_DEV
	s_barrier_signal -1
	s_barrier_wait -1
.LBB6_1048:                             ;   in Loop: Header=BB6_631 Depth=2
	s_or_b32 exec_lo, exec_lo, s15
	s_delay_alu instid0(SALU_CYCLE_1) | instskip(SKIP_1) | instid1(SALU_CYCLE_1)
	s_or_b32 exec_lo, exec_lo, s14
                                        ; implicit-def: $vgpr2
	s_and_saveexec_b32 s14, s10
	s_xor_b32 s14, exec_lo, s14
	s_cbranch_execnz .LBB6_708
.LBB6_1049:                             ;   in Loop: Header=BB6_631 Depth=2
	s_and_not1_saveexec_b32 s13, s14
	s_cbranch_execz .LBB6_1068
.LBB6_1050:                             ;   in Loop: Header=BB6_631 Depth=2
	s_and_saveexec_b32 s14, s3
	s_delay_alu instid0(SALU_CYCLE_1)
	s_xor_b32 s14, exec_lo, s14
	s_cbranch_execz .LBB6_1065
; %bb.1051:                             ;   in Loop: Header=BB6_631 Depth=2
	s_and_saveexec_b32 s15, s6
	s_cbranch_execz .LBB6_1064
; %bb.1052:                             ;   in Loop: Header=BB6_631 Depth=2
	s_mov_b32 s41, exec_lo
	s_mov_b32 s40, exec_lo
	v_mbcnt_lo_u32_b32 v2, s41, 0
	;;#ASMSTART
	s_waitcnt lgkmcnt(0) vmcnt(0)
	;;#ASMEND
	s_delay_alu instid0(VALU_DEP_1)
	v_cmpx_eq_u32_e32 0, v2
	s_cbranch_execz .LBB6_1054
; %bb.1053:                             ;   in Loop: Header=BB6_631 Depth=2
	s_bcnt1_i32_b32 s41, s41
	s_delay_alu instid0(SALU_CYCLE_1)
	v_mov_b32_e32 v2, s41
	s_wait_storecnt 0x0
	s_wait_loadcnt_dscnt 0x0
	ds_add_u64 v0, v[2:3]
	s_trap 2
.LBB6_1054:                             ;   in Loop: Header=BB6_631 Depth=2
	s_or_b32 exec_lo, exec_lo, s40
	s_trap 2
	ds_load_b64 v[8:9], v0
	s_wait_dscnt 0x0
	v_add_nc_u64_e32 v[48:49], v[48:49], v[52:53]
	s_mov_b32 s40, exec_lo
	s_delay_alu instid0(VALU_DEP_1)
	v_cmpx_lt_u64_e64 v[8:9], v[48:49]
	s_cbranch_execz .LBB6_1063
; %bb.1055:                             ;   in Loop: Header=BB6_631 Depth=2
	s_mov_b32 s41, 0
	s_mov_b32 s72, 0
                                        ; implicit-def: $sgpr62
                                        ; implicit-def: $sgpr63
	s_branch .LBB6_1057
.LBB6_1056:                             ;   in Loop: Header=BB6_1057 Depth=3
	s_or_b32 exec_lo, exec_lo, s74
	s_delay_alu instid0(SALU_CYCLE_1) | instskip(NEXT) | instid1(SALU_CYCLE_1)
	s_and_b32 s73, exec_lo, s75
	s_or_b32 s41, s73, s41
	s_and_not1_b32 s62, s62, exec_lo
	s_and_b32 s73, s63, exec_lo
	s_delay_alu instid0(SALU_CYCLE_1)
	s_or_b32 s62, s62, s73
	s_and_not1_b32 exec_lo, exec_lo, s41
	s_cbranch_execz .LBB6_1061
.LBB6_1057:                             ;   Parent Loop BB6_47 Depth=1
                                        ;     Parent Loop BB6_631 Depth=2
                                        ; =>    This Inner Loop Header: Depth=3
	s_add_co_i32 s72, s72, 1
	s_delay_alu instid0(SALU_CYCLE_1) | instskip(SKIP_1) | instid1(SALU_CYCLE_1)
	s_cmp_lg_u32 s72, 0x2710
	s_cselect_b32 s73, -1, 0
	s_and_b32 vcc_lo, exec_lo, s73
	s_cbranch_vccz .LBB6_1059
; %bb.1058:                             ;   in Loop: Header=BB6_1057 Depth=3
	s_mov_b32 s75, -1
	s_or_b32 s63, s63, exec_lo
	s_and_saveexec_b32 s74, s73
	s_cbranch_execz .LBB6_1056
	s_branch .LBB6_1060
.LBB6_1059:                             ;   in Loop: Header=BB6_1057 Depth=3
	s_trap 2
	ds_load_b64 v[8:9], v0
	s_and_not1_b32 s73, s73, exec_lo
	s_mov_b32 s72, 0
	s_wait_storecnt 0x0
	s_wait_loadcnt_dscnt 0x0
	flat_load_b32 v2, v[8:9] scope:SCOPE_SYS
	s_wait_loadcnt_dscnt 0x0
	global_inv scope:SCOPE_SYS
	v_cmp_eq_u32_e32 vcc_lo, 0, v2
	s_and_b32 s74, vcc_lo, exec_lo
	s_delay_alu instid0(SALU_CYCLE_1)
	s_or_b32 s73, s73, s74
	s_mov_b32 s75, -1
	s_or_b32 s63, s63, exec_lo
	s_and_saveexec_b32 s74, s73
	s_cbranch_execz .LBB6_1056
.LBB6_1060:                             ;   in Loop: Header=BB6_1057 Depth=3
	s_sleep 1
	s_trap 2
	ds_load_b64 v[8:9], v0
	s_wait_dscnt 0x0
	s_and_not1_b32 s63, s63, exec_lo
	v_cmp_ge_u64_e32 vcc_lo, v[8:9], v[48:49]
	s_or_not1_b32 s75, vcc_lo, exec_lo
	s_branch .LBB6_1056
.LBB6_1061:                             ;   in Loop: Header=BB6_631 Depth=2
	s_or_b32 exec_lo, exec_lo, s41
	s_and_saveexec_b32 s41, s62
	s_delay_alu instid0(SALU_CYCLE_1)
	s_xor_b32 s41, exec_lo, s41
	s_cbranch_execz .LBB6_1063
; %bb.1062:                             ;   in Loop: Header=BB6_631 Depth=2
	ds_store_b32 v0, v79
	s_trap 2
.LBB6_1063:                             ;   in Loop: Header=BB6_631 Depth=2
	s_or_b32 exec_lo, exec_lo, s40
	;;#ASMSTART
	s_wakeup
	;;#ASMEND
.LBB6_1064:                             ;   in Loop: Header=BB6_631 Depth=2
	s_or_b32 exec_lo, exec_lo, s15
.LBB6_1065:                             ;   in Loop: Header=BB6_631 Depth=2
	s_and_not1_saveexec_b32 s14, s14
	s_cbranch_execz .LBB6_1067
; %bb.1066:                             ;   in Loop: Header=BB6_631 Depth=2
	;;#ASMSTART
	s_waitcnt lgkmcnt(0) vmcnt(0)
	;;#ASMEND
	s_barrier_signal -1
	s_barrier_wait -1
.LBB6_1067:                             ;   in Loop: Header=BB6_631 Depth=2
	s_or_b32 exec_lo, exec_lo, s14
	v_and_b32_e32 v2, 16, v30
.LBB6_1068:                             ;   in Loop: Header=BB6_631 Depth=2
	s_or_b32 exec_lo, exec_lo, s13
	s_delay_alu instid0(VALU_DEP_1) | instskip(SKIP_1) | instid1(SALU_CYCLE_1)
	v_cmp_ne_u32_e32 vcc_lo, 0, v2
	s_xor_b32 s13, s4, -1
	s_and_b32 s14, vcc_lo, s13
	s_delay_alu instid0(SALU_CYCLE_1)
	s_and_saveexec_b32 s13, s14
	s_cbranch_execz .LBB6_1070
; %bb.1069:                             ;   in Loop: Header=BB6_631 Depth=2
	global_wb scope:SCOPE_SYS
	s_wait_storecnt 0x0
	s_wait_loadcnt_dscnt 0x0
	flat_store_b32 v[38:39], v79 scope:SCOPE_SYS
.LBB6_1070:                             ;   in Loop: Header=BB6_631 Depth=2
	s_wait_xcnt 0x0
	s_or_b32 exec_lo, exec_lo, s13
	v_and_b32_e32 v2, 48, v30
	s_mov_b32 s13, exec_lo
	s_delay_alu instid0(VALU_DEP_1)
	v_cmpx_ne_u32_e32 0, v2
	s_cbranch_execz .LBB6_630
; %bb.1071:                             ;   in Loop: Header=BB6_631 Depth=2
	v_add_nc_u64_e32 v[114:115], 2, v[114:115]
	global_wb scope:SCOPE_SYS
	s_wait_storecnt 0x0
	s_wait_loadcnt_dscnt 0x0
	flat_store_b64 v[32:33], v[114:115] scope:SCOPE_SYS
	s_branch .LBB6_630
.LBB6_1072:                             ;   in Loop: Header=BB6_47 Depth=1
	s_or_b32 exec_lo, exec_lo, s27
.LBB6_1073:                             ;   in Loop: Header=BB6_47 Depth=1
	s_delay_alu instid0(SALU_CYCLE_1) | instskip(NEXT) | instid1(SALU_CYCLE_1)
	s_or_b32 exec_lo, exec_lo, s18
	s_mov_b32 s14, exec_lo
	v_cmpx_gt_i32_e32 2, v2
	s_cbranch_execz .LBB6_1149
; %bb.1074:                             ;   in Loop: Header=BB6_47 Depth=1
	v_cmp_eq_u32_e64 s18, 0, v2
	s_mov_b32 s15, 0
	s_branch .LBB6_1076
.LBB6_1075:                             ;   in Loop: Header=BB6_1076 Depth=2
	s_wait_xcnt 0x0
	s_or_b32 exec_lo, exec_lo, s13
	v_add_nc_u32_e32 v42, v40, v42
	s_mov_b32 s18, 0
	s_and_not1_b32 exec_lo, exec_lo, s15
	s_cbranch_execz .LBB6_1148
.LBB6_1076:                             ;   Parent Loop BB6_47 Depth=1
                                        ; =>  This Loop Header: Depth=2
                                        ;       Child Loop BB6_1082 Depth 3
                                        ;       Child Loop BB6_1110 Depth 3
	;; [unrolled: 1-line block ×3, first 2 shown]
	s_delay_alu instid0(VALU_DEP_1) | instskip(SKIP_2) | instid1(VALU_DEP_2)
	v_sub_nc_u32_e32 v2, v92, v42
	v_and_b32_e32 v8, 12, v30
	s_mov_b32 s27, exec_lo
	v_min_i32_e32 v40, v40, v2
	s_delay_alu instid0(VALU_DEP_2)
	v_cmpx_ne_u32_e32 0, v8
	s_cbranch_execz .LBB6_1102
; %bb.1077:                             ;   in Loop: Header=BB6_1076 Depth=2
	v_and_b32_e32 v2, 8, v30
	v_add_nc_u64_e32 v[8:9], 2, v[114:115]
	s_mov_b32 s40, exec_lo
	s_wait_loadcnt_dscnt 0x1
	s_delay_alu instid0(VALU_DEP_2) | instskip(NEXT) | instid1(VALU_DEP_1)
	v_add_nc_u64_e32 v[10:11], v[50:51], v[2:3]
	v_cmpx_lt_u64_e64 v[10:11], v[8:9]
	s_cbranch_execz .LBB6_1089
; %bb.1078:                             ;   in Loop: Header=BB6_1076 Depth=2
	v_and_b32_e32 v10, 64, v30
	s_mov_b32 s41, 0
	s_mov_b32 s63, 0
                                        ; implicit-def: $sgpr60
                                        ; implicit-def: $sgpr61
                                        ; implicit-def: $sgpr62
	s_delay_alu instid0(VALU_DEP_1)
	v_cmp_eq_u32_e32 vcc_lo, 0, v10
	s_branch .LBB6_1082
.LBB6_1079:                             ;   in Loop: Header=BB6_1082 Depth=3
	s_wait_loadcnt_dscnt 0x0
	v_add_nc_u64_e32 v[12:13], v[50:51], v[2:3]
	s_or_b32 s74, s74, exec_lo
	s_delay_alu instid0(VALU_DEP_1)
	v_cmp_ge_u64_e64 s13, v[12:13], v[8:9]
	s_or_not1_b32 s73, s13, exec_lo
.LBB6_1080:                             ;   in Loop: Header=BB6_1082 Depth=3
	s_or_b32 exec_lo, exec_lo, s76
	s_delay_alu instid0(SALU_CYCLE_1)
	s_and_not1_b32 s13, s62, exec_lo
	s_and_b32 s62, s74, exec_lo
	s_and_not1_b32 s61, s61, exec_lo
	s_and_b32 s73, s73, exec_lo
	s_or_b32 s62, s13, s62
	s_or_b32 s61, s61, s73
.LBB6_1081:                             ;   in Loop: Header=BB6_1082 Depth=3
	s_or_b32 exec_lo, exec_lo, s72
	s_delay_alu instid0(SALU_CYCLE_1) | instskip(NEXT) | instid1(SALU_CYCLE_1)
	s_and_b32 s13, exec_lo, s61
	s_or_b32 s41, s13, s41
	s_and_not1_b32 s13, s60, exec_lo
	s_and_b32 s60, s62, exec_lo
	s_delay_alu instid0(SALU_CYCLE_1)
	s_or_b32 s60, s13, s60
	s_and_not1_b32 exec_lo, exec_lo, s41
	s_cbranch_execz .LBB6_1086
.LBB6_1082:                             ;   Parent Loop BB6_47 Depth=1
                                        ;     Parent Loop BB6_1076 Depth=2
                                        ; =>    This Inner Loop Header: Depth=3
	s_sleep 1
	s_wait_loadcnt_dscnt 0x0
	flat_load_b64 v[50:51], v[32:33] scope:SCOPE_SYS
	s_or_b32 s62, s62, exec_lo
	s_or_b32 s61, s61, exec_lo
                                        ; implicit-def: $vgpr10
	s_wait_xcnt 0x0
	s_and_saveexec_b32 s72, vcc_lo
	s_cbranch_execz .LBB6_1081
; %bb.1083:                             ;   in Loop: Header=BB6_1082 Depth=3
	s_cmp_lt_i32 s63, 0x270f
	s_mov_b32 s73, -1
	s_cselect_b32 s75, -1, 0
	s_cmp_gt_i32 s63, 0x270e
	s_cbranch_scc0 .LBB6_1085
; %bb.1084:                             ;   in Loop: Header=BB6_1082 Depth=3
	s_trap 2
	ds_load_b64 v[10:11], v0
	s_and_not1_b32 s63, s75, exec_lo
	s_mov_b32 s74, 0
	s_wait_storecnt 0x0
	s_wait_loadcnt_dscnt 0x0
	flat_load_b32 v10, v[10:11] scope:SCOPE_SYS
	s_wait_loadcnt_dscnt 0x0
	global_inv scope:SCOPE_SYS
	v_cmp_eq_u32_e64 s13, 0, v10
	s_and_b32 s13, s13, exec_lo
	s_delay_alu instid0(SALU_CYCLE_1)
	s_or_b32 s75, s63, s13
	s_mov_b32 s63, 0
	s_and_saveexec_b32 s76, s75
	s_cbranch_execz .LBB6_1080
	s_branch .LBB6_1079
.LBB6_1085:                             ;   in Loop: Header=BB6_1082 Depth=3
	s_add_co_i32 s63, s63, 1
	s_mov_b32 s74, -1
                                        ; implicit-def: $vgpr10
	s_and_saveexec_b32 s76, s75
	s_cbranch_execz .LBB6_1080
	s_branch .LBB6_1079
.LBB6_1086:                             ;   in Loop: Header=BB6_1076 Depth=2
	s_or_b32 exec_lo, exec_lo, s41
	s_xor_b32 s13, s60, -1
	s_delay_alu instid0(SALU_CYCLE_1) | instskip(NEXT) | instid1(SALU_CYCLE_1)
	s_and_saveexec_b32 s41, s13
	s_xor_b32 s13, exec_lo, s41
	s_cbranch_execz .LBB6_1088
; %bb.1087:                             ;   in Loop: Header=BB6_1076 Depth=2
	v_or_b32_e32 v30, 64, v30
	s_wait_storecnt 0x0
	s_wait_loadcnt_dscnt 0x0
	ds_store_b32 v0, v10
	s_trap 2
.LBB6_1088:                             ;   in Loop: Header=BB6_1076 Depth=2
	s_or_b32 exec_lo, exec_lo, s13
.LBB6_1089:                             ;   in Loop: Header=BB6_1076 Depth=2
	s_delay_alu instid0(SALU_CYCLE_1) | instskip(SKIP_2) | instid1(VALU_DEP_1)
	s_or_b32 exec_lo, exec_lo, s40
	v_and_b32_e32 v10, 0x108, v30
	;;#ASMSTART
	s_wakeup
	;;#ASMEND
	v_cmp_ne_u32_e32 vcc_lo, 0x108, v10
                                        ; implicit-def: $vgpr10_vgpr11
	s_and_saveexec_b32 s13, vcc_lo
	s_delay_alu instid0(SALU_CYCLE_1)
	s_xor_b32 s13, exec_lo, s13
; %bb.1090:                             ;   in Loop: Header=BB6_1076 Depth=2
	v_dual_mov_b32 v11, v3 :: v_dual_bitop2_b32 v10, 7, v114 bitop3:0x40
                                        ; implicit-def: $vgpr114_vgpr115
; %bb.1091:                             ;   in Loop: Header=BB6_1076 Depth=2
	s_and_not1_saveexec_b32 s13, s13
	s_cbranch_execz .LBB6_1093
; %bb.1092:                             ;   in Loop: Header=BB6_1076 Depth=2
	v_dual_ashrrev_i32 v41, 31, v40 :: v_dual_bitop2_b32 v10, 7, v114 bitop3:0x40
	v_mov_b32_e32 v11, v3
	s_delay_alu instid0(VALU_DEP_2) | instskip(NEXT) | instid1(VALU_DEP_3)
	v_mad_nc_u64_u32 v[12:13], v10, 24, v[6:7]
	v_lshlrev_b64_e32 v[14:15], 1, v[40:41]
	flat_store_b64 v[12:13], v[14:15] offset:8
.LBB6_1093:                             ;   in Loop: Header=BB6_1076 Depth=2
	s_wait_xcnt 0x0
	s_or_b32 exec_lo, exec_lo, s13
	v_and_b32_e32 v12, 0x100, v30
	s_mov_b32 s13, -1
	s_delay_alu instid0(VALU_DEP_1)
	v_cmp_ne_u32_e32 vcc_lo, 0, v12
                                        ; implicit-def: $vgpr12_vgpr13
	s_and_saveexec_b32 s40, vcc_lo
	s_cbranch_execz .LBB6_1097
; %bb.1094:                             ;   in Loop: Header=BB6_1076 Depth=2
	v_mad_nc_u64_u32 v[14:15], v10, 24, v[6:7]
	s_delay_alu instid0(VALU_DEP_1)
	v_mad_u32 v15, v11, 24, v15
	flat_load_b32 v12, v[14:15]
	s_wait_loadcnt_dscnt 0x0
	v_cmp_eq_u32_e64 s13, 1, v12
	v_cmp_ne_u32_e32 vcc_lo, 1, v12
                                        ; implicit-def: $vgpr12_vgpr13
	s_wait_xcnt 0x0
	s_and_saveexec_b32 s41, s13
	s_cbranch_execz .LBB6_1096
; %bb.1095:                             ;   in Loop: Header=BB6_1076 Depth=2
	flat_load_b32 v12, v[14:15] offset:4 scope:SCOPE_SYS
	s_wait_loadcnt_dscnt 0x0
	v_ashrrev_i32_e32 v13, 31, v12
	s_delay_alu instid0(VALU_DEP_1)
	v_lshrrev_b64 v[12:13], 1, v[12:13]
.LBB6_1096:                             ;   in Loop: Header=BB6_1076 Depth=2
	s_wait_xcnt 0x0
	s_or_b32 exec_lo, exec_lo, s41
	s_delay_alu instid0(SALU_CYCLE_1)
	s_or_not1_b32 s13, vcc_lo, exec_lo
.LBB6_1097:                             ;   in Loop: Header=BB6_1076 Depth=2
	s_or_b32 exec_lo, exec_lo, s40
	s_and_saveexec_b32 s40, s13
; %bb.1098:                             ;   in Loop: Header=BB6_1076 Depth=2
	v_mul_u64_e32 v[12:13], v[10:11], v[34:35]
; %bb.1099:                             ;   in Loop: Header=BB6_1076 Depth=2
	s_or_b32 exec_lo, exec_lo, s40
	v_cmp_eq_u32_e32 vcc_lo, 0, v2
	v_and_b32_e32 v14, 0x2000, v30
	s_delay_alu instid0(VALU_DEP_3) | instskip(SKIP_2) | instid1(VALU_DEP_1)
	v_lshl_add_u64 v[10:11], v[12:13], 1, v[36:37]
	s_mov_b32 s13, exec_lo
	v_cndmask_b32_e32 v2, 0xd0, v88, vcc_lo
	v_add_nc_u32_e32 v2, v0, v2
	ds_store_b64 v2, v[10:11] offset:584
	v_cmpx_ne_u32_e32 0, v14
	s_cbranch_execz .LBB6_1101
; %bb.1100:                             ;   in Loop: Header=BB6_1076 Depth=2
	ds_load_b64 v[10:11], v0 offset:872
	s_wait_dscnt 0x0
	v_add_nc_u64_e32 v[10:11], 1, v[10:11]
	ds_store_b64 v0, v[10:11] offset:872
.LBB6_1101:                             ;   in Loop: Header=BB6_1076 Depth=2
	s_or_b32 exec_lo, exec_lo, s13
	v_mov_b64_e32 v[114:115], v[8:9]
.LBB6_1102:                             ;   in Loop: Header=BB6_1076 Depth=2
	s_or_b32 exec_lo, exec_lo, s27
	s_xor_b32 s13, s18, -1
	s_delay_alu instid0(SALU_CYCLE_1) | instskip(NEXT) | instid1(SALU_CYCLE_1)
	s_and_b32 s13, exec_lo, s13
	s_or_b32 s15, s13, s15
	s_and_saveexec_b32 s13, s2
	s_cbranch_execz .LBB6_1121
; %bb.1103:                             ;   in Loop: Header=BB6_1076 Depth=2
	s_and_saveexec_b32 s18, s3
	s_delay_alu instid0(SALU_CYCLE_1)
	s_xor_b32 s18, exec_lo, s18
	s_cbranch_execz .LBB6_1118
; %bb.1104:                             ;   in Loop: Header=BB6_1076 Depth=2
	s_and_saveexec_b32 s27, s6
	s_cbranch_execz .LBB6_1117
; %bb.1105:                             ;   in Loop: Header=BB6_1076 Depth=2
	s_mov_b32 s41, exec_lo
	s_mov_b32 s40, exec_lo
	v_mbcnt_lo_u32_b32 v2, s41, 0
	global_wb scope:SCOPE_DEV
	s_wait_storecnt 0x0
	s_wait_loadcnt_dscnt 0x0
	global_inv scope:SCOPE_DEV
	v_cmpx_eq_u32_e32 0, v2
	s_cbranch_execz .LBB6_1107
; %bb.1106:                             ;   in Loop: Header=BB6_1076 Depth=2
	s_bcnt1_i32_b32 s41, s41
	s_delay_alu instid0(SALU_CYCLE_1)
	v_mov_b32_e32 v2, s41
	s_wait_loadcnt 0x0
	ds_add_u64 v0, v[2:3]
	s_trap 2
.LBB6_1107:                             ;   in Loop: Header=BB6_1076 Depth=2
	s_or_b32 exec_lo, exec_lo, s40
	s_trap 2
	ds_load_b64 v[8:9], v0
	s_wait_dscnt 0x0
	v_add_nc_u64_e32 v[48:49], v[48:49], v[52:53]
	s_mov_b32 s40, exec_lo
	s_delay_alu instid0(VALU_DEP_1)
	v_cmpx_lt_u64_e64 v[8:9], v[48:49]
	s_cbranch_execz .LBB6_1116
; %bb.1108:                             ;   in Loop: Header=BB6_1076 Depth=2
	s_mov_b32 s41, 0
	s_mov_b32 s62, 0
                                        ; implicit-def: $sgpr60
                                        ; implicit-def: $sgpr61
	s_branch .LBB6_1110
.LBB6_1109:                             ;   in Loop: Header=BB6_1110 Depth=3
	s_or_b32 exec_lo, exec_lo, s72
	s_delay_alu instid0(SALU_CYCLE_1) | instskip(NEXT) | instid1(SALU_CYCLE_1)
	s_and_b32 s63, exec_lo, s73
	s_or_b32 s41, s63, s41
	s_and_not1_b32 s60, s60, exec_lo
	s_and_b32 s63, s61, exec_lo
	s_delay_alu instid0(SALU_CYCLE_1)
	s_or_b32 s60, s60, s63
	s_and_not1_b32 exec_lo, exec_lo, s41
	s_cbranch_execz .LBB6_1114
.LBB6_1110:                             ;   Parent Loop BB6_47 Depth=1
                                        ;     Parent Loop BB6_1076 Depth=2
                                        ; =>    This Inner Loop Header: Depth=3
	s_add_co_i32 s62, s62, 1
	s_delay_alu instid0(SALU_CYCLE_1) | instskip(SKIP_1) | instid1(SALU_CYCLE_1)
	s_cmp_lg_u32 s62, 0x2710
	s_cselect_b32 s63, -1, 0
	s_and_b32 vcc_lo, exec_lo, s63
	s_cbranch_vccz .LBB6_1112
; %bb.1111:                             ;   in Loop: Header=BB6_1110 Depth=3
	s_mov_b32 s73, -1
	s_or_b32 s61, s61, exec_lo
	s_and_saveexec_b32 s72, s63
	s_cbranch_execz .LBB6_1109
	s_branch .LBB6_1113
.LBB6_1112:                             ;   in Loop: Header=BB6_1110 Depth=3
	s_trap 2
	ds_load_b64 v[8:9], v0
	s_and_not1_b32 s63, s63, exec_lo
	s_mov_b32 s62, 0
	s_wait_loadcnt_dscnt 0x0
	flat_load_b32 v2, v[8:9] scope:SCOPE_SYS
	s_wait_loadcnt_dscnt 0x0
	global_inv scope:SCOPE_SYS
	v_cmp_eq_u32_e32 vcc_lo, 0, v2
	s_and_b32 s72, vcc_lo, exec_lo
	s_delay_alu instid0(SALU_CYCLE_1)
	s_or_b32 s63, s63, s72
	s_mov_b32 s73, -1
	s_or_b32 s61, s61, exec_lo
	s_and_saveexec_b32 s72, s63
	s_cbranch_execz .LBB6_1109
.LBB6_1113:                             ;   in Loop: Header=BB6_1110 Depth=3
	s_sleep 1
	s_trap 2
	ds_load_b64 v[8:9], v0
	s_wait_dscnt 0x0
	s_and_not1_b32 s61, s61, exec_lo
	v_cmp_ge_u64_e32 vcc_lo, v[8:9], v[48:49]
	s_or_not1_b32 s73, vcc_lo, exec_lo
	s_branch .LBB6_1109
.LBB6_1114:                             ;   in Loop: Header=BB6_1076 Depth=2
	s_or_b32 exec_lo, exec_lo, s41
	s_and_saveexec_b32 s41, s60
	s_delay_alu instid0(SALU_CYCLE_1)
	s_xor_b32 s41, exec_lo, s41
	s_cbranch_execz .LBB6_1116
; %bb.1115:                             ;   in Loop: Header=BB6_1076 Depth=2
	ds_store_b32 v0, v79
	s_trap 2
.LBB6_1116:                             ;   in Loop: Header=BB6_1076 Depth=2
	s_or_b32 exec_lo, exec_lo, s40
	;;#ASMSTART
	s_wakeup
	;;#ASMEND
.LBB6_1117:                             ;   in Loop: Header=BB6_1076 Depth=2
	s_or_b32 exec_lo, exec_lo, s27
.LBB6_1118:                             ;   in Loop: Header=BB6_1076 Depth=2
	s_and_not1_saveexec_b32 s18, s18
	s_cbranch_execz .LBB6_1120
; %bb.1119:                             ;   in Loop: Header=BB6_1076 Depth=2
	global_wb scope:SCOPE_DEV
	s_wait_storecnt 0x0
	s_wait_loadcnt_dscnt 0x0
	global_inv scope:SCOPE_DEV
	s_barrier_signal -1
	s_barrier_wait -1
.LBB6_1120:                             ;   in Loop: Header=BB6_1076 Depth=2
	s_or_b32 exec_lo, exec_lo, s18
.LBB6_1121:                             ;   in Loop: Header=BB6_1076 Depth=2
	s_delay_alu instid0(SALU_CYCLE_1) | instskip(SKIP_1) | instid1(SALU_CYCLE_1)
	s_or_b32 exec_lo, exec_lo, s13
                                        ; implicit-def: $vgpr2
	s_and_saveexec_b32 s13, s10
	s_xor_b32 s18, exec_lo, s13
	s_cbranch_execz .LBB6_1125
; %bb.1122:                             ;   in Loop: Header=BB6_1076 Depth=2
	s_trap 2
	ds_load_b32 v2, v0
	v_cmp_lt_i32_e32 vcc_lo, 0, v40
	s_wait_dscnt 0x0
	v_readfirstlane_b32 s13, v2
	v_and_b32_e32 v2, 16, v30
	s_cmp_eq_u32 s13, 0
	s_delay_alu instid0(VALU_DEP_1) | instskip(SKIP_3) | instid1(SALU_CYCLE_1)
	v_cmp_ne_u32_e64 s13, 0, v2
	s_cselect_b32 s27, -1, 0
	v_and_b32_e32 v2, 16, v30
	s_and_b32 s27, vcc_lo, s27
	s_and_b32 s27, s13, s27
	s_delay_alu instid0(SALU_CYCLE_1)
	s_and_saveexec_b32 s13, s27
	s_cbranch_execz .LBB6_1124
; %bb.1123:                             ;   in Loop: Header=BB6_1076 Depth=2
	v_mov_b32_e32 v2, 1
	global_wb scope:SCOPE_SYS
	s_wait_loadcnt 0x0
	s_wait_storecnt 0x0
	global_inv scope:SCOPE_SYS
.LBB6_1124:                             ;   in Loop: Header=BB6_1076 Depth=2
	s_or_b32 exec_lo, exec_lo, s13
	s_and_not1_saveexec_b32 s13, s18
	s_cbranch_execz .LBB6_1144
	s_branch .LBB6_1126
.LBB6_1125:                             ;   in Loop: Header=BB6_1076 Depth=2
	s_and_not1_saveexec_b32 s13, s18
	s_cbranch_execz .LBB6_1144
.LBB6_1126:                             ;   in Loop: Header=BB6_1076 Depth=2
	s_and_saveexec_b32 s18, s3
	s_delay_alu instid0(SALU_CYCLE_1)
	s_xor_b32 s18, exec_lo, s18
	s_cbranch_execz .LBB6_1141
; %bb.1127:                             ;   in Loop: Header=BB6_1076 Depth=2
	s_and_saveexec_b32 s27, s6
	s_cbranch_execz .LBB6_1140
; %bb.1128:                             ;   in Loop: Header=BB6_1076 Depth=2
	s_mov_b32 s41, exec_lo
	s_mov_b32 s40, exec_lo
	v_mbcnt_lo_u32_b32 v2, s41, 0
	;;#ASMSTART
	s_waitcnt lgkmcnt(0) vmcnt(0)
	;;#ASMEND
	s_delay_alu instid0(VALU_DEP_1)
	v_cmpx_eq_u32_e32 0, v2
	s_cbranch_execz .LBB6_1130
; %bb.1129:                             ;   in Loop: Header=BB6_1076 Depth=2
	s_bcnt1_i32_b32 s41, s41
	s_delay_alu instid0(SALU_CYCLE_1)
	v_mov_b32_e32 v2, s41
	s_wait_storecnt 0x0
	s_wait_loadcnt_dscnt 0x0
	ds_add_u64 v0, v[2:3]
	s_trap 2
.LBB6_1130:                             ;   in Loop: Header=BB6_1076 Depth=2
	s_or_b32 exec_lo, exec_lo, s40
	s_trap 2
	ds_load_b64 v[8:9], v0
	s_wait_dscnt 0x0
	v_add_nc_u64_e32 v[48:49], v[48:49], v[52:53]
	s_mov_b32 s40, exec_lo
	s_delay_alu instid0(VALU_DEP_1)
	v_cmpx_lt_u64_e64 v[8:9], v[48:49]
	s_cbranch_execz .LBB6_1139
; %bb.1131:                             ;   in Loop: Header=BB6_1076 Depth=2
	s_mov_b32 s41, 0
	s_mov_b32 s62, 0
                                        ; implicit-def: $sgpr60
                                        ; implicit-def: $sgpr61
	s_branch .LBB6_1133
.LBB6_1132:                             ;   in Loop: Header=BB6_1133 Depth=3
	s_or_b32 exec_lo, exec_lo, s72
	s_delay_alu instid0(SALU_CYCLE_1) | instskip(NEXT) | instid1(SALU_CYCLE_1)
	s_and_b32 s63, exec_lo, s73
	s_or_b32 s41, s63, s41
	s_and_not1_b32 s60, s60, exec_lo
	s_and_b32 s63, s61, exec_lo
	s_delay_alu instid0(SALU_CYCLE_1)
	s_or_b32 s60, s60, s63
	s_and_not1_b32 exec_lo, exec_lo, s41
	s_cbranch_execz .LBB6_1137
.LBB6_1133:                             ;   Parent Loop BB6_47 Depth=1
                                        ;     Parent Loop BB6_1076 Depth=2
                                        ; =>    This Inner Loop Header: Depth=3
	s_add_co_i32 s62, s62, 1
	s_delay_alu instid0(SALU_CYCLE_1) | instskip(SKIP_1) | instid1(SALU_CYCLE_1)
	s_cmp_lg_u32 s62, 0x2710
	s_cselect_b32 s63, -1, 0
	s_and_b32 vcc_lo, exec_lo, s63
	s_cbranch_vccz .LBB6_1135
; %bb.1134:                             ;   in Loop: Header=BB6_1133 Depth=3
	s_mov_b32 s73, -1
	s_or_b32 s61, s61, exec_lo
	s_and_saveexec_b32 s72, s63
	s_cbranch_execz .LBB6_1132
	s_branch .LBB6_1136
.LBB6_1135:                             ;   in Loop: Header=BB6_1133 Depth=3
	s_trap 2
	ds_load_b64 v[8:9], v0
	s_and_not1_b32 s63, s63, exec_lo
	s_mov_b32 s62, 0
	s_wait_storecnt 0x0
	s_wait_loadcnt_dscnt 0x0
	flat_load_b32 v2, v[8:9] scope:SCOPE_SYS
	s_wait_loadcnt_dscnt 0x0
	global_inv scope:SCOPE_SYS
	v_cmp_eq_u32_e32 vcc_lo, 0, v2
	s_and_b32 s72, vcc_lo, exec_lo
	s_delay_alu instid0(SALU_CYCLE_1)
	s_or_b32 s63, s63, s72
	s_mov_b32 s73, -1
	s_or_b32 s61, s61, exec_lo
	s_and_saveexec_b32 s72, s63
	s_cbranch_execz .LBB6_1132
.LBB6_1136:                             ;   in Loop: Header=BB6_1133 Depth=3
	s_sleep 1
	s_trap 2
	ds_load_b64 v[8:9], v0
	s_wait_dscnt 0x0
	s_and_not1_b32 s61, s61, exec_lo
	v_cmp_ge_u64_e32 vcc_lo, v[8:9], v[48:49]
	s_or_not1_b32 s73, vcc_lo, exec_lo
	s_branch .LBB6_1132
.LBB6_1137:                             ;   in Loop: Header=BB6_1076 Depth=2
	s_or_b32 exec_lo, exec_lo, s41
	s_and_saveexec_b32 s41, s60
	s_delay_alu instid0(SALU_CYCLE_1)
	s_xor_b32 s41, exec_lo, s41
	s_cbranch_execz .LBB6_1139
; %bb.1138:                             ;   in Loop: Header=BB6_1076 Depth=2
	ds_store_b32 v0, v79
	s_trap 2
.LBB6_1139:                             ;   in Loop: Header=BB6_1076 Depth=2
	s_or_b32 exec_lo, exec_lo, s40
	;;#ASMSTART
	s_wakeup
	;;#ASMEND
.LBB6_1140:                             ;   in Loop: Header=BB6_1076 Depth=2
	s_or_b32 exec_lo, exec_lo, s27
.LBB6_1141:                             ;   in Loop: Header=BB6_1076 Depth=2
	s_and_not1_saveexec_b32 s18, s18
	s_cbranch_execz .LBB6_1143
; %bb.1142:                             ;   in Loop: Header=BB6_1076 Depth=2
	;;#ASMSTART
	s_waitcnt lgkmcnt(0) vmcnt(0)
	;;#ASMEND
	s_barrier_signal -1
	s_barrier_wait -1
.LBB6_1143:                             ;   in Loop: Header=BB6_1076 Depth=2
	s_or_b32 exec_lo, exec_lo, s18
	v_and_b32_e32 v2, 16, v30
.LBB6_1144:                             ;   in Loop: Header=BB6_1076 Depth=2
	s_or_b32 exec_lo, exec_lo, s13
	s_delay_alu instid0(VALU_DEP_1) | instskip(SKIP_1) | instid1(SALU_CYCLE_1)
	v_cmp_ne_u32_e32 vcc_lo, 0, v2
	s_xor_b32 s13, s4, -1
	s_and_b32 s18, vcc_lo, s13
	s_delay_alu instid0(SALU_CYCLE_1)
	s_and_saveexec_b32 s13, s18
	s_cbranch_execz .LBB6_1146
; %bb.1145:                             ;   in Loop: Header=BB6_1076 Depth=2
	global_wb scope:SCOPE_SYS
	s_wait_storecnt 0x0
	s_wait_loadcnt_dscnt 0x0
	flat_store_b32 v[38:39], v79 scope:SCOPE_SYS
.LBB6_1146:                             ;   in Loop: Header=BB6_1076 Depth=2
	s_wait_xcnt 0x0
	s_or_b32 exec_lo, exec_lo, s13
	v_and_b32_e32 v2, 48, v30
	s_mov_b32 s13, exec_lo
	s_delay_alu instid0(VALU_DEP_1)
	v_cmpx_ne_u32_e32 0, v2
	s_cbranch_execz .LBB6_1075
; %bb.1147:                             ;   in Loop: Header=BB6_1076 Depth=2
	v_add_nc_u64_e32 v[114:115], 2, v[114:115]
	global_wb scope:SCOPE_SYS
	s_wait_storecnt 0x0
	s_wait_loadcnt_dscnt 0x0
	flat_store_b64 v[32:33], v[114:115] scope:SCOPE_SYS
	s_branch .LBB6_1075
.LBB6_1148:                             ;   in Loop: Header=BB6_47 Depth=1
	s_or_b32 exec_lo, exec_lo, s15
.LBB6_1149:                             ;   in Loop: Header=BB6_47 Depth=1
	s_delay_alu instid0(SALU_CYCLE_1) | instskip(NEXT) | instid1(SALU_CYCLE_1)
	s_or_b32 exec_lo, exec_lo, s14
	s_and_not1_b32 vcc_lo, exec_lo, s46
	s_cbranch_vccnz .LBB6_1410
; %bb.1150:                             ;   in Loop: Header=BB6_47 Depth=1
	s_mov_b32 s18, 1
.LBB6_1151:                             ;   Parent Loop BB6_47 Depth=1
                                        ; =>  This Loop Header: Depth=2
                                        ;       Child Loop BB6_1154 Depth 3
                                        ;         Child Loop BB6_1162 Depth 4
                                        ;         Child Loop BB6_1190 Depth 4
                                        ;         Child Loop BB6_1209 Depth 4
                                        ;         Child Loop BB6_1236 Depth 4
                                        ;         Child Loop BB6_1241 Depth 4
                                        ;           Child Loop BB6_1242 Depth 5
                                        ;         Child Loop BB6_1251 Depth 4
                                        ;         Child Loop BB6_1256 Depth 4
                                        ;           Child Loop BB6_1257 Depth 5
                                        ;         Child Loop BB6_1269 Depth 4
                                        ;         Child Loop BB6_1274 Depth 4
	;; [unrolled: 1-line block ×6, first 2 shown]
                                        ;       Child Loop BB6_1335 Depth 3
                                        ;         Child Loop BB6_1341 Depth 4
                                        ;         Child Loop BB6_1369 Depth 4
	;; [unrolled: 1-line block ×3, first 2 shown]
	s_delay_alu instid0(SALU_CYCLE_1) | instskip(SKIP_4) | instid1(SALU_CYCLE_1)
	s_sub_co_i32 s13, s44, s18
	s_mov_b32 s60, 0
	s_cmp_ge_i32 s13, s16
	v_mov_b32_e32 v14, 0
	s_cselect_b32 s14, s16, 0
	s_sub_co_i32 s14, s13, s14
	s_delay_alu instid0(SALU_CYCLE_1) | instskip(NEXT) | instid1(SALU_CYCLE_1)
	s_ashr_i32 s15, s14, 31
	v_mul_u64_e32 v[8:9], s[14:15], v[112:113]
	s_delay_alu instid0(VALU_DEP_1) | instskip(NEXT) | instid1(VALU_DEP_1)
	v_sub_nc_u64_e32 v[10:11], v[116:117], v[8:9]
	v_min_i64 v[10:11], v[112:113], v[10:11]
	s_delay_alu instid0(VALU_DEP_1) | instskip(SKIP_1) | instid1(VALU_DEP_2)
	v_max_i32_e32 v46, 0, v10
	v_cmp_lt_i32_e32 vcc_lo, 0, v10
	v_add_nc_u32_e32 v2, 31, v46
	s_and_b32 s13, s57, vcc_lo
	s_delay_alu instid0(VALU_DEP_1) | instskip(NEXT) | instid1(VALU_DEP_1)
	v_lshrrev_b32_e32 v2, 1, v2
	v_and_b32_e32 v11, 0x3ffffff0, v2
	s_delay_alu instid0(VALU_DEP_1)
	v_dual_mov_b32 v2, 0 :: v_dual_max_i32 v12, s45, v11
	s_and_saveexec_b32 s27, s13
	s_cbranch_execz .LBB6_1332
; %bb.1152:                             ;   in Loop: Header=BB6_1151 Depth=2
	v_add_nc_u64_e32 v[8:9], v[8:9], v[118:119]
	v_mov_b32_e32 v14, 0
	s_mov_b32 s62, 1
	s_mov_b32 s61, -1
	s_delay_alu instid0(VALU_DEP_2)
	v_lshlrev_b64_e32 v[16:17], 1, v[8:9]
	s_branch .LBB6_1154
.LBB6_1153:                             ;   in Loop: Header=BB6_1154 Depth=3
	s_wait_xcnt 0x0
	s_or_b32 exec_lo, exec_lo, s13
	v_dual_add_nc_u32 v14, v12, v14 :: v_dual_mov_b32 v2, s62
	s_xor_b32 s13, s61, -1
	s_mov_b32 s61, 0
	s_mov_b32 s62, 2
	s_delay_alu instid0(VALU_DEP_1) | instskip(SKIP_1) | instid1(SALU_CYCLE_1)
	v_cmp_ge_i32_e32 vcc_lo, v14, v46
	s_or_b32 s13, s13, vcc_lo
	s_and_b32 s13, exec_lo, s13
	s_delay_alu instid0(SALU_CYCLE_1) | instskip(NEXT) | instid1(SALU_CYCLE_1)
	s_or_b32 s60, s13, s60
	s_and_not1_b32 exec_lo, exec_lo, s60
	s_cbranch_execz .LBB6_1331
.LBB6_1154:                             ;   Parent Loop BB6_47 Depth=1
                                        ;     Parent Loop BB6_1151 Depth=2
                                        ; =>    This Loop Header: Depth=3
                                        ;         Child Loop BB6_1162 Depth 4
                                        ;         Child Loop BB6_1190 Depth 4
	;; [unrolled: 1-line block ×5, first 2 shown]
                                        ;           Child Loop BB6_1242 Depth 5
                                        ;         Child Loop BB6_1251 Depth 4
                                        ;         Child Loop BB6_1256 Depth 4
                                        ;           Child Loop BB6_1257 Depth 5
                                        ;         Child Loop BB6_1269 Depth 4
                                        ;         Child Loop BB6_1274 Depth 4
	;; [unrolled: 1-line block ×6, first 2 shown]
	s_and_saveexec_b32 s13, s0
	s_cbranch_execz .LBB6_1156
; %bb.1155:                             ;   in Loop: Header=BB6_1154 Depth=3
	s_trap 2
	ds_load_b128 v[8:11], v0
	s_wait_dscnt 0x0
	v_cmp_ne_u64_e32 vcc_lo, 0, v[10:11]
	v_ashrrev_i32_e32 v15, 31, v14
	v_add_nc_u64_e32 v[20:21], v[10:11], v[16:17]
	v_add_nc_u64_e32 v[8:9], v[8:9], v[16:17]
	s_delay_alu instid0(VALU_DEP_3) | instskip(NEXT) | instid1(VALU_DEP_1)
	v_lshlrev_b64_e32 v[18:19], 1, v[14:15]
	v_add_nc_u64_e32 v[20:21], v[20:21], v[18:19]
	s_delay_alu instid0(VALU_DEP_3) | instskip(NEXT) | instid1(VALU_DEP_2)
	v_add_nc_u64_e32 v[8:9], v[8:9], v[18:19]
	v_dual_cndmask_b32 v11, 0, v21 :: v_dual_cndmask_b32 v10, 0, v20
	ds_store_b64 v0, v[8:9]
	ds_store_b64 v0, v[10:11]
.LBB6_1156:                             ;   in Loop: Header=BB6_1154 Depth=3
	s_or_b32 exec_lo, exec_lo, s13
	v_sub_nc_u32_e32 v2, v46, v14
	v_and_b32_e32 v8, 12, v30
	s_mov_b32 s14, exec_lo
	s_delay_alu instid0(VALU_DEP_2) | instskip(NEXT) | instid1(VALU_DEP_2)
	v_min_i32_e32 v12, v12, v2
	v_cmpx_ne_u32_e32 0, v8
	s_cbranch_execz .LBB6_1182
; %bb.1157:                             ;   in Loop: Header=BB6_1154 Depth=3
	v_and_b32_e32 v2, 8, v30
	v_add_nc_u64_e32 v[8:9], 2, v[114:115]
	s_mov_b32 s15, exec_lo
	s_wait_loadcnt_dscnt 0x1
	s_delay_alu instid0(VALU_DEP_2) | instskip(NEXT) | instid1(VALU_DEP_1)
	v_add_nc_u64_e32 v[10:11], v[50:51], v[2:3]
	v_cmpx_lt_u64_e64 v[10:11], v[8:9]
	s_cbranch_execz .LBB6_1169
; %bb.1158:                             ;   in Loop: Header=BB6_1154 Depth=3
	v_and_b32_e32 v10, 64, v30
	s_mov_b32 s40, 0
	s_mov_b32 s73, 0
                                        ; implicit-def: $sgpr41
                                        ; implicit-def: $sgpr63
                                        ; implicit-def: $sgpr72
	s_delay_alu instid0(VALU_DEP_1)
	v_cmp_eq_u32_e32 vcc_lo, 0, v10
	s_branch .LBB6_1162
.LBB6_1159:                             ;   in Loop: Header=BB6_1162 Depth=4
	s_wait_loadcnt_dscnt 0x0
	v_add_nc_u64_e32 v[18:19], v[50:51], v[2:3]
	s_or_b32 s76, s76, exec_lo
	s_delay_alu instid0(VALU_DEP_1)
	v_cmp_ge_u64_e64 s13, v[18:19], v[8:9]
	s_or_not1_b32 s75, s13, exec_lo
.LBB6_1160:                             ;   in Loop: Header=BB6_1162 Depth=4
	s_or_b32 exec_lo, exec_lo, s78
	s_delay_alu instid0(SALU_CYCLE_1)
	s_and_not1_b32 s13, s72, exec_lo
	s_and_b32 s72, s76, exec_lo
	s_and_not1_b32 s63, s63, exec_lo
	s_and_b32 s75, s75, exec_lo
	s_or_b32 s72, s13, s72
	s_or_b32 s63, s63, s75
.LBB6_1161:                             ;   in Loop: Header=BB6_1162 Depth=4
	s_or_b32 exec_lo, exec_lo, s74
	s_delay_alu instid0(SALU_CYCLE_1) | instskip(NEXT) | instid1(SALU_CYCLE_1)
	s_and_b32 s13, exec_lo, s63
	s_or_b32 s40, s13, s40
	s_and_not1_b32 s13, s41, exec_lo
	s_and_b32 s41, s72, exec_lo
	s_delay_alu instid0(SALU_CYCLE_1)
	s_or_b32 s41, s13, s41
	s_and_not1_b32 exec_lo, exec_lo, s40
	s_cbranch_execz .LBB6_1166
.LBB6_1162:                             ;   Parent Loop BB6_47 Depth=1
                                        ;     Parent Loop BB6_1151 Depth=2
                                        ;       Parent Loop BB6_1154 Depth=3
                                        ; =>      This Inner Loop Header: Depth=4
	s_sleep 1
	s_wait_loadcnt_dscnt 0x0
	flat_load_b64 v[50:51], v[32:33] scope:SCOPE_SYS
	s_or_b32 s72, s72, exec_lo
	s_or_b32 s63, s63, exec_lo
                                        ; implicit-def: $vgpr10
	s_wait_xcnt 0x0
	s_and_saveexec_b32 s74, vcc_lo
	s_cbranch_execz .LBB6_1161
; %bb.1163:                             ;   in Loop: Header=BB6_1162 Depth=4
	s_cmp_lt_i32 s73, 0x270f
	s_mov_b32 s75, -1
	s_cselect_b32 s77, -1, 0
	s_cmp_gt_i32 s73, 0x270e
	s_cbranch_scc0 .LBB6_1165
; %bb.1164:                             ;   in Loop: Header=BB6_1162 Depth=4
	s_trap 2
	ds_load_b64 v[10:11], v0
	s_and_not1_b32 s73, s77, exec_lo
	s_mov_b32 s76, 0
	s_wait_storecnt 0x0
	s_wait_loadcnt_dscnt 0x0
	flat_load_b32 v10, v[10:11] scope:SCOPE_SYS
	s_wait_loadcnt_dscnt 0x0
	global_inv scope:SCOPE_SYS
	v_cmp_eq_u32_e64 s13, 0, v10
	s_and_b32 s13, s13, exec_lo
	s_delay_alu instid0(SALU_CYCLE_1)
	s_or_b32 s77, s73, s13
	s_mov_b32 s73, 0
	s_and_saveexec_b32 s78, s77
	s_cbranch_execz .LBB6_1160
	s_branch .LBB6_1159
.LBB6_1165:                             ;   in Loop: Header=BB6_1162 Depth=4
	s_add_co_i32 s73, s73, 1
	s_mov_b32 s76, -1
                                        ; implicit-def: $vgpr10
	s_and_saveexec_b32 s78, s77
	s_cbranch_execz .LBB6_1160
	s_branch .LBB6_1159
.LBB6_1166:                             ;   in Loop: Header=BB6_1154 Depth=3
	s_or_b32 exec_lo, exec_lo, s40
	s_xor_b32 s13, s41, -1
	s_delay_alu instid0(SALU_CYCLE_1) | instskip(NEXT) | instid1(SALU_CYCLE_1)
	s_and_saveexec_b32 s40, s13
	s_xor_b32 s13, exec_lo, s40
	s_cbranch_execz .LBB6_1168
; %bb.1167:                             ;   in Loop: Header=BB6_1154 Depth=3
	v_or_b32_e32 v30, 64, v30
	s_wait_storecnt 0x0
	s_wait_loadcnt_dscnt 0x0
	ds_store_b32 v0, v10
	s_trap 2
.LBB6_1168:                             ;   in Loop: Header=BB6_1154 Depth=3
	s_or_b32 exec_lo, exec_lo, s13
.LBB6_1169:                             ;   in Loop: Header=BB6_1154 Depth=3
	s_delay_alu instid0(SALU_CYCLE_1) | instskip(SKIP_2) | instid1(VALU_DEP_1)
	s_or_b32 exec_lo, exec_lo, s15
	v_and_b32_e32 v10, 0x108, v30
	;;#ASMSTART
	s_wakeup
	;;#ASMEND
	v_cmp_ne_u32_e32 vcc_lo, 0x108, v10
                                        ; implicit-def: $vgpr10_vgpr11
	s_and_saveexec_b32 s13, vcc_lo
	s_delay_alu instid0(SALU_CYCLE_1)
	s_xor_b32 s13, exec_lo, s13
; %bb.1170:                             ;   in Loop: Header=BB6_1154 Depth=3
	v_dual_mov_b32 v11, v3 :: v_dual_bitop2_b32 v10, 7, v114 bitop3:0x40
                                        ; implicit-def: $vgpr114_vgpr115
; %bb.1171:                             ;   in Loop: Header=BB6_1154 Depth=3
	s_and_not1_saveexec_b32 s13, s13
	s_cbranch_execz .LBB6_1173
; %bb.1172:                             ;   in Loop: Header=BB6_1154 Depth=3
	v_dual_ashrrev_i32 v13, 31, v12 :: v_dual_bitop2_b32 v10, 7, v114 bitop3:0x40
	v_mov_b32_e32 v11, v3
	s_delay_alu instid0(VALU_DEP_2) | instskip(NEXT) | instid1(VALU_DEP_3)
	v_mad_nc_u64_u32 v[18:19], v10, 24, v[6:7]
	v_lshlrev_b64_e32 v[20:21], 1, v[12:13]
	flat_store_b64 v[18:19], v[20:21] offset:8
.LBB6_1173:                             ;   in Loop: Header=BB6_1154 Depth=3
	s_wait_xcnt 0x0
	s_or_b32 exec_lo, exec_lo, s13
	v_and_b32_e32 v13, 0x100, v30
	s_mov_b32 s13, -1
	s_mov_b32 s15, exec_lo
                                        ; implicit-def: $vgpr18_vgpr19
	s_delay_alu instid0(VALU_DEP_1)
	v_cmpx_ne_u32_e32 0, v13
	s_cbranch_execz .LBB6_1177
; %bb.1174:                             ;   in Loop: Header=BB6_1154 Depth=3
	v_mad_nc_u64_u32 v[20:21], v10, 24, v[6:7]
	s_mov_b32 s40, exec_lo
                                        ; implicit-def: $vgpr18_vgpr19
	s_delay_alu instid0(VALU_DEP_1)
	v_mad_u32 v21, v11, 24, v21
	flat_load_b32 v13, v[20:21]
	s_wait_loadcnt_dscnt 0x0
	v_cmp_ne_u32_e32 vcc_lo, 1, v13
	s_wait_xcnt 0x0
	v_cmpx_eq_u32_e32 1, v13
	s_cbranch_execz .LBB6_1176
; %bb.1175:                             ;   in Loop: Header=BB6_1154 Depth=3
	flat_load_b32 v18, v[20:21] offset:4 scope:SCOPE_SYS
	s_wait_loadcnt_dscnt 0x0
	v_ashrrev_i32_e32 v19, 31, v18
	s_delay_alu instid0(VALU_DEP_1)
	v_lshrrev_b64 v[18:19], 1, v[18:19]
.LBB6_1176:                             ;   in Loop: Header=BB6_1154 Depth=3
	s_wait_xcnt 0x0
	s_or_b32 exec_lo, exec_lo, s40
	s_delay_alu instid0(SALU_CYCLE_1)
	s_or_not1_b32 s13, vcc_lo, exec_lo
.LBB6_1177:                             ;   in Loop: Header=BB6_1154 Depth=3
	s_or_b32 exec_lo, exec_lo, s15
	s_and_saveexec_b32 s15, s13
; %bb.1178:                             ;   in Loop: Header=BB6_1154 Depth=3
	v_mul_u64_e32 v[18:19], v[10:11], v[34:35]
; %bb.1179:                             ;   in Loop: Header=BB6_1154 Depth=3
	s_or_b32 exec_lo, exec_lo, s15
	v_cmp_eq_u32_e32 vcc_lo, 0, v2
	v_and_b32_e32 v13, 0x2000, v30
	s_delay_alu instid0(VALU_DEP_3) | instskip(SKIP_2) | instid1(VALU_DEP_1)
	v_lshl_add_u64 v[10:11], v[18:19], 1, v[36:37]
	s_mov_b32 s13, exec_lo
	v_cndmask_b32_e32 v2, 0xd0, v89, vcc_lo
	v_add_nc_u32_e32 v2, v0, v2
	ds_store_b64 v2, v[10:11] offset:584
	v_cmpx_ne_u32_e32 0, v13
	s_cbranch_execz .LBB6_1181
; %bb.1180:                             ;   in Loop: Header=BB6_1154 Depth=3
	ds_load_b64 v[10:11], v0 offset:872
	s_wait_dscnt 0x0
	v_add_nc_u64_e32 v[10:11], 1, v[10:11]
	ds_store_b64 v0, v[10:11] offset:872
.LBB6_1181:                             ;   in Loop: Header=BB6_1154 Depth=3
	s_or_b32 exec_lo, exec_lo, s13
	v_mov_b64_e32 v[114:115], v[8:9]
.LBB6_1182:                             ;   in Loop: Header=BB6_1154 Depth=3
	s_or_b32 exec_lo, exec_lo, s14
	s_and_saveexec_b32 s13, s2
	s_cbranch_execz .LBB6_1201
; %bb.1183:                             ;   in Loop: Header=BB6_1154 Depth=3
	s_and_saveexec_b32 s14, s3
	s_delay_alu instid0(SALU_CYCLE_1)
	s_xor_b32 s14, exec_lo, s14
	s_cbranch_execz .LBB6_1198
; %bb.1184:                             ;   in Loop: Header=BB6_1154 Depth=3
	s_and_saveexec_b32 s15, s6
	s_cbranch_execz .LBB6_1197
; %bb.1185:                             ;   in Loop: Header=BB6_1154 Depth=3
	s_mov_b32 s41, exec_lo
	s_mov_b32 s40, exec_lo
	v_mbcnt_lo_u32_b32 v2, s41, 0
	global_wb scope:SCOPE_DEV
	s_wait_storecnt 0x0
	s_wait_loadcnt_dscnt 0x0
	global_inv scope:SCOPE_DEV
	v_cmpx_eq_u32_e32 0, v2
	s_cbranch_execz .LBB6_1187
; %bb.1186:                             ;   in Loop: Header=BB6_1154 Depth=3
	s_bcnt1_i32_b32 s41, s41
	s_delay_alu instid0(SALU_CYCLE_1)
	v_mov_b32_e32 v2, s41
	s_wait_loadcnt 0x0
	ds_add_u64 v0, v[2:3]
	s_trap 2
.LBB6_1187:                             ;   in Loop: Header=BB6_1154 Depth=3
	s_or_b32 exec_lo, exec_lo, s40
	s_trap 2
	ds_load_b64 v[8:9], v0
	s_wait_dscnt 0x0
	v_add_nc_u64_e32 v[48:49], v[48:49], v[52:53]
	s_mov_b32 s40, exec_lo
	s_delay_alu instid0(VALU_DEP_1)
	v_cmpx_lt_u64_e64 v[8:9], v[48:49]
	s_cbranch_execz .LBB6_1196
; %bb.1188:                             ;   in Loop: Header=BB6_1154 Depth=3
	s_mov_b32 s41, 0
	s_mov_b32 s73, 0
                                        ; implicit-def: $sgpr63
                                        ; implicit-def: $sgpr72
	s_branch .LBB6_1190
.LBB6_1189:                             ;   in Loop: Header=BB6_1190 Depth=4
	s_or_b32 exec_lo, exec_lo, s75
	s_delay_alu instid0(SALU_CYCLE_1) | instskip(NEXT) | instid1(SALU_CYCLE_1)
	s_and_b32 s74, exec_lo, s76
	s_or_b32 s41, s74, s41
	s_and_not1_b32 s63, s63, exec_lo
	s_and_b32 s74, s72, exec_lo
	s_delay_alu instid0(SALU_CYCLE_1)
	s_or_b32 s63, s63, s74
	s_and_not1_b32 exec_lo, exec_lo, s41
	s_cbranch_execz .LBB6_1194
.LBB6_1190:                             ;   Parent Loop BB6_47 Depth=1
                                        ;     Parent Loop BB6_1151 Depth=2
                                        ;       Parent Loop BB6_1154 Depth=3
                                        ; =>      This Inner Loop Header: Depth=4
	s_add_co_i32 s73, s73, 1
	s_delay_alu instid0(SALU_CYCLE_1) | instskip(SKIP_1) | instid1(SALU_CYCLE_1)
	s_cmp_lg_u32 s73, 0x2710
	s_cselect_b32 s74, -1, 0
	s_and_b32 vcc_lo, exec_lo, s74
	s_cbranch_vccz .LBB6_1192
; %bb.1191:                             ;   in Loop: Header=BB6_1190 Depth=4
	s_mov_b32 s76, -1
	s_or_b32 s72, s72, exec_lo
	s_and_saveexec_b32 s75, s74
	s_cbranch_execz .LBB6_1189
	s_branch .LBB6_1193
.LBB6_1192:                             ;   in Loop: Header=BB6_1190 Depth=4
	s_trap 2
	ds_load_b64 v[8:9], v0
	s_and_not1_b32 s74, s74, exec_lo
	s_mov_b32 s73, 0
	s_wait_loadcnt_dscnt 0x0
	flat_load_b32 v2, v[8:9] scope:SCOPE_SYS
	s_wait_loadcnt_dscnt 0x0
	global_inv scope:SCOPE_SYS
	v_cmp_eq_u32_e32 vcc_lo, 0, v2
	s_and_b32 s75, vcc_lo, exec_lo
	s_delay_alu instid0(SALU_CYCLE_1)
	s_or_b32 s74, s74, s75
	s_mov_b32 s76, -1
	s_or_b32 s72, s72, exec_lo
	s_and_saveexec_b32 s75, s74
	s_cbranch_execz .LBB6_1189
.LBB6_1193:                             ;   in Loop: Header=BB6_1190 Depth=4
	s_sleep 1
	s_trap 2
	ds_load_b64 v[8:9], v0
	s_wait_dscnt 0x0
	s_and_not1_b32 s72, s72, exec_lo
	v_cmp_ge_u64_e32 vcc_lo, v[8:9], v[48:49]
	s_or_not1_b32 s76, vcc_lo, exec_lo
	s_branch .LBB6_1189
.LBB6_1194:                             ;   in Loop: Header=BB6_1154 Depth=3
	s_or_b32 exec_lo, exec_lo, s41
	s_and_saveexec_b32 s41, s63
	s_delay_alu instid0(SALU_CYCLE_1)
	s_xor_b32 s41, exec_lo, s41
	s_cbranch_execz .LBB6_1196
; %bb.1195:                             ;   in Loop: Header=BB6_1154 Depth=3
	ds_store_b32 v0, v79
	s_trap 2
.LBB6_1196:                             ;   in Loop: Header=BB6_1154 Depth=3
	s_or_b32 exec_lo, exec_lo, s40
	;;#ASMSTART
	s_wakeup
	;;#ASMEND
.LBB6_1197:                             ;   in Loop: Header=BB6_1154 Depth=3
	s_or_b32 exec_lo, exec_lo, s15
.LBB6_1198:                             ;   in Loop: Header=BB6_1154 Depth=3
	s_and_not1_saveexec_b32 s14, s14
	s_cbranch_execz .LBB6_1200
; %bb.1199:                             ;   in Loop: Header=BB6_1154 Depth=3
	global_wb scope:SCOPE_DEV
	s_wait_storecnt 0x0
	s_wait_loadcnt_dscnt 0x0
	global_inv scope:SCOPE_DEV
	s_barrier_signal -1
	s_barrier_wait -1
.LBB6_1200:                             ;   in Loop: Header=BB6_1154 Depth=3
	s_or_b32 exec_lo, exec_lo, s14
.LBB6_1201:                             ;   in Loop: Header=BB6_1154 Depth=3
	s_delay_alu instid0(SALU_CYCLE_1) | instskip(SKIP_4) | instid1(VALU_DEP_1)
	s_or_b32 exec_lo, exec_lo, s13
	s_trap 2
	ds_load_b32 v8, v0
	v_and_b32_e32 v2, 0x4000, v30
	s_xor_b32 s13, s1, -1
	v_cmp_ne_u32_e32 vcc_lo, 0, v2
	s_and_b32 s14, s13, vcc_lo
	s_delay_alu instid0(SALU_CYCLE_1)
	s_and_saveexec_b32 s13, s14
	s_cbranch_execz .LBB6_1220
; %bb.1202:                             ;   in Loop: Header=BB6_1154 Depth=3
	s_and_saveexec_b32 s14, s3
	s_delay_alu instid0(SALU_CYCLE_1)
	s_xor_b32 s14, exec_lo, s14
	s_cbranch_execz .LBB6_1217
; %bb.1203:                             ;   in Loop: Header=BB6_1154 Depth=3
	s_and_saveexec_b32 s15, s6
	s_cbranch_execz .LBB6_1216
; %bb.1204:                             ;   in Loop: Header=BB6_1154 Depth=3
	s_mov_b32 s41, exec_lo
	s_mov_b32 s40, exec_lo
	v_mbcnt_lo_u32_b32 v2, s41, 0
	global_wb scope:SCOPE_DEV
	s_wait_storecnt 0x0
	s_wait_loadcnt_dscnt 0x0
	global_inv scope:SCOPE_DEV
	v_cmpx_eq_u32_e32 0, v2
	s_cbranch_execz .LBB6_1206
; %bb.1205:                             ;   in Loop: Header=BB6_1154 Depth=3
	s_bcnt1_i32_b32 s41, s41
	s_delay_alu instid0(SALU_CYCLE_1)
	v_mov_b32_e32 v2, s41
	s_wait_loadcnt 0x0
	ds_add_u64 v0, v[2:3]
	s_trap 2
.LBB6_1206:                             ;   in Loop: Header=BB6_1154 Depth=3
	s_or_b32 exec_lo, exec_lo, s40
	s_trap 2
	ds_load_b64 v[10:11], v0
	s_wait_dscnt 0x0
	v_add_nc_u64_e32 v[48:49], v[48:49], v[52:53]
	s_mov_b32 s40, exec_lo
	s_delay_alu instid0(VALU_DEP_1)
	v_cmpx_lt_u64_e64 v[10:11], v[48:49]
	s_cbranch_execz .LBB6_1215
; %bb.1207:                             ;   in Loop: Header=BB6_1154 Depth=3
	s_mov_b32 s41, 0
	s_mov_b32 s73, 0
                                        ; implicit-def: $sgpr63
                                        ; implicit-def: $sgpr72
	s_branch .LBB6_1209
.LBB6_1208:                             ;   in Loop: Header=BB6_1209 Depth=4
	s_or_b32 exec_lo, exec_lo, s75
	s_delay_alu instid0(SALU_CYCLE_1) | instskip(NEXT) | instid1(SALU_CYCLE_1)
	s_and_b32 s74, exec_lo, s76
	s_or_b32 s41, s74, s41
	s_and_not1_b32 s63, s63, exec_lo
	s_and_b32 s74, s72, exec_lo
	s_delay_alu instid0(SALU_CYCLE_1)
	s_or_b32 s63, s63, s74
	s_and_not1_b32 exec_lo, exec_lo, s41
	s_cbranch_execz .LBB6_1213
.LBB6_1209:                             ;   Parent Loop BB6_47 Depth=1
                                        ;     Parent Loop BB6_1151 Depth=2
                                        ;       Parent Loop BB6_1154 Depth=3
                                        ; =>      This Inner Loop Header: Depth=4
	s_add_co_i32 s73, s73, 1
	s_delay_alu instid0(SALU_CYCLE_1) | instskip(SKIP_1) | instid1(SALU_CYCLE_1)
	s_cmp_lg_u32 s73, 0x2710
	s_cselect_b32 s74, -1, 0
	s_and_b32 vcc_lo, exec_lo, s74
	s_cbranch_vccz .LBB6_1211
; %bb.1210:                             ;   in Loop: Header=BB6_1209 Depth=4
	s_mov_b32 s76, -1
	s_or_b32 s72, s72, exec_lo
	s_and_saveexec_b32 s75, s74
	s_cbranch_execz .LBB6_1208
	s_branch .LBB6_1212
.LBB6_1211:                             ;   in Loop: Header=BB6_1209 Depth=4
	s_trap 2
	ds_load_b64 v[10:11], v0
	s_and_not1_b32 s74, s74, exec_lo
	s_mov_b32 s73, 0
	s_wait_loadcnt_dscnt 0x0
	flat_load_b32 v2, v[10:11] scope:SCOPE_SYS
	s_wait_loadcnt_dscnt 0x0
	global_inv scope:SCOPE_SYS
	v_cmp_eq_u32_e32 vcc_lo, 0, v2
	s_and_b32 s75, vcc_lo, exec_lo
	s_delay_alu instid0(SALU_CYCLE_1)
	s_or_b32 s74, s74, s75
	s_mov_b32 s76, -1
	s_or_b32 s72, s72, exec_lo
	s_and_saveexec_b32 s75, s74
	s_cbranch_execz .LBB6_1208
.LBB6_1212:                             ;   in Loop: Header=BB6_1209 Depth=4
	s_sleep 1
	s_trap 2
	ds_load_b64 v[10:11], v0
	s_wait_dscnt 0x0
	s_and_not1_b32 s72, s72, exec_lo
	v_cmp_ge_u64_e32 vcc_lo, v[10:11], v[48:49]
	s_or_not1_b32 s76, vcc_lo, exec_lo
	s_branch .LBB6_1208
.LBB6_1213:                             ;   in Loop: Header=BB6_1154 Depth=3
	s_or_b32 exec_lo, exec_lo, s41
	s_and_saveexec_b32 s41, s63
	s_delay_alu instid0(SALU_CYCLE_1)
	s_xor_b32 s41, exec_lo, s41
	s_cbranch_execz .LBB6_1215
; %bb.1214:                             ;   in Loop: Header=BB6_1154 Depth=3
	ds_store_b32 v0, v79
	s_trap 2
.LBB6_1215:                             ;   in Loop: Header=BB6_1154 Depth=3
	s_or_b32 exec_lo, exec_lo, s40
	;;#ASMSTART
	s_wakeup
	;;#ASMEND
.LBB6_1216:                             ;   in Loop: Header=BB6_1154 Depth=3
	s_or_b32 exec_lo, exec_lo, s15
.LBB6_1217:                             ;   in Loop: Header=BB6_1154 Depth=3
	s_and_not1_saveexec_b32 s14, s14
	s_cbranch_execz .LBB6_1219
; %bb.1218:                             ;   in Loop: Header=BB6_1154 Depth=3
	global_wb scope:SCOPE_DEV
	s_wait_storecnt 0x0
	s_wait_loadcnt_dscnt 0x0
	global_inv scope:SCOPE_DEV
	s_barrier_signal -1
	s_barrier_wait -1
.LBB6_1219:                             ;   in Loop: Header=BB6_1154 Depth=3
	s_or_b32 exec_lo, exec_lo, s14
.LBB6_1220:                             ;   in Loop: Header=BB6_1154 Depth=3
	s_delay_alu instid0(SALU_CYCLE_1)
	s_or_b32 exec_lo, exec_lo, s13
	s_trap 2
	ds_load_b64 v[18:19], v0
	s_wait_dscnt 0x0
	v_cmp_eq_u64_e32 vcc_lo, 0, v[18:19]
	s_cbranch_vccnz .LBB6_1229
; %bb.1221:                             ;   in Loop: Header=BB6_1154 Depth=3
	s_trap 2
	ds_load_b64 v[20:21], v0
	s_wait_dscnt 0x0
	v_cmp_eq_u64_e32 vcc_lo, 0, v[20:21]
	s_cbranch_vccnz .LBB6_1229
; %bb.1222:                             ;   in Loop: Header=BB6_1154 Depth=3
	s_trap 2
	ds_load_b64 v[22:23], v0
	v_cmp_eq_u32_e32 vcc_lo, 0, v8
	s_mov_b32 s13, -1
	v_cndmask_b32_e32 v2, 0, v12, vcc_lo
	s_delay_alu instid0(VALU_DEP_1)
	v_lshlrev_b32_e32 v13, 1, v2
	s_wait_dscnt 0x0
	v_cmp_ne_u64_e32 vcc_lo, 0, v[22:23]
	s_cbranch_vccz .LBB6_1260
; %bb.1223:                             ;   in Loop: Header=BB6_1154 Depth=3
	s_and_saveexec_b32 s14, s11
	s_cbranch_execz .LBB6_1225
; %bb.1224:                             ;   in Loop: Header=BB6_1154 Depth=3
	ds_load_b32 v8, v0 offset:720
	s_wait_dscnt 0x0
	v_and_b32_e32 v8, 15, v8
	s_delay_alu instid0(VALU_DEP_1)
	v_cmp_eq_u32_e32 vcc_lo, 0, v8
	s_or_not1_b32 s13, vcc_lo, exec_lo
.LBB6_1225:                             ;   in Loop: Header=BB6_1154 Depth=3
	s_or_b32 exec_lo, exec_lo, s14
	s_and_saveexec_b32 s14, s12
	s_cbranch_execz .LBB6_1227
; %bb.1226:                             ;   in Loop: Header=BB6_1154 Depth=3
	ds_load_b32 v8, v0 offset:784
	s_wait_dscnt 0x0
	v_and_b32_e32 v8, 15, v8
	s_delay_alu instid0(VALU_DEP_1) | instskip(SKIP_3) | instid1(SALU_CYCLE_1)
	v_cmp_eq_u32_e32 vcc_lo, 0, v8
	s_and_b32 s15, s13, vcc_lo
	s_and_not1_b32 s13, s13, exec_lo
	s_and_b32 s15, s15, exec_lo
	s_or_b32 s13, s13, s15
.LBB6_1227:                             ;   in Loop: Header=BB6_1154 Depth=3
	s_or_b32 exec_lo, exec_lo, s14
	s_xor_b32 s13, s13, -1
	v_dual_mov_b32 v42, 0 :: v_dual_mov_b32 v15, v13
	v_cndmask_b32_e64 v8, 0, 1, s13
	v_mov_b32_e32 v43, v0
	s_mov_b32 s13, -1
	s_delay_alu instid0(VALU_DEP_2)
	v_cmp_ne_u32_e32 vcc_lo, 0, v8
	v_mov_b32_e32 v8, v90
	s_cbranch_vccz .LBB6_1234
; %bb.1228:                             ;   in Loop: Header=BB6_1154 Depth=3
	s_and_saveexec_b32 s15, s13
	s_cbranch_execnz .LBB6_1249
	s_branch .LBB6_1259
.LBB6_1229:                             ;   in Loop: Header=BB6_1154 Depth=3
	s_mov_b32 s13, 0
	s_and_saveexec_b32 s14, s2
	s_cbranch_execnz .LBB6_1290
.LBB6_1230:                             ;   in Loop: Header=BB6_1154 Depth=3
	s_or_b32 exec_lo, exec_lo, s14
                                        ; implicit-def: $vgpr2
	s_and_saveexec_b32 s14, s10
	s_delay_alu instid0(SALU_CYCLE_1)
	s_xor_b32 s14, exec_lo, s14
	s_cbranch_execz .LBB6_1308
.LBB6_1231:                             ;   in Loop: Header=BB6_1154 Depth=3
	v_and_b32_e32 v2, 16, v30
	s_delay_alu instid0(VALU_DEP_1) | instskip(SKIP_2) | instid1(SALU_CYCLE_1)
	v_cmp_ne_u32_e32 vcc_lo, 0, v2
	v_and_b32_e32 v2, 16, v30
	s_and_b32 s15, vcc_lo, s13
	s_and_saveexec_b32 s13, s15
	s_cbranch_execz .LBB6_1233
; %bb.1232:                             ;   in Loop: Header=BB6_1154 Depth=3
	v_mov_b32_e32 v2, 1
	global_wb scope:SCOPE_SYS
	s_wait_storecnt 0x0
	s_wait_loadcnt_dscnt 0x0
	global_inv scope:SCOPE_SYS
.LBB6_1233:                             ;   in Loop: Header=BB6_1154 Depth=3
	s_or_b32 exec_lo, exec_lo, s13
	s_and_not1_saveexec_b32 s13, s14
	s_cbranch_execz .LBB6_1327
	s_branch .LBB6_1309
.LBB6_1234:                             ;   in Loop: Header=BB6_1154 Depth=3
	v_ashrrev_i32_e32 v8, 31, v13
	s_mov_b32 s13, exec_lo
	s_delay_alu instid0(VALU_DEP_1) | instskip(NEXT) | instid1(VALU_DEP_1)
	v_lshrrev_b32_e32 v8, 22, v8
	v_add_nc_u32_e32 v8, v13, v8
	s_delay_alu instid0(VALU_DEP_1) | instskip(NEXT) | instid1(VALU_DEP_1)
	v_ashrrev_i32_e32 v15, 10, v8
	v_sub_nc_u32_e32 v44, v15, v90
	s_delay_alu instid0(VALU_DEP_1)
	v_cmpx_lt_i32_e32 0, v44
	s_cbranch_execz .LBB6_1238
; %bb.1235:                             ;   in Loop: Header=BB6_1154 Depth=3
	v_add_nc_u64_e32 v[8:9], v[18:19], v[102:103]
	v_add_nc_u64_e32 v[10:11], v[20:21], v[102:103]
	;; [unrolled: 1-line block ×3, first 2 shown]
	s_mov_b32 s14, 0
.LBB6_1236:                             ;   Parent Loop BB6_47 Depth=1
                                        ;     Parent Loop BB6_1151 Depth=2
                                        ;       Parent Loop BB6_1154 Depth=3
                                        ; =>      This Inner Loop Header: Depth=4
	s_clause 0x1
	global_load_b128 v[56:59], v[8:9], off th:TH_LOAD_NT
	global_load_b128 v[60:63], v[8:9], off offset:512 th:TH_LOAD_NT
	v_sub_nc_u32_e32 v44, v44, v52
	s_wait_xcnt 0x0
	v_add_nc_u64_e32 v[8:9], v[8:9], v[82:83]
	s_wait_loadcnt 0x1
	global_store_b128 v[10:11], v[56:59], off th:TH_STORE_NT
	s_wait_loadcnt 0x0
	global_store_b128 v[10:11], v[60:63], off offset:512 th:TH_STORE_NT
	s_clause 0x1
	global_store_b128 v[40:41], v[56:59], off th:TH_STORE_NT
	global_store_b128 v[40:41], v[60:63], off offset:512 th:TH_STORE_NT
	v_cmp_gt_i32_e32 vcc_lo, 1, v44
	s_wait_xcnt 0x2
	v_add_nc_u64_e32 v[10:11], v[10:11], v[82:83]
	s_wait_xcnt 0x0
	v_add_nc_u64_e32 v[40:41], v[40:41], v[82:83]
	s_or_b32 s14, vcc_lo, s14
	s_delay_alu instid0(SALU_CYCLE_1)
	s_and_not1_b32 exec_lo, exec_lo, s14
	s_cbranch_execnz .LBB6_1236
; %bb.1237:                             ;   in Loop: Header=BB6_1154 Depth=3
	s_or_b32 exec_lo, exec_lo, s14
.LBB6_1238:                             ;   in Loop: Header=BB6_1154 Depth=3
	s_delay_alu instid0(SALU_CYCLE_1) | instskip(SKIP_3) | instid1(VALU_DEP_1)
	s_or_b32 exec_lo, exec_lo, s13
	v_dual_mov_b32 v42, 0 :: v_dual_lshlrev_b32 v47, 10, v15
	s_mov_b32 s13, 0
	s_mov_b32 s63, exec_lo
                                        ; implicit-def: $vgpr15
                                        ; implicit-def: $vgpr43
                                        ; implicit-def: $vgpr8
	v_cmpx_ne_u32_e64 v13, v47
	s_cbranch_execz .LBB6_1248
; %bb.1239:                             ;   in Loop: Header=BB6_1154 Depth=3
	v_dual_lshlrev_b32 v8, 5, v44 :: v_dual_sub_nc_u32 v10, v13, v47
	s_mov_b32 s72, exec_lo
	s_delay_alu instid0(VALU_DEP_1) | instskip(NEXT) | instid1(VALU_DEP_1)
	v_dual_sub_nc_u32 v8, v91, v8 :: v_dual_ashrrev_i32 v11, 31, v10
	v_dual_ashrrev_i32 v9, 31, v8 :: v_dual_lshrrev_b32 v11, 23, v11
	s_delay_alu instid0(VALU_DEP_1) | instskip(NEXT) | instid1(VALU_DEP_1)
	v_lshrrev_b32_e32 v9, 27, v9
	v_dual_add_nc_u32 v9, v8, v9 :: v_dual_add_nc_u32 v11, v10, v11
	s_delay_alu instid0(VALU_DEP_1) | instskip(SKIP_1) | instid1(VALU_DEP_3)
	v_and_b32_e32 v15, 0xffffffe0, v9
	v_ashrrev_i32_e32 v9, 5, v9
	v_and_b32_e32 v56, 0xfffffe00, v11
	v_ashrrev_i32_e32 v11, 9, v11
	s_delay_alu instid0(VALU_DEP_2) | instskip(NEXT) | instid1(VALU_DEP_1)
	v_dual_sub_nc_u32 v57, v8, v15 :: v_dual_sub_nc_u32 v58, v10, v56
	v_lshlrev_b32_e32 v8, 4, v57
	s_delay_alu instid0(VALU_DEP_2) | instskip(NEXT) | instid1(VALU_DEP_2)
	v_cmp_lt_i32_e64 s13, 15, v58
	v_lshl_add_u32 v8, v9, 9, v8
	s_delay_alu instid0(VALU_DEP_2) | instskip(NEXT) | instid1(VALU_DEP_1)
	v_add_co_ci_u32_e64 v11, null, 0, v11, s13
	v_dual_sub_nc_u32 v15, v10, v8 :: v_dual_sub_nc_u32 v59, v11, v9
	s_delay_alu instid0(VALU_DEP_1)
	v_cmpx_lt_i32_e32 15, v15
	s_cbranch_execz .LBB6_1245
; %bb.1240:                             ;   in Loop: Header=BB6_1154 Depth=3
	v_add_nc_u32_e32 v8, v8, v47
	s_mov_b32 s73, 0
	s_delay_alu instid0(VALU_DEP_1) | instskip(NEXT) | instid1(VALU_DEP_1)
	v_ashrrev_i32_e32 v9, 31, v8
	v_add_nc_u64_e32 v[40:41], v[8:9], v[18:19]
	v_add_nc_u64_e32 v[42:43], v[8:9], v[20:21]
	;; [unrolled: 1-line block ×3, first 2 shown]
.LBB6_1241:                             ;   Parent Loop BB6_47 Depth=1
                                        ;     Parent Loop BB6_1151 Depth=2
                                        ;       Parent Loop BB6_1154 Depth=3
                                        ; =>      This Loop Header: Depth=4
                                        ;           Child Loop BB6_1242 Depth 5
	global_load_b128 v[8:11], v[40:41], off th:TH_LOAD_NT
	s_mov_b64 s[40:41], 0
	s_mov_b32 s74, -1
.LBB6_1242:                             ;   Parent Loop BB6_47 Depth=1
                                        ;     Parent Loop BB6_1151 Depth=2
                                        ;       Parent Loop BB6_1154 Depth=3
                                        ;         Parent Loop BB6_1241 Depth=4
                                        ; =>        This Inner Loop Header: Depth=5
	s_cmp_eq_u32 s40, 1
	s_cselect_b32 vcc_lo, -1, 0
	s_cmp_eq_u32 s40, 0
	s_wait_xcnt 0x0
	v_dual_cndmask_b32 v61, v43, v45 :: v_dual_cndmask_b32 v60, v42, v44
	s_cselect_b32 s14, -1, 0
	s_and_b32 s15, exec_lo, s74
	s_mov_b64 s[40:41], 1
	s_mov_b32 s74, 0
	v_add_nc_u64_e32 v[62:63], 0x200, v[60:61]
	s_wait_loadcnt 0x0
	global_store_b128 v[60:61], v[8:11], off th:TH_STORE_NT
	v_dual_cndmask_b32 v45, v45, v63 :: v_dual_cndmask_b32 v44, v44, v62
	v_dual_cndmask_b32 v43, v43, v63, s14 :: v_dual_cndmask_b32 v42, v42, v62, s14
	s_mov_b32 vcc_lo, s15
	s_cbranch_vccnz .LBB6_1242
; %bb.1243:                             ;   in Loop: Header=BB6_1241 Depth=4
	v_sub_nc_u32_e32 v15, v15, v70
	s_delay_alu instid0(VALU_DEP_2)
	v_add_nc_u64_e32 v[42:43], v[42:43], v[84:85]
	v_add_nc_u64_e32 v[44:45], v[44:45], v[84:85]
	s_wait_xcnt 0x1
	v_add_nc_u64_e32 v[40:41], v[96:97], v[40:41]
	v_sub_nc_u32_e32 v59, v59, v52
	v_cmp_gt_i32_e32 vcc_lo, 16, v15
	s_or_b32 s73, vcc_lo, s73
	s_wait_xcnt 0x0
	s_and_not1_b32 exec_lo, exec_lo, s73
	s_cbranch_execnz .LBB6_1241
; %bb.1244:                             ;   in Loop: Header=BB6_1154 Depth=3
	s_or_b32 exec_lo, exec_lo, s73
.LBB6_1245:                             ;   in Loop: Header=BB6_1154 Depth=3
	s_delay_alu instid0(SALU_CYCLE_1) | instskip(SKIP_3) | instid1(VALU_DEP_1)
	s_or_b32 exec_lo, exec_lo, s72
	v_dual_mov_b32 v42, 0 :: v_dual_bitop2_b32 v9, 14, v13 bitop3:0x40
	s_mov_b32 s14, 0
	s_mov_b32 s15, exec_lo
                                        ; implicit-def: $vgpr43
                                        ; implicit-def: $vgpr8
	v_cndmask_b32_e64 v15, v58, v9, s13
	s_delay_alu instid0(VALU_DEP_1)
	v_cmpx_ne_u32_e32 0, v15
	s_cbranch_execz .LBB6_1247
; %bb.1246:                             ;   in Loop: Header=BB6_1154 Depth=3
	v_cmp_lt_i32_e32 vcc_lo, 0, v59
	s_mov_b32 s14, exec_lo
	v_dual_cndmask_b32 v8, 0, v52 :: v_dual_sub_nc_u32 v9, v58, v9
	s_delay_alu instid0(VALU_DEP_1) | instskip(NEXT) | instid1(VALU_DEP_1)
	v_dual_cndmask_b32 v9, 0, v9, s13 :: v_dual_sub_nc_u32 v8, v8, v59
	v_add3_u32 v42, v56, v47, v9
	s_delay_alu instid0(VALU_DEP_2) | instskip(NEXT) | instid1(VALU_DEP_1)
	v_lshl_add_u32 v43, v8, 5, v57
	v_ashrrev_i32_e32 v8, 31, v43
	s_delay_alu instid0(VALU_DEP_1) | instskip(NEXT) | instid1(VALU_DEP_1)
	v_lshrrev_b32_e32 v8, 27, v8
	v_add_nc_u32_e32 v8, v43, v8
	s_delay_alu instid0(VALU_DEP_1)
	v_ashrrev_i32_e32 v8, 5, v8
.LBB6_1247:                             ;   in Loop: Header=BB6_1154 Depth=3
	s_or_b32 exec_lo, exec_lo, s15
	s_delay_alu instid0(SALU_CYCLE_1)
	s_and_b32 s13, s14, exec_lo
.LBB6_1248:                             ;   in Loop: Header=BB6_1154 Depth=3
	s_or_b32 exec_lo, exec_lo, s63
	s_and_saveexec_b32 s15, s13
	s_cbranch_execz .LBB6_1259
.LBB6_1249:                             ;   in Loop: Header=BB6_1154 Depth=3
	v_ashrrev_i32_e32 v9, 31, v15
	s_mov_b32 s13, exec_lo
	s_delay_alu instid0(VALU_DEP_1) | instskip(NEXT) | instid1(VALU_DEP_1)
	v_lshrrev_b32_e32 v9, 23, v9
	v_add_nc_u32_e32 v9, v15, v9
	s_delay_alu instid0(VALU_DEP_1) | instskip(NEXT) | instid1(VALU_DEP_1)
	v_dual_ashrrev_i32 v47, 9, v9 :: v_dual_ashrrev_i32 v9, 31, v43
	v_dual_sub_nc_u32 v44, v47, v8 :: v_dual_lshrrev_b32 v45, 27, v9
	s_delay_alu instid0(VALU_DEP_1)
	v_cmpx_lt_i32_e32 0, v44
	s_cbranch_execz .LBB6_1253
; %bb.1250:                             ;   in Loop: Header=BB6_1154 Depth=3
	s_delay_alu instid0(VALU_DEP_2) | instskip(SKIP_2) | instid1(VALU_DEP_2)
	v_dual_add_nc_u32 v9, v43, v45 :: v_dual_lshlrev_b32 v8, 9, v8
	v_add_nc_u64_e32 v[56:57], 0x1c0, v[18:19]
	s_mov_b32 s14, 0
	v_and_b32_e32 v9, 0x7fffffe0, v9
	s_delay_alu instid0(VALU_DEP_1) | instskip(NEXT) | instid1(VALU_DEP_1)
	v_sub_nc_u32_e32 v9, v43, v9
	v_lshlrev_b32_e32 v9, 1, v9
	s_delay_alu instid0(VALU_DEP_1) | instskip(NEXT) | instid1(VALU_DEP_1)
	v_add3_u32 v40, v9, v42, v8
	v_ashrrev_i32_e32 v41, 31, v40
	s_delay_alu instid0(VALU_DEP_1)
	v_add_nc_u64_e32 v[8:9], v[40:41], v[20:21]
	v_add_nc_u64_e32 v[10:11], v[40:41], v[22:23]
	;; [unrolled: 1-line block ×3, first 2 shown]
.LBB6_1251:                             ;   Parent Loop BB6_47 Depth=1
                                        ;     Parent Loop BB6_1151 Depth=2
                                        ;       Parent Loop BB6_1154 Depth=3
                                        ; =>      This Inner Loop Header: Depth=4
	s_clause 0x7
	flat_load_u16 v56, v[40:41] offset:-448 th:TH_LOAD_NT
	flat_load_u16 v57, v[40:41] offset:-384 th:TH_LOAD_NT
	;; [unrolled: 1-line block ×7, first 2 shown]
	flat_load_u16 v63, v[40:41] th:TH_LOAD_NT
	v_sub_nc_u32_e32 v44, v44, v52
	s_wait_xcnt 0x0
	v_add_nc_u64_e32 v[40:41], v[40:41], v[70:71]
	s_wait_loadcnt_dscnt 0x707
	flat_store_b16 v[8:9], v56 th:TH_STORE_NT
	s_wait_loadcnt_dscnt 0x607
	flat_store_b16 v[8:9], v57 offset:64 th:TH_STORE_NT
	s_wait_loadcnt_dscnt 0x507
	flat_store_b16 v[8:9], v58 offset:128 th:TH_STORE_NT
	;; [unrolled: 2-line block ×7, first 2 shown]
	s_clause 0x7
	flat_store_b16 v[10:11], v56 th:TH_STORE_NT
	flat_store_b16 v[10:11], v57 offset:64 th:TH_STORE_NT
	flat_store_b16 v[10:11], v58 offset:128 th:TH_STORE_NT
	;; [unrolled: 1-line block ×7, first 2 shown]
	v_cmp_gt_i32_e32 vcc_lo, 1, v44
	s_wait_xcnt 0x8
	v_add_nc_u64_e32 v[8:9], v[8:9], v[70:71]
	s_wait_xcnt 0x0
	v_add_nc_u64_e32 v[10:11], v[10:11], v[70:71]
	s_or_b32 s14, vcc_lo, s14
	s_delay_alu instid0(SALU_CYCLE_1)
	s_and_not1_b32 exec_lo, exec_lo, s14
	s_cbranch_execnz .LBB6_1251
; %bb.1252:                             ;   in Loop: Header=BB6_1154 Depth=3
	s_or_b32 exec_lo, exec_lo, s14
.LBB6_1253:                             ;   in Loop: Header=BB6_1154 Depth=3
	s_delay_alu instid0(SALU_CYCLE_1) | instskip(SKIP_1) | instid1(VALU_DEP_1)
	s_or_b32 exec_lo, exec_lo, s13
	v_lshlrev_b32_e32 v8, 9, v47
	v_cmp_ne_u32_e32 vcc_lo, v15, v8
	s_and_b32 exec_lo, exec_lo, vcc_lo
	s_cbranch_execz .LBB6_1259
; %bb.1254:                             ;   in Loop: Header=BB6_1154 Depth=3
	v_dual_add_nc_u32 v9, v43, v45 :: v_dual_lshlrev_b32 v10, 5, v44
	s_delay_alu instid0(VALU_DEP_1) | instskip(NEXT) | instid1(VALU_DEP_1)
	v_and_b32_e32 v9, 0xffffffe0, v9
	v_sub_nc_u32_e32 v9, v43, v9
	s_delay_alu instid0(VALU_DEP_1) | instskip(NEXT) | instid1(VALU_DEP_1)
	v_sub_nc_u32_e32 v9, v9, v10
	v_ashrrev_i32_e32 v10, 31, v9
	s_delay_alu instid0(VALU_DEP_1) | instskip(NEXT) | instid1(VALU_DEP_1)
	v_lshrrev_b32_e32 v10, 27, v10
	v_add_nc_u32_e32 v10, v9, v10
	s_delay_alu instid0(VALU_DEP_1) | instskip(NEXT) | instid1(VALU_DEP_1)
	v_and_b32_e32 v11, 0x7fffffe0, v10
	v_dual_lshlrev_b32 v10, 1, v10 :: v_dual_sub_nc_u32 v9, v9, v11
	s_delay_alu instid0(VALU_DEP_1) | instskip(NEXT) | instid1(VALU_DEP_2)
	v_and_b32_e32 v10, 0xffffffc0, v10
	v_lshlrev_b32_e32 v9, 1, v9
	s_delay_alu instid0(VALU_DEP_1) | instskip(NEXT) | instid1(VALU_DEP_1)
	v_add3_u32 v8, v10, v9, v8
	v_sub_nc_u32_e32 v15, v15, v8
	s_delay_alu instid0(VALU_DEP_1)
	v_cmp_lt_i32_e32 vcc_lo, 1, v15
	s_and_b32 exec_lo, exec_lo, vcc_lo
	s_cbranch_execz .LBB6_1259
; %bb.1255:                             ;   in Loop: Header=BB6_1154 Depth=3
	v_add_nc_u32_e32 v40, v8, v42
	s_mov_b32 s63, 0
	s_delay_alu instid0(VALU_DEP_1) | instskip(NEXT) | instid1(VALU_DEP_1)
	v_ashrrev_i32_e32 v41, 31, v40
	v_add_nc_u64_e32 v[8:9], v[40:41], v[18:19]
	v_add_nc_u64_e32 v[10:11], v[40:41], v[20:21]
	;; [unrolled: 1-line block ×3, first 2 shown]
.LBB6_1256:                             ;   Parent Loop BB6_47 Depth=1
                                        ;     Parent Loop BB6_1151 Depth=2
                                        ;       Parent Loop BB6_1154 Depth=3
                                        ; =>      This Loop Header: Depth=4
                                        ;           Child Loop BB6_1257 Depth 5
	flat_load_u16 v40, v[8:9] th:TH_LOAD_NT
	s_mov_b64 s[40:41], 0
	s_mov_b32 s72, -1
.LBB6_1257:                             ;   Parent Loop BB6_47 Depth=1
                                        ;     Parent Loop BB6_1151 Depth=2
                                        ;       Parent Loop BB6_1154 Depth=3
                                        ;         Parent Loop BB6_1256 Depth=4
                                        ; =>        This Inner Loop Header: Depth=5
	s_cmp_eq_u32 s40, 1
	s_cselect_b32 vcc_lo, -1, 0
	s_cmp_eq_u32 s40, 0
	s_wait_xcnt 0x0
	v_dual_cndmask_b32 v43, v11, v23 :: v_dual_cndmask_b32 v42, v10, v22
	s_cselect_b32 s13, -1, 0
	s_and_b32 s14, exec_lo, s72
	s_mov_b64 s[40:41], 1
	s_mov_b32 s72, 0
	v_add_nc_u64_e32 v[44:45], 64, v[42:43]
	s_wait_loadcnt_dscnt 0x0
	flat_store_b16 v[42:43], v40 th:TH_STORE_NT
	v_dual_cndmask_b32 v23, v23, v45 :: v_dual_cndmask_b32 v22, v22, v44
	v_dual_cndmask_b32 v11, v11, v45, s13 :: v_dual_cndmask_b32 v10, v10, v44, s13
	s_mov_b32 vcc_lo, s14
	s_cbranch_vccnz .LBB6_1257
; %bb.1258:                             ;   in Loop: Header=BB6_1256 Depth=4
	v_sub_nc_u32_e32 v15, v15, v80
	s_delay_alu instid0(VALU_DEP_2)
	v_add_nc_u64_e32 v[10:11], v[10:11], v[86:87]
	v_add_nc_u64_e32 v[22:23], v[22:23], v[86:87]
	s_wait_xcnt 0x1
	v_add_nc_u64_e32 v[8:9], v[100:101], v[8:9]
	v_cmp_gt_i32_e32 vcc_lo, 2, v15
	s_or_b32 s63, vcc_lo, s63
	s_wait_xcnt 0x0
	s_and_not1_b32 exec_lo, exec_lo, s63
	s_cbranch_execnz .LBB6_1256
.LBB6_1259:                             ;   in Loop: Header=BB6_1154 Depth=3
	s_or_b32 exec_lo, exec_lo, s15
	s_mov_b32 s13, 0
.LBB6_1260:                             ;   in Loop: Header=BB6_1154 Depth=3
	s_delay_alu instid0(SALU_CYCLE_1)
	s_and_b32 vcc_lo, exec_lo, s13
	s_cbranch_vccz .LBB6_1289
; %bb.1261:                             ;   in Loop: Header=BB6_1154 Depth=3
	s_mov_b32 s13, -1
	s_and_saveexec_b32 s14, s11
	s_cbranch_execz .LBB6_1263
; %bb.1262:                             ;   in Loop: Header=BB6_1154 Depth=3
	ds_load_b32 v8, v0 offset:720
	s_wait_dscnt 0x0
	v_and_b32_e32 v8, 15, v8
	s_delay_alu instid0(VALU_DEP_1)
	v_cmp_eq_u32_e32 vcc_lo, 0, v8
	s_or_not1_b32 s13, vcc_lo, exec_lo
.LBB6_1263:                             ;   in Loop: Header=BB6_1154 Depth=3
	s_or_b32 exec_lo, exec_lo, s14
	s_and_saveexec_b32 s14, s7
	s_cbranch_execz .LBB6_1265
; %bb.1264:                             ;   in Loop: Header=BB6_1154 Depth=3
	ds_load_b32 v8, v0 offset:784
	s_wait_dscnt 0x0
	v_and_b32_e32 v8, 15, v8
	s_delay_alu instid0(VALU_DEP_1) | instskip(SKIP_3) | instid1(SALU_CYCLE_1)
	v_cmp_eq_u32_e32 vcc_lo, 0, v8
	s_and_b32 s15, s13, vcc_lo
	s_and_not1_b32 s13, s13, exec_lo
	s_and_b32 s15, s15, exec_lo
	s_or_b32 s13, s13, s15
.LBB6_1265:                             ;   in Loop: Header=BB6_1154 Depth=3
	s_or_b32 exec_lo, exec_lo, s14
	s_xor_b32 s13, s13, -1
	v_mov_b32_e32 v15, 0
	v_cndmask_b32_e64 v8, 0, 1, s13
	s_mov_b32 s15, -1
	s_delay_alu instid0(VALU_DEP_1)
	v_cmp_ne_u32_e32 vcc_lo, 0, v8
	s_cbranch_vccz .LBB6_1267
; %bb.1266:                             ;   in Loop: Header=BB6_1154 Depth=3
	v_dual_mov_b32 v40, v0 :: v_dual_mov_b32 v8, v90
	s_and_saveexec_b32 s13, s15
	s_cbranch_execnz .LBB6_1280
	s_branch .LBB6_1288
.LBB6_1267:                             ;   in Loop: Header=BB6_1154 Depth=3
	v_ashrrev_i32_e32 v8, 31, v13
	s_mov_b32 s13, exec_lo
	s_delay_alu instid0(VALU_DEP_1) | instskip(NEXT) | instid1(VALU_DEP_1)
	v_lshrrev_b32_e32 v8, 21, v8
	v_add_nc_u32_e32 v8, v13, v8
	s_delay_alu instid0(VALU_DEP_1) | instskip(NEXT) | instid1(VALU_DEP_1)
	v_ashrrev_i32_e32 v15, 11, v8
	v_sub_nc_u32_e32 v22, v15, v90
	s_delay_alu instid0(VALU_DEP_1)
	v_cmpx_lt_i32_e32 0, v22
	s_cbranch_execz .LBB6_1271
; %bb.1268:                             ;   in Loop: Header=BB6_1154 Depth=3
	v_mov_b64_e32 v[8:9], v[20:21]
	v_mov_b64_e32 v[10:11], v[18:19]
	s_mov_b32 s14, 0
.LBB6_1269:                             ;   Parent Loop BB6_47 Depth=1
                                        ;     Parent Loop BB6_1151 Depth=2
                                        ;       Parent Loop BB6_1154 Depth=3
                                        ; =>      This Inner Loop Header: Depth=4
	s_delay_alu instid0(VALU_DEP_1)
	v_add_nc_u64_e32 v[44:45], v[98:99], v[10:11]
	v_sub_nc_u32_e32 v22, v22, v52
	v_add_nc_u64_e32 v[10:11], v[10:11], v[68:69]
	s_clause 0x3
	global_load_b128 v[40:43], v[44:45], off th:TH_LOAD_NT
	global_load_b128 v[56:59], v[44:45], off offset:512 th:TH_LOAD_NT
	global_load_b128 v[60:63], v[44:45], off offset:1024 th:TH_LOAD_NT
	;; [unrolled: 1-line block ×3, first 2 shown]
	s_wait_xcnt 0x0
	v_add_nc_u64_e32 v[44:45], v[98:99], v[8:9]
	v_cmp_gt_i32_e32 vcc_lo, 1, v22
	v_add_nc_u64_e32 v[8:9], v[8:9], v[68:69]
	s_wait_loadcnt 0x3
	global_store_b128 v[44:45], v[40:43], off th:TH_STORE_NT
	s_wait_loadcnt 0x2
	global_store_b128 v[44:45], v[56:59], off offset:512 th:TH_STORE_NT
	s_wait_loadcnt 0x1
	global_store_b128 v[44:45], v[60:63], off offset:1024 th:TH_STORE_NT
	s_wait_loadcnt 0x0
	global_store_b128 v[44:45], v[72:75], off offset:1536 th:TH_STORE_NT
	s_or_b32 s14, vcc_lo, s14
	s_wait_xcnt 0x0
	s_and_not1_b32 exec_lo, exec_lo, s14
	s_cbranch_execnz .LBB6_1269
; %bb.1270:                             ;   in Loop: Header=BB6_1154 Depth=3
	s_or_b32 exec_lo, exec_lo, s14
.LBB6_1271:                             ;   in Loop: Header=BB6_1154 Depth=3
	s_delay_alu instid0(SALU_CYCLE_1) | instskip(SKIP_3) | instid1(VALU_DEP_1)
	s_or_b32 exec_lo, exec_lo, s13
	v_dual_mov_b32 v15, 0 :: v_dual_lshlrev_b32 v10, 11, v15
	s_mov_b32 s15, 0
	s_mov_b32 s14, exec_lo
                                        ; implicit-def: $vgpr40
                                        ; implicit-def: $vgpr8
	v_cmpx_ne_u32_e64 v13, v10
	s_cbranch_execz .LBB6_1279
; %bb.1272:                             ;   in Loop: Header=BB6_1154 Depth=3
	v_lshlrev_b32_e32 v8, 5, v22
	s_mov_b32 s15, exec_lo
	s_delay_alu instid0(VALU_DEP_1) | instskip(NEXT) | instid1(VALU_DEP_1)
	v_dual_sub_nc_u32 v15, v13, v10 :: v_dual_sub_nc_u32 v8, v91, v8
	v_dual_ashrrev_i32 v11, 31, v15 :: v_dual_ashrrev_i32 v9, 31, v8
	s_delay_alu instid0(VALU_DEP_1) | instskip(NEXT) | instid1(VALU_DEP_1)
	v_dual_lshrrev_b32 v11, 23, v11 :: v_dual_lshrrev_b32 v9, 27, v9
	v_add_nc_u32_e32 v9, v8, v9
	s_delay_alu instid0(VALU_DEP_1) | instskip(NEXT) | instid1(VALU_DEP_1)
	v_and_b32_e32 v22, 0xffffffe0, v9
	v_dual_add_nc_u32 v40, v15, v11 :: v_dual_sub_nc_u32 v22, v8, v22
	s_delay_alu instid0(VALU_DEP_1) | instskip(SKIP_1) | instid1(VALU_DEP_2)
	v_and_b32_e32 v11, 0xfffffe00, v40
	v_dual_ashrrev_i32 v9, 5, v9 :: v_dual_ashrrev_i32 v40, 9, v40
	v_dual_lshlrev_b32 v8, 4, v22 :: v_dual_sub_nc_u32 v23, v15, v11
	s_delay_alu instid0(VALU_DEP_1) | instskip(NEXT) | instid1(VALU_DEP_2)
	v_lshl_add_u32 v8, v9, 9, v8
	v_cmp_lt_i32_e32 vcc_lo, 15, v23
	s_delay_alu instid0(VALU_DEP_4) | instskip(NEXT) | instid1(VALU_DEP_1)
	v_add_co_ci_u32_e64 v40, null, 0, v40, vcc_lo
	v_dual_sub_nc_u32 v15, v15, v8 :: v_dual_sub_nc_u32 v41, v40, v9
	s_delay_alu instid0(VALU_DEP_1)
	v_cmpx_lt_i32_e32 15, v15
	s_cbranch_execz .LBB6_1276
; %bb.1273:                             ;   in Loop: Header=BB6_1154 Depth=3
	v_add_nc_u32_e32 v8, v8, v10
	s_mov_b32 s40, 0
	s_delay_alu instid0(VALU_DEP_1)
	v_ashrrev_i32_e32 v9, 31, v8
.LBB6_1274:                             ;   Parent Loop BB6_47 Depth=1
                                        ;     Parent Loop BB6_1151 Depth=2
                                        ;       Parent Loop BB6_1154 Depth=3
                                        ; =>      This Inner Loop Header: Depth=4
	s_delay_alu instid0(VALU_DEP_1) | instskip(SKIP_3) | instid1(VALU_DEP_3)
	v_add_nc_u64_e32 v[42:43], v[18:19], v[8:9]
	v_dual_sub_nc_u32 v15, v15, v70 :: v_dual_sub_nc_u32 v41, v41, v52
	v_add_nc_u64_e32 v[56:57], v[20:21], v[8:9]
	v_add_nc_u64_e32 v[8:9], v[8:9], v[70:71]
	v_cmp_gt_i32_e64 s13, 16, v15
	global_load_b128 v[42:45], v[42:43], off th:TH_LOAD_NT
	s_or_b32 s40, s13, s40
	s_wait_loadcnt 0x0
	global_store_b128 v[56:57], v[42:45], off th:TH_STORE_NT
	s_wait_xcnt 0x0
	s_and_not1_b32 exec_lo, exec_lo, s40
	s_cbranch_execnz .LBB6_1274
; %bb.1275:                             ;   in Loop: Header=BB6_1154 Depth=3
	s_or_b32 exec_lo, exec_lo, s40
.LBB6_1276:                             ;   in Loop: Header=BB6_1154 Depth=3
	s_delay_alu instid0(SALU_CYCLE_1) | instskip(SKIP_3) | instid1(VALU_DEP_1)
	s_or_b32 exec_lo, exec_lo, s15
	v_dual_mov_b32 v15, 0 :: v_dual_bitop2_b32 v9, 14, v13 bitop3:0x40
	s_mov_b32 s15, 0
	s_mov_b32 s40, exec_lo
                                        ; implicit-def: $vgpr40
                                        ; implicit-def: $vgpr8
	v_cndmask_b32_e32 v13, v23, v9, vcc_lo
	s_delay_alu instid0(VALU_DEP_1)
	v_cmpx_ne_u32_e32 0, v13
	s_cbranch_execz .LBB6_1278
; %bb.1277:                             ;   in Loop: Header=BB6_1154 Depth=3
	v_cmp_lt_i32_e64 s13, 0, v41
	s_mov_b32 s15, exec_lo
	v_dual_sub_nc_u32 v9, v23, v9 :: v_dual_cndmask_b32 v8, 0, v52, s13
	s_delay_alu instid0(VALU_DEP_1) | instskip(NEXT) | instid1(VALU_DEP_2)
	v_cndmask_b32_e32 v9, 0, v9, vcc_lo
	v_sub_nc_u32_e32 v8, v8, v41
	s_delay_alu instid0(VALU_DEP_2) | instskip(NEXT) | instid1(VALU_DEP_2)
	v_add3_u32 v15, v11, v10, v9
	v_lshl_add_u32 v40, v8, 5, v22
	s_delay_alu instid0(VALU_DEP_1) | instskip(NEXT) | instid1(VALU_DEP_1)
	v_ashrrev_i32_e32 v8, 31, v40
	v_lshrrev_b32_e32 v8, 27, v8
	s_delay_alu instid0(VALU_DEP_1) | instskip(NEXT) | instid1(VALU_DEP_1)
	v_add_nc_u32_e32 v8, v40, v8
	v_ashrrev_i32_e32 v8, 5, v8
.LBB6_1278:                             ;   in Loop: Header=BB6_1154 Depth=3
	s_or_b32 exec_lo, exec_lo, s40
	s_delay_alu instid0(SALU_CYCLE_1)
	s_and_b32 s15, s15, exec_lo
.LBB6_1279:                             ;   in Loop: Header=BB6_1154 Depth=3
	s_or_b32 exec_lo, exec_lo, s14
	s_and_saveexec_b32 s13, s15
	s_cbranch_execz .LBB6_1288
.LBB6_1280:                             ;   in Loop: Header=BB6_1154 Depth=3
	v_ashrrev_i32_e32 v9, 31, v13
	s_mov_b32 s14, exec_lo
	s_delay_alu instid0(VALU_DEP_1) | instskip(NEXT) | instid1(VALU_DEP_1)
	v_lshrrev_b32_e32 v9, 23, v9
	v_add_nc_u32_e32 v9, v13, v9
	s_delay_alu instid0(VALU_DEP_1) | instskip(NEXT) | instid1(VALU_DEP_1)
	v_ashrrev_i32_e32 v42, 9, v9
	v_sub_nc_u32_e32 v41, v42, v8
	s_delay_alu instid0(VALU_DEP_1)
	v_cmpx_lt_i32_e32 0, v41
	s_cbranch_execz .LBB6_1284
; %bb.1281:                             ;   in Loop: Header=BB6_1154 Depth=3
	v_ashrrev_i32_e32 v9, 31, v40
	v_mov_b64_e32 v[10:11], v[20:21]
	v_mov_b64_e32 v[22:23], v[18:19]
	s_mov_b32 s15, 0
	s_delay_alu instid0(VALU_DEP_3) | instskip(NEXT) | instid1(VALU_DEP_1)
	v_dual_lshlrev_b32 v8, 9, v8 :: v_dual_lshrrev_b32 v9, 27, v9
	v_add_nc_u32_e32 v9, v40, v9
	s_delay_alu instid0(VALU_DEP_1) | instskip(NEXT) | instid1(VALU_DEP_1)
	v_and_b32_e32 v9, 0x7fffffe0, v9
	v_sub_nc_u32_e32 v9, v40, v9
	s_delay_alu instid0(VALU_DEP_1) | instskip(NEXT) | instid1(VALU_DEP_1)
	v_lshlrev_b32_e32 v9, 1, v9
	v_add3_u32 v8, v9, v15, v8
	s_delay_alu instid0(VALU_DEP_1)
	v_ashrrev_i32_e32 v9, 31, v8
.LBB6_1282:                             ;   Parent Loop BB6_47 Depth=1
                                        ;     Parent Loop BB6_1151 Depth=2
                                        ;       Parent Loop BB6_1154 Depth=3
                                        ; =>      This Inner Loop Header: Depth=4
	s_delay_alu instid0(VALU_DEP_1)
	v_add_nc_u64_e32 v[44:45], v[8:9], v[22:23]
	v_sub_nc_u32_e32 v41, v41, v52
	v_add_nc_u64_e32 v[22:23], v[22:23], v[70:71]
	s_clause 0x7
	flat_load_u16 v43, v[44:45] th:TH_LOAD_NT
	flat_load_u16 v47, v[44:45] offset:64 th:TH_LOAD_NT
	flat_load_u16 v56, v[44:45] offset:128 th:TH_LOAD_NT
	;; [unrolled: 1-line block ×7, first 2 shown]
	s_wait_xcnt 0x0
	v_add_nc_u64_e32 v[44:45], v[8:9], v[10:11]
	v_add_nc_u64_e32 v[10:11], v[10:11], v[70:71]
	v_cmp_gt_i32_e32 vcc_lo, 1, v41
	s_wait_loadcnt_dscnt 0x707
	flat_store_b16 v[44:45], v43 th:TH_STORE_NT
	s_wait_loadcnt_dscnt 0x607
	flat_store_b16 v[44:45], v47 offset:64 th:TH_STORE_NT
	s_wait_loadcnt_dscnt 0x507
	flat_store_b16 v[44:45], v56 offset:128 th:TH_STORE_NT
	;; [unrolled: 2-line block ×7, first 2 shown]
	s_or_b32 s15, vcc_lo, s15
	s_wait_xcnt 0x0
	s_and_not1_b32 exec_lo, exec_lo, s15
	s_cbranch_execnz .LBB6_1282
; %bb.1283:                             ;   in Loop: Header=BB6_1154 Depth=3
	s_or_b32 exec_lo, exec_lo, s15
.LBB6_1284:                             ;   in Loop: Header=BB6_1154 Depth=3
	s_delay_alu instid0(SALU_CYCLE_1) | instskip(SKIP_1) | instid1(VALU_DEP_1)
	s_or_b32 exec_lo, exec_lo, s14
	v_lshlrev_b32_e32 v8, 9, v42
	v_cmp_ne_u32_e32 vcc_lo, v13, v8
	s_and_b32 exec_lo, exec_lo, vcc_lo
	s_cbranch_execz .LBB6_1288
; %bb.1285:                             ;   in Loop: Header=BB6_1154 Depth=3
	v_dual_ashrrev_i32 v9, 31, v40 :: v_dual_lshlrev_b32 v10, 5, v41
	s_delay_alu instid0(VALU_DEP_1) | instskip(NEXT) | instid1(VALU_DEP_1)
	v_lshrrev_b32_e32 v9, 27, v9
	v_add_nc_u32_e32 v9, v40, v9
	s_delay_alu instid0(VALU_DEP_1) | instskip(NEXT) | instid1(VALU_DEP_1)
	v_and_b32_e32 v9, 0xffffffe0, v9
	v_sub_nc_u32_e32 v9, v40, v9
	s_delay_alu instid0(VALU_DEP_1) | instskip(NEXT) | instid1(VALU_DEP_1)
	v_sub_nc_u32_e32 v9, v9, v10
	v_ashrrev_i32_e32 v10, 31, v9
	s_delay_alu instid0(VALU_DEP_1) | instskip(NEXT) | instid1(VALU_DEP_1)
	v_lshrrev_b32_e32 v10, 27, v10
	v_add_nc_u32_e32 v10, v9, v10
	s_delay_alu instid0(VALU_DEP_1) | instskip(NEXT) | instid1(VALU_DEP_1)
	v_and_b32_e32 v11, 0x7fffffe0, v10
	v_sub_nc_u32_e32 v9, v9, v11
	s_delay_alu instid0(VALU_DEP_1) | instskip(NEXT) | instid1(VALU_DEP_1)
	v_dual_lshlrev_b32 v9, 1, v9 :: v_dual_lshlrev_b32 v10, 1, v10
	v_and_b32_e32 v10, 0xffffffc0, v10
	s_delay_alu instid0(VALU_DEP_1) | instskip(NEXT) | instid1(VALU_DEP_1)
	v_add3_u32 v8, v10, v9, v8
	v_sub_nc_u32_e32 v10, v13, v8
	s_delay_alu instid0(VALU_DEP_1)
	v_cmp_lt_i32_e32 vcc_lo, 1, v10
	s_and_b32 exec_lo, exec_lo, vcc_lo
	s_cbranch_execz .LBB6_1288
; %bb.1286:                             ;   in Loop: Header=BB6_1154 Depth=3
	v_add_nc_u32_e32 v8, v8, v15
	s_mov_b32 s14, 0
	s_delay_alu instid0(VALU_DEP_1)
	v_ashrrev_i32_e32 v9, 31, v8
.LBB6_1287:                             ;   Parent Loop BB6_47 Depth=1
                                        ;     Parent Loop BB6_1151 Depth=2
                                        ;       Parent Loop BB6_1154 Depth=3
                                        ; =>      This Inner Loop Header: Depth=4
	s_delay_alu instid0(VALU_DEP_1) | instskip(SKIP_1) | instid1(VALU_DEP_1)
	v_add_nc_u64_e32 v[22:23], v[18:19], v[8:9]
	v_sub_nc_u32_e32 v10, v10, v80
	v_cmp_gt_i32_e32 vcc_lo, 2, v10
	flat_load_u16 v11, v[22:23] th:TH_LOAD_NT
	s_wait_xcnt 0x0
	v_add_nc_u64_e32 v[22:23], v[20:21], v[8:9]
	v_add_nc_u64_e32 v[8:9], v[8:9], v[80:81]
	s_or_b32 s14, vcc_lo, s14
	s_wait_loadcnt_dscnt 0x0
	flat_store_b16 v[22:23], v11 th:TH_STORE_NT
	s_wait_xcnt 0x0
	s_and_not1_b32 exec_lo, exec_lo, s14
	s_cbranch_execnz .LBB6_1287
.LBB6_1288:                             ;   in Loop: Header=BB6_1154 Depth=3
	s_or_b32 exec_lo, exec_lo, s13
.LBB6_1289:                             ;   in Loop: Header=BB6_1154 Depth=3
	v_cmp_lt_i32_e64 s13, 0, v2
	s_and_saveexec_b32 s14, s2
	s_cbranch_execz .LBB6_1230
.LBB6_1290:                             ;   in Loop: Header=BB6_1154 Depth=3
	s_and_saveexec_b32 s15, s3
	s_delay_alu instid0(SALU_CYCLE_1)
	s_xor_b32 s15, exec_lo, s15
	s_cbranch_execz .LBB6_1305
; %bb.1291:                             ;   in Loop: Header=BB6_1154 Depth=3
	s_and_saveexec_b32 s40, s6
	s_cbranch_execz .LBB6_1304
; %bb.1292:                             ;   in Loop: Header=BB6_1154 Depth=3
	s_mov_b32 s63, exec_lo
	s_mov_b32 s41, exec_lo
	v_mbcnt_lo_u32_b32 v2, s63, 0
	global_wb scope:SCOPE_DEV
	s_wait_storecnt 0x0
	s_wait_loadcnt_dscnt 0x0
	global_inv scope:SCOPE_DEV
	v_cmpx_eq_u32_e32 0, v2
	s_cbranch_execz .LBB6_1294
; %bb.1293:                             ;   in Loop: Header=BB6_1154 Depth=3
	s_bcnt1_i32_b32 s63, s63
	s_delay_alu instid0(SALU_CYCLE_1)
	v_mov_b32_e32 v2, s63
	s_wait_loadcnt 0x0
	ds_add_u64 v0, v[2:3]
	s_trap 2
.LBB6_1294:                             ;   in Loop: Header=BB6_1154 Depth=3
	s_or_b32 exec_lo, exec_lo, s41
	s_trap 2
	ds_load_b64 v[8:9], v0
	s_wait_dscnt 0x0
	v_add_nc_u64_e32 v[48:49], v[48:49], v[52:53]
	s_mov_b32 s41, exec_lo
	s_delay_alu instid0(VALU_DEP_1)
	v_cmpx_lt_u64_e64 v[8:9], v[48:49]
	s_cbranch_execz .LBB6_1303
; %bb.1295:                             ;   in Loop: Header=BB6_1154 Depth=3
	s_mov_b32 s63, 0
	s_mov_b32 s74, 0
                                        ; implicit-def: $sgpr72
                                        ; implicit-def: $sgpr73
	s_branch .LBB6_1297
.LBB6_1296:                             ;   in Loop: Header=BB6_1297 Depth=4
	s_or_b32 exec_lo, exec_lo, s76
	s_delay_alu instid0(SALU_CYCLE_1) | instskip(NEXT) | instid1(SALU_CYCLE_1)
	s_and_b32 s75, exec_lo, s77
	s_or_b32 s63, s75, s63
	s_and_not1_b32 s72, s72, exec_lo
	s_and_b32 s75, s73, exec_lo
	s_delay_alu instid0(SALU_CYCLE_1)
	s_or_b32 s72, s72, s75
	s_and_not1_b32 exec_lo, exec_lo, s63
	s_cbranch_execz .LBB6_1301
.LBB6_1297:                             ;   Parent Loop BB6_47 Depth=1
                                        ;     Parent Loop BB6_1151 Depth=2
                                        ;       Parent Loop BB6_1154 Depth=3
                                        ; =>      This Inner Loop Header: Depth=4
	s_add_co_i32 s74, s74, 1
	s_delay_alu instid0(SALU_CYCLE_1) | instskip(SKIP_1) | instid1(SALU_CYCLE_1)
	s_cmp_lg_u32 s74, 0x2710
	s_cselect_b32 s75, -1, 0
	s_and_b32 vcc_lo, exec_lo, s75
	s_cbranch_vccz .LBB6_1299
; %bb.1298:                             ;   in Loop: Header=BB6_1297 Depth=4
	s_mov_b32 s77, -1
	s_or_b32 s73, s73, exec_lo
	s_and_saveexec_b32 s76, s75
	s_cbranch_execz .LBB6_1296
	s_branch .LBB6_1300
.LBB6_1299:                             ;   in Loop: Header=BB6_1297 Depth=4
	s_trap 2
	ds_load_b64 v[8:9], v0
	s_and_not1_b32 s75, s75, exec_lo
	s_mov_b32 s74, 0
	s_wait_loadcnt_dscnt 0x0
	flat_load_b32 v2, v[8:9] scope:SCOPE_SYS
	s_wait_loadcnt_dscnt 0x0
	global_inv scope:SCOPE_SYS
	v_cmp_eq_u32_e32 vcc_lo, 0, v2
	s_and_b32 s76, vcc_lo, exec_lo
	s_delay_alu instid0(SALU_CYCLE_1)
	s_or_b32 s75, s75, s76
	s_mov_b32 s77, -1
	s_or_b32 s73, s73, exec_lo
	s_and_saveexec_b32 s76, s75
	s_cbranch_execz .LBB6_1296
.LBB6_1300:                             ;   in Loop: Header=BB6_1297 Depth=4
	s_sleep 1
	s_trap 2
	ds_load_b64 v[8:9], v0
	s_wait_dscnt 0x0
	s_and_not1_b32 s73, s73, exec_lo
	v_cmp_ge_u64_e32 vcc_lo, v[8:9], v[48:49]
	s_or_not1_b32 s77, vcc_lo, exec_lo
	s_branch .LBB6_1296
.LBB6_1301:                             ;   in Loop: Header=BB6_1154 Depth=3
	s_or_b32 exec_lo, exec_lo, s63
	s_and_saveexec_b32 s63, s72
	s_delay_alu instid0(SALU_CYCLE_1)
	s_xor_b32 s63, exec_lo, s63
	s_cbranch_execz .LBB6_1303
; %bb.1302:                             ;   in Loop: Header=BB6_1154 Depth=3
	ds_store_b32 v0, v79
	s_trap 2
.LBB6_1303:                             ;   in Loop: Header=BB6_1154 Depth=3
	s_or_b32 exec_lo, exec_lo, s41
	;;#ASMSTART
	s_wakeup
	;;#ASMEND
.LBB6_1304:                             ;   in Loop: Header=BB6_1154 Depth=3
	s_or_b32 exec_lo, exec_lo, s40
.LBB6_1305:                             ;   in Loop: Header=BB6_1154 Depth=3
	s_and_not1_saveexec_b32 s15, s15
	s_cbranch_execz .LBB6_1307
; %bb.1306:                             ;   in Loop: Header=BB6_1154 Depth=3
	global_wb scope:SCOPE_DEV
	s_wait_storecnt 0x0
	s_wait_loadcnt_dscnt 0x0
	global_inv scope:SCOPE_DEV
	s_barrier_signal -1
	s_barrier_wait -1
.LBB6_1307:                             ;   in Loop: Header=BB6_1154 Depth=3
	s_or_b32 exec_lo, exec_lo, s15
	s_delay_alu instid0(SALU_CYCLE_1) | instskip(SKIP_1) | instid1(SALU_CYCLE_1)
	s_or_b32 exec_lo, exec_lo, s14
                                        ; implicit-def: $vgpr2
	s_and_saveexec_b32 s14, s10
	s_xor_b32 s14, exec_lo, s14
	s_cbranch_execnz .LBB6_1231
.LBB6_1308:                             ;   in Loop: Header=BB6_1154 Depth=3
	s_and_not1_saveexec_b32 s13, s14
	s_cbranch_execz .LBB6_1327
.LBB6_1309:                             ;   in Loop: Header=BB6_1154 Depth=3
	s_and_saveexec_b32 s14, s3
	s_delay_alu instid0(SALU_CYCLE_1)
	s_xor_b32 s14, exec_lo, s14
	s_cbranch_execz .LBB6_1324
; %bb.1310:                             ;   in Loop: Header=BB6_1154 Depth=3
	s_and_saveexec_b32 s15, s6
	s_cbranch_execz .LBB6_1323
; %bb.1311:                             ;   in Loop: Header=BB6_1154 Depth=3
	s_mov_b32 s41, exec_lo
	s_mov_b32 s40, exec_lo
	v_mbcnt_lo_u32_b32 v2, s41, 0
	;;#ASMSTART
	s_waitcnt lgkmcnt(0) vmcnt(0)
	;;#ASMEND
	s_delay_alu instid0(VALU_DEP_1)
	v_cmpx_eq_u32_e32 0, v2
	s_cbranch_execz .LBB6_1313
; %bb.1312:                             ;   in Loop: Header=BB6_1154 Depth=3
	s_bcnt1_i32_b32 s41, s41
	s_delay_alu instid0(SALU_CYCLE_1)
	v_mov_b32_e32 v2, s41
	s_wait_storecnt 0x0
	s_wait_loadcnt_dscnt 0x0
	ds_add_u64 v0, v[2:3]
	s_trap 2
.LBB6_1313:                             ;   in Loop: Header=BB6_1154 Depth=3
	s_or_b32 exec_lo, exec_lo, s40
	s_trap 2
	ds_load_b64 v[8:9], v0
	s_wait_dscnt 0x0
	v_add_nc_u64_e32 v[48:49], v[48:49], v[52:53]
	s_mov_b32 s40, exec_lo
	s_delay_alu instid0(VALU_DEP_1)
	v_cmpx_lt_u64_e64 v[8:9], v[48:49]
	s_cbranch_execz .LBB6_1322
; %bb.1314:                             ;   in Loop: Header=BB6_1154 Depth=3
	s_mov_b32 s41, 0
	s_mov_b32 s73, 0
                                        ; implicit-def: $sgpr63
                                        ; implicit-def: $sgpr72
	s_branch .LBB6_1316
.LBB6_1315:                             ;   in Loop: Header=BB6_1316 Depth=4
	s_or_b32 exec_lo, exec_lo, s75
	s_delay_alu instid0(SALU_CYCLE_1) | instskip(NEXT) | instid1(SALU_CYCLE_1)
	s_and_b32 s74, exec_lo, s76
	s_or_b32 s41, s74, s41
	s_and_not1_b32 s63, s63, exec_lo
	s_and_b32 s74, s72, exec_lo
	s_delay_alu instid0(SALU_CYCLE_1)
	s_or_b32 s63, s63, s74
	s_and_not1_b32 exec_lo, exec_lo, s41
	s_cbranch_execz .LBB6_1320
.LBB6_1316:                             ;   Parent Loop BB6_47 Depth=1
                                        ;     Parent Loop BB6_1151 Depth=2
                                        ;       Parent Loop BB6_1154 Depth=3
                                        ; =>      This Inner Loop Header: Depth=4
	s_add_co_i32 s73, s73, 1
	s_delay_alu instid0(SALU_CYCLE_1) | instskip(SKIP_1) | instid1(SALU_CYCLE_1)
	s_cmp_lg_u32 s73, 0x2710
	s_cselect_b32 s74, -1, 0
	s_and_b32 vcc_lo, exec_lo, s74
	s_cbranch_vccz .LBB6_1318
; %bb.1317:                             ;   in Loop: Header=BB6_1316 Depth=4
	s_mov_b32 s76, -1
	s_or_b32 s72, s72, exec_lo
	s_and_saveexec_b32 s75, s74
	s_cbranch_execz .LBB6_1315
	s_branch .LBB6_1319
.LBB6_1318:                             ;   in Loop: Header=BB6_1316 Depth=4
	s_trap 2
	ds_load_b64 v[8:9], v0
	s_and_not1_b32 s74, s74, exec_lo
	s_mov_b32 s73, 0
	s_wait_storecnt 0x0
	s_wait_loadcnt_dscnt 0x0
	flat_load_b32 v2, v[8:9] scope:SCOPE_SYS
	s_wait_loadcnt_dscnt 0x0
	global_inv scope:SCOPE_SYS
	v_cmp_eq_u32_e32 vcc_lo, 0, v2
	s_and_b32 s75, vcc_lo, exec_lo
	s_delay_alu instid0(SALU_CYCLE_1)
	s_or_b32 s74, s74, s75
	s_mov_b32 s76, -1
	s_or_b32 s72, s72, exec_lo
	s_and_saveexec_b32 s75, s74
	s_cbranch_execz .LBB6_1315
.LBB6_1319:                             ;   in Loop: Header=BB6_1316 Depth=4
	s_sleep 1
	s_trap 2
	ds_load_b64 v[8:9], v0
	s_wait_dscnt 0x0
	s_and_not1_b32 s72, s72, exec_lo
	v_cmp_ge_u64_e32 vcc_lo, v[8:9], v[48:49]
	s_or_not1_b32 s76, vcc_lo, exec_lo
	s_branch .LBB6_1315
.LBB6_1320:                             ;   in Loop: Header=BB6_1154 Depth=3
	s_or_b32 exec_lo, exec_lo, s41
	s_and_saveexec_b32 s41, s63
	s_delay_alu instid0(SALU_CYCLE_1)
	s_xor_b32 s41, exec_lo, s41
	s_cbranch_execz .LBB6_1322
; %bb.1321:                             ;   in Loop: Header=BB6_1154 Depth=3
	ds_store_b32 v0, v79
	s_trap 2
.LBB6_1322:                             ;   in Loop: Header=BB6_1154 Depth=3
	s_or_b32 exec_lo, exec_lo, s40
	;;#ASMSTART
	s_wakeup
	;;#ASMEND
.LBB6_1323:                             ;   in Loop: Header=BB6_1154 Depth=3
	s_or_b32 exec_lo, exec_lo, s15
.LBB6_1324:                             ;   in Loop: Header=BB6_1154 Depth=3
	s_and_not1_saveexec_b32 s14, s14
	s_cbranch_execz .LBB6_1326
; %bb.1325:                             ;   in Loop: Header=BB6_1154 Depth=3
	;;#ASMSTART
	s_waitcnt lgkmcnt(0) vmcnt(0)
	;;#ASMEND
	s_barrier_signal -1
	s_barrier_wait -1
.LBB6_1326:                             ;   in Loop: Header=BB6_1154 Depth=3
	s_or_b32 exec_lo, exec_lo, s14
	v_and_b32_e32 v2, 16, v30
.LBB6_1327:                             ;   in Loop: Header=BB6_1154 Depth=3
	s_or_b32 exec_lo, exec_lo, s13
	s_delay_alu instid0(VALU_DEP_1) | instskip(SKIP_1) | instid1(SALU_CYCLE_1)
	v_cmp_ne_u32_e32 vcc_lo, 0, v2
	s_xor_b32 s13, s4, -1
	s_and_b32 s14, vcc_lo, s13
	s_delay_alu instid0(SALU_CYCLE_1)
	s_and_saveexec_b32 s13, s14
	s_cbranch_execz .LBB6_1329
; %bb.1328:                             ;   in Loop: Header=BB6_1154 Depth=3
	global_wb scope:SCOPE_SYS
	s_wait_storecnt 0x0
	s_wait_loadcnt_dscnt 0x0
	flat_store_b32 v[38:39], v79 scope:SCOPE_SYS
.LBB6_1329:                             ;   in Loop: Header=BB6_1154 Depth=3
	s_wait_xcnt 0x0
	s_or_b32 exec_lo, exec_lo, s13
	v_and_b32_e32 v2, 48, v30
	s_mov_b32 s13, exec_lo
	s_delay_alu instid0(VALU_DEP_1)
	v_cmpx_ne_u32_e32 0, v2
	s_cbranch_execz .LBB6_1153
; %bb.1330:                             ;   in Loop: Header=BB6_1154 Depth=3
	v_add_nc_u64_e32 v[114:115], 2, v[114:115]
	global_wb scope:SCOPE_SYS
	s_wait_storecnt 0x0
	s_wait_loadcnt_dscnt 0x0
	flat_store_b64 v[32:33], v[114:115] scope:SCOPE_SYS
	s_branch .LBB6_1153
.LBB6_1331:                             ;   in Loop: Header=BB6_1151 Depth=2
	s_or_b32 exec_lo, exec_lo, s60
.LBB6_1332:                             ;   in Loop: Header=BB6_1151 Depth=2
	s_delay_alu instid0(SALU_CYCLE_1) | instskip(NEXT) | instid1(SALU_CYCLE_1)
	s_or_b32 exec_lo, exec_lo, s27
	s_mov_b32 s14, exec_lo
	v_cmpx_gt_i32_e32 2, v2
	s_cbranch_execz .LBB6_1408
; %bb.1333:                             ;   in Loop: Header=BB6_1151 Depth=2
	v_cmp_eq_u32_e64 s27, 0, v2
	s_mov_b32 s15, 0
	s_branch .LBB6_1335
.LBB6_1334:                             ;   in Loop: Header=BB6_1335 Depth=3
	s_wait_xcnt 0x0
	s_or_b32 exec_lo, exec_lo, s13
	v_add_nc_u32_e32 v14, v12, v14
	s_mov_b32 s27, 0
	s_and_not1_b32 exec_lo, exec_lo, s15
	s_cbranch_execz .LBB6_1407
.LBB6_1335:                             ;   Parent Loop BB6_47 Depth=1
                                        ;     Parent Loop BB6_1151 Depth=2
                                        ; =>    This Loop Header: Depth=3
                                        ;         Child Loop BB6_1341 Depth 4
                                        ;         Child Loop BB6_1369 Depth 4
                                        ;         Child Loop BB6_1392 Depth 4
	s_delay_alu instid0(VALU_DEP_1) | instskip(SKIP_2) | instid1(VALU_DEP_2)
	v_sub_nc_u32_e32 v2, v46, v14
	v_and_b32_e32 v8, 12, v30
	s_mov_b32 s40, exec_lo
	v_min_i32_e32 v12, v12, v2
	s_delay_alu instid0(VALU_DEP_2)
	v_cmpx_ne_u32_e32 0, v8
	s_cbranch_execz .LBB6_1361
; %bb.1336:                             ;   in Loop: Header=BB6_1335 Depth=3
	v_and_b32_e32 v2, 8, v30
	v_add_nc_u64_e32 v[8:9], 2, v[114:115]
	s_mov_b32 s41, exec_lo
	s_wait_loadcnt_dscnt 0x1
	s_delay_alu instid0(VALU_DEP_2) | instskip(NEXT) | instid1(VALU_DEP_1)
	v_add_nc_u64_e32 v[10:11], v[50:51], v[2:3]
	v_cmpx_lt_u64_e64 v[10:11], v[8:9]
	s_cbranch_execz .LBB6_1348
; %bb.1337:                             ;   in Loop: Header=BB6_1335 Depth=3
	v_and_b32_e32 v10, 64, v30
	s_mov_b32 s60, 0
	s_mov_b32 s72, 0
                                        ; implicit-def: $sgpr61
                                        ; implicit-def: $sgpr62
                                        ; implicit-def: $sgpr63
	s_delay_alu instid0(VALU_DEP_1)
	v_cmp_eq_u32_e32 vcc_lo, 0, v10
	s_branch .LBB6_1341
.LBB6_1338:                             ;   in Loop: Header=BB6_1341 Depth=4
	s_wait_loadcnt_dscnt 0x0
	v_add_nc_u64_e32 v[16:17], v[50:51], v[2:3]
	s_or_b32 s75, s75, exec_lo
	s_delay_alu instid0(VALU_DEP_1)
	v_cmp_ge_u64_e64 s13, v[16:17], v[8:9]
	s_or_not1_b32 s74, s13, exec_lo
.LBB6_1339:                             ;   in Loop: Header=BB6_1341 Depth=4
	s_or_b32 exec_lo, exec_lo, s77
	s_delay_alu instid0(SALU_CYCLE_1)
	s_and_not1_b32 s13, s63, exec_lo
	s_and_b32 s63, s75, exec_lo
	s_and_not1_b32 s62, s62, exec_lo
	s_and_b32 s74, s74, exec_lo
	s_or_b32 s63, s13, s63
	s_or_b32 s62, s62, s74
.LBB6_1340:                             ;   in Loop: Header=BB6_1341 Depth=4
	s_or_b32 exec_lo, exec_lo, s73
	s_delay_alu instid0(SALU_CYCLE_1) | instskip(NEXT) | instid1(SALU_CYCLE_1)
	s_and_b32 s13, exec_lo, s62
	s_or_b32 s60, s13, s60
	s_and_not1_b32 s13, s61, exec_lo
	s_and_b32 s61, s63, exec_lo
	s_delay_alu instid0(SALU_CYCLE_1)
	s_or_b32 s61, s13, s61
	s_and_not1_b32 exec_lo, exec_lo, s60
	s_cbranch_execz .LBB6_1345
.LBB6_1341:                             ;   Parent Loop BB6_47 Depth=1
                                        ;     Parent Loop BB6_1151 Depth=2
                                        ;       Parent Loop BB6_1335 Depth=3
                                        ; =>      This Inner Loop Header: Depth=4
	s_sleep 1
	s_wait_loadcnt_dscnt 0x0
	flat_load_b64 v[50:51], v[32:33] scope:SCOPE_SYS
	s_or_b32 s63, s63, exec_lo
	s_or_b32 s62, s62, exec_lo
                                        ; implicit-def: $vgpr10
	s_wait_xcnt 0x0
	s_and_saveexec_b32 s73, vcc_lo
	s_cbranch_execz .LBB6_1340
; %bb.1342:                             ;   in Loop: Header=BB6_1341 Depth=4
	s_cmp_lt_i32 s72, 0x270f
	s_mov_b32 s74, -1
	s_cselect_b32 s76, -1, 0
	s_cmp_gt_i32 s72, 0x270e
	s_cbranch_scc0 .LBB6_1344
; %bb.1343:                             ;   in Loop: Header=BB6_1341 Depth=4
	s_trap 2
	ds_load_b64 v[10:11], v0
	s_and_not1_b32 s72, s76, exec_lo
	s_mov_b32 s75, 0
	s_wait_storecnt 0x0
	s_wait_loadcnt_dscnt 0x0
	flat_load_b32 v10, v[10:11] scope:SCOPE_SYS
	s_wait_loadcnt_dscnt 0x0
	global_inv scope:SCOPE_SYS
	v_cmp_eq_u32_e64 s13, 0, v10
	s_and_b32 s13, s13, exec_lo
	s_delay_alu instid0(SALU_CYCLE_1)
	s_or_b32 s76, s72, s13
	s_mov_b32 s72, 0
	s_and_saveexec_b32 s77, s76
	s_cbranch_execz .LBB6_1339
	s_branch .LBB6_1338
.LBB6_1344:                             ;   in Loop: Header=BB6_1341 Depth=4
	s_add_co_i32 s72, s72, 1
	s_mov_b32 s75, -1
                                        ; implicit-def: $vgpr10
	s_and_saveexec_b32 s77, s76
	s_cbranch_execz .LBB6_1339
	s_branch .LBB6_1338
.LBB6_1345:                             ;   in Loop: Header=BB6_1335 Depth=3
	s_or_b32 exec_lo, exec_lo, s60
	s_xor_b32 s13, s61, -1
	s_delay_alu instid0(SALU_CYCLE_1) | instskip(NEXT) | instid1(SALU_CYCLE_1)
	s_and_saveexec_b32 s60, s13
	s_xor_b32 s13, exec_lo, s60
	s_cbranch_execz .LBB6_1347
; %bb.1346:                             ;   in Loop: Header=BB6_1335 Depth=3
	v_or_b32_e32 v30, 64, v30
	s_wait_storecnt 0x0
	s_wait_loadcnt_dscnt 0x0
	ds_store_b32 v0, v10
	s_trap 2
.LBB6_1347:                             ;   in Loop: Header=BB6_1335 Depth=3
	s_or_b32 exec_lo, exec_lo, s13
.LBB6_1348:                             ;   in Loop: Header=BB6_1335 Depth=3
	s_delay_alu instid0(SALU_CYCLE_1) | instskip(SKIP_2) | instid1(VALU_DEP_1)
	s_or_b32 exec_lo, exec_lo, s41
	v_and_b32_e32 v10, 0x108, v30
	;;#ASMSTART
	s_wakeup
	;;#ASMEND
	v_cmp_ne_u32_e32 vcc_lo, 0x108, v10
                                        ; implicit-def: $vgpr10_vgpr11
	s_and_saveexec_b32 s13, vcc_lo
	s_delay_alu instid0(SALU_CYCLE_1)
	s_xor_b32 s13, exec_lo, s13
; %bb.1349:                             ;   in Loop: Header=BB6_1335 Depth=3
	v_dual_mov_b32 v11, v3 :: v_dual_bitop2_b32 v10, 7, v114 bitop3:0x40
                                        ; implicit-def: $vgpr114_vgpr115
; %bb.1350:                             ;   in Loop: Header=BB6_1335 Depth=3
	s_and_not1_saveexec_b32 s13, s13
	s_cbranch_execz .LBB6_1352
; %bb.1351:                             ;   in Loop: Header=BB6_1335 Depth=3
	v_dual_ashrrev_i32 v13, 31, v12 :: v_dual_bitop2_b32 v10, 7, v114 bitop3:0x40
	v_mov_b32_e32 v11, v3
	s_delay_alu instid0(VALU_DEP_2) | instskip(NEXT) | instid1(VALU_DEP_3)
	v_mad_nc_u64_u32 v[16:17], v10, 24, v[6:7]
	v_lshlrev_b64_e32 v[18:19], 1, v[12:13]
	flat_store_b64 v[16:17], v[18:19] offset:8
.LBB6_1352:                             ;   in Loop: Header=BB6_1335 Depth=3
	s_wait_xcnt 0x0
	s_or_b32 exec_lo, exec_lo, s13
	v_and_b32_e32 v13, 0x100, v30
	s_mov_b32 s13, -1
	s_mov_b32 s41, exec_lo
                                        ; implicit-def: $vgpr16_vgpr17
	s_delay_alu instid0(VALU_DEP_1)
	v_cmpx_ne_u32_e32 0, v13
	s_cbranch_execz .LBB6_1356
; %bb.1353:                             ;   in Loop: Header=BB6_1335 Depth=3
	v_mad_nc_u64_u32 v[18:19], v10, 24, v[6:7]
	s_mov_b32 s60, exec_lo
                                        ; implicit-def: $vgpr16_vgpr17
	s_delay_alu instid0(VALU_DEP_1)
	v_mad_u32 v19, v11, 24, v19
	flat_load_b32 v13, v[18:19]
	s_wait_loadcnt_dscnt 0x0
	v_cmp_ne_u32_e32 vcc_lo, 1, v13
	s_wait_xcnt 0x0
	v_cmpx_eq_u32_e32 1, v13
	s_cbranch_execz .LBB6_1355
; %bb.1354:                             ;   in Loop: Header=BB6_1335 Depth=3
	flat_load_b32 v16, v[18:19] offset:4 scope:SCOPE_SYS
	s_wait_loadcnt_dscnt 0x0
	v_ashrrev_i32_e32 v17, 31, v16
	s_delay_alu instid0(VALU_DEP_1)
	v_lshrrev_b64 v[16:17], 1, v[16:17]
.LBB6_1355:                             ;   in Loop: Header=BB6_1335 Depth=3
	s_wait_xcnt 0x0
	s_or_b32 exec_lo, exec_lo, s60
	s_delay_alu instid0(SALU_CYCLE_1)
	s_or_not1_b32 s13, vcc_lo, exec_lo
.LBB6_1356:                             ;   in Loop: Header=BB6_1335 Depth=3
	s_or_b32 exec_lo, exec_lo, s41
	s_and_saveexec_b32 s41, s13
; %bb.1357:                             ;   in Loop: Header=BB6_1335 Depth=3
	v_mul_u64_e32 v[16:17], v[10:11], v[34:35]
; %bb.1358:                             ;   in Loop: Header=BB6_1335 Depth=3
	s_or_b32 exec_lo, exec_lo, s41
	v_cmp_eq_u32_e32 vcc_lo, 0, v2
	v_and_b32_e32 v13, 0x2000, v30
	s_delay_alu instid0(VALU_DEP_3) | instskip(SKIP_2) | instid1(VALU_DEP_1)
	v_lshl_add_u64 v[10:11], v[16:17], 1, v[36:37]
	s_mov_b32 s13, exec_lo
	v_cndmask_b32_e32 v2, 0xd0, v89, vcc_lo
	v_add_nc_u32_e32 v2, v0, v2
	ds_store_b64 v2, v[10:11] offset:584
	v_cmpx_ne_u32_e32 0, v13
	s_cbranch_execz .LBB6_1360
; %bb.1359:                             ;   in Loop: Header=BB6_1335 Depth=3
	ds_load_b64 v[10:11], v0 offset:872
	s_wait_dscnt 0x0
	v_add_nc_u64_e32 v[10:11], 1, v[10:11]
	ds_store_b64 v0, v[10:11] offset:872
.LBB6_1360:                             ;   in Loop: Header=BB6_1335 Depth=3
	s_or_b32 exec_lo, exec_lo, s13
	v_mov_b64_e32 v[114:115], v[8:9]
.LBB6_1361:                             ;   in Loop: Header=BB6_1335 Depth=3
	s_or_b32 exec_lo, exec_lo, s40
	s_xor_b32 s13, s27, -1
	s_delay_alu instid0(SALU_CYCLE_1) | instskip(NEXT) | instid1(SALU_CYCLE_1)
	s_and_b32 s13, exec_lo, s13
	s_or_b32 s15, s13, s15
	s_and_saveexec_b32 s13, s2
	s_cbranch_execz .LBB6_1380
; %bb.1362:                             ;   in Loop: Header=BB6_1335 Depth=3
	s_and_saveexec_b32 s27, s3
	s_delay_alu instid0(SALU_CYCLE_1)
	s_xor_b32 s27, exec_lo, s27
	s_cbranch_execz .LBB6_1377
; %bb.1363:                             ;   in Loop: Header=BB6_1335 Depth=3
	s_and_saveexec_b32 s40, s6
	s_cbranch_execz .LBB6_1376
; %bb.1364:                             ;   in Loop: Header=BB6_1335 Depth=3
	s_mov_b32 s60, exec_lo
	s_mov_b32 s41, exec_lo
	v_mbcnt_lo_u32_b32 v2, s60, 0
	global_wb scope:SCOPE_DEV
	s_wait_storecnt 0x0
	s_wait_loadcnt_dscnt 0x0
	global_inv scope:SCOPE_DEV
	v_cmpx_eq_u32_e32 0, v2
	s_cbranch_execz .LBB6_1366
; %bb.1365:                             ;   in Loop: Header=BB6_1335 Depth=3
	s_bcnt1_i32_b32 s60, s60
	s_delay_alu instid0(SALU_CYCLE_1)
	v_mov_b32_e32 v2, s60
	s_wait_loadcnt 0x0
	ds_add_u64 v0, v[2:3]
	s_trap 2
.LBB6_1366:                             ;   in Loop: Header=BB6_1335 Depth=3
	s_or_b32 exec_lo, exec_lo, s41
	s_trap 2
	ds_load_b64 v[8:9], v0
	s_wait_dscnt 0x0
	v_add_nc_u64_e32 v[48:49], v[48:49], v[52:53]
	s_mov_b32 s41, exec_lo
	s_delay_alu instid0(VALU_DEP_1)
	v_cmpx_lt_u64_e64 v[8:9], v[48:49]
	s_cbranch_execz .LBB6_1375
; %bb.1367:                             ;   in Loop: Header=BB6_1335 Depth=3
	s_mov_b32 s60, 0
	s_mov_b32 s63, 0
                                        ; implicit-def: $sgpr61
                                        ; implicit-def: $sgpr62
	s_branch .LBB6_1369
.LBB6_1368:                             ;   in Loop: Header=BB6_1369 Depth=4
	s_or_b32 exec_lo, exec_lo, s73
	s_delay_alu instid0(SALU_CYCLE_1) | instskip(NEXT) | instid1(SALU_CYCLE_1)
	s_and_b32 s72, exec_lo, s74
	s_or_b32 s60, s72, s60
	s_and_not1_b32 s61, s61, exec_lo
	s_and_b32 s72, s62, exec_lo
	s_delay_alu instid0(SALU_CYCLE_1)
	s_or_b32 s61, s61, s72
	s_and_not1_b32 exec_lo, exec_lo, s60
	s_cbranch_execz .LBB6_1373
.LBB6_1369:                             ;   Parent Loop BB6_47 Depth=1
                                        ;     Parent Loop BB6_1151 Depth=2
                                        ;       Parent Loop BB6_1335 Depth=3
                                        ; =>      This Inner Loop Header: Depth=4
	s_add_co_i32 s63, s63, 1
	s_delay_alu instid0(SALU_CYCLE_1) | instskip(SKIP_1) | instid1(SALU_CYCLE_1)
	s_cmp_lg_u32 s63, 0x2710
	s_cselect_b32 s72, -1, 0
	s_and_b32 vcc_lo, exec_lo, s72
	s_cbranch_vccz .LBB6_1371
; %bb.1370:                             ;   in Loop: Header=BB6_1369 Depth=4
	s_mov_b32 s74, -1
	s_or_b32 s62, s62, exec_lo
	s_and_saveexec_b32 s73, s72
	s_cbranch_execz .LBB6_1368
	s_branch .LBB6_1372
.LBB6_1371:                             ;   in Loop: Header=BB6_1369 Depth=4
	s_trap 2
	ds_load_b64 v[8:9], v0
	s_and_not1_b32 s72, s72, exec_lo
	s_mov_b32 s63, 0
	s_wait_loadcnt_dscnt 0x0
	flat_load_b32 v2, v[8:9] scope:SCOPE_SYS
	s_wait_loadcnt_dscnt 0x0
	global_inv scope:SCOPE_SYS
	v_cmp_eq_u32_e32 vcc_lo, 0, v2
	s_and_b32 s73, vcc_lo, exec_lo
	s_delay_alu instid0(SALU_CYCLE_1)
	s_or_b32 s72, s72, s73
	s_mov_b32 s74, -1
	s_or_b32 s62, s62, exec_lo
	s_and_saveexec_b32 s73, s72
	s_cbranch_execz .LBB6_1368
.LBB6_1372:                             ;   in Loop: Header=BB6_1369 Depth=4
	s_sleep 1
	s_trap 2
	ds_load_b64 v[8:9], v0
	s_wait_dscnt 0x0
	s_and_not1_b32 s62, s62, exec_lo
	v_cmp_ge_u64_e32 vcc_lo, v[8:9], v[48:49]
	s_or_not1_b32 s74, vcc_lo, exec_lo
	s_branch .LBB6_1368
.LBB6_1373:                             ;   in Loop: Header=BB6_1335 Depth=3
	s_or_b32 exec_lo, exec_lo, s60
	s_and_saveexec_b32 s60, s61
	s_delay_alu instid0(SALU_CYCLE_1)
	s_xor_b32 s60, exec_lo, s60
	s_cbranch_execz .LBB6_1375
; %bb.1374:                             ;   in Loop: Header=BB6_1335 Depth=3
	ds_store_b32 v0, v79
	s_trap 2
.LBB6_1375:                             ;   in Loop: Header=BB6_1335 Depth=3
	s_or_b32 exec_lo, exec_lo, s41
	;;#ASMSTART
	s_wakeup
	;;#ASMEND
.LBB6_1376:                             ;   in Loop: Header=BB6_1335 Depth=3
	s_or_b32 exec_lo, exec_lo, s40
.LBB6_1377:                             ;   in Loop: Header=BB6_1335 Depth=3
	s_and_not1_saveexec_b32 s27, s27
	s_cbranch_execz .LBB6_1379
; %bb.1378:                             ;   in Loop: Header=BB6_1335 Depth=3
	global_wb scope:SCOPE_DEV
	s_wait_storecnt 0x0
	s_wait_loadcnt_dscnt 0x0
	global_inv scope:SCOPE_DEV
	s_barrier_signal -1
	s_barrier_wait -1
.LBB6_1379:                             ;   in Loop: Header=BB6_1335 Depth=3
	s_or_b32 exec_lo, exec_lo, s27
.LBB6_1380:                             ;   in Loop: Header=BB6_1335 Depth=3
	s_delay_alu instid0(SALU_CYCLE_1) | instskip(SKIP_1) | instid1(SALU_CYCLE_1)
	s_or_b32 exec_lo, exec_lo, s13
                                        ; implicit-def: $vgpr2
	s_and_saveexec_b32 s13, s10
	s_xor_b32 s27, exec_lo, s13
	s_cbranch_execz .LBB6_1384
; %bb.1381:                             ;   in Loop: Header=BB6_1335 Depth=3
	s_trap 2
	ds_load_b32 v2, v0
	v_cmp_lt_i32_e32 vcc_lo, 0, v12
	s_wait_dscnt 0x0
	v_readfirstlane_b32 s13, v2
	v_and_b32_e32 v2, 16, v30
	s_cmp_eq_u32 s13, 0
	s_delay_alu instid0(VALU_DEP_1) | instskip(SKIP_3) | instid1(SALU_CYCLE_1)
	v_cmp_ne_u32_e64 s13, 0, v2
	s_cselect_b32 s40, -1, 0
	v_and_b32_e32 v2, 16, v30
	s_and_b32 s40, vcc_lo, s40
	s_and_b32 s40, s13, s40
	s_delay_alu instid0(SALU_CYCLE_1)
	s_and_saveexec_b32 s13, s40
	s_cbranch_execz .LBB6_1383
; %bb.1382:                             ;   in Loop: Header=BB6_1335 Depth=3
	v_mov_b32_e32 v2, 1
	global_wb scope:SCOPE_SYS
	s_wait_loadcnt 0x0
	s_wait_storecnt 0x0
	global_inv scope:SCOPE_SYS
.LBB6_1383:                             ;   in Loop: Header=BB6_1335 Depth=3
	s_or_b32 exec_lo, exec_lo, s13
	s_and_not1_saveexec_b32 s13, s27
	s_cbranch_execz .LBB6_1403
	s_branch .LBB6_1385
.LBB6_1384:                             ;   in Loop: Header=BB6_1335 Depth=3
	s_and_not1_saveexec_b32 s13, s27
	s_cbranch_execz .LBB6_1403
.LBB6_1385:                             ;   in Loop: Header=BB6_1335 Depth=3
	s_and_saveexec_b32 s27, s3
	s_delay_alu instid0(SALU_CYCLE_1)
	s_xor_b32 s27, exec_lo, s27
	s_cbranch_execz .LBB6_1400
; %bb.1386:                             ;   in Loop: Header=BB6_1335 Depth=3
	s_and_saveexec_b32 s40, s6
	s_cbranch_execz .LBB6_1399
; %bb.1387:                             ;   in Loop: Header=BB6_1335 Depth=3
	s_mov_b32 s60, exec_lo
	s_mov_b32 s41, exec_lo
	v_mbcnt_lo_u32_b32 v2, s60, 0
	;;#ASMSTART
	s_waitcnt lgkmcnt(0) vmcnt(0)
	;;#ASMEND
	s_delay_alu instid0(VALU_DEP_1)
	v_cmpx_eq_u32_e32 0, v2
	s_cbranch_execz .LBB6_1389
; %bb.1388:                             ;   in Loop: Header=BB6_1335 Depth=3
	s_bcnt1_i32_b32 s60, s60
	s_delay_alu instid0(SALU_CYCLE_1)
	v_mov_b32_e32 v2, s60
	s_wait_storecnt 0x0
	s_wait_loadcnt_dscnt 0x0
	ds_add_u64 v0, v[2:3]
	s_trap 2
.LBB6_1389:                             ;   in Loop: Header=BB6_1335 Depth=3
	s_or_b32 exec_lo, exec_lo, s41
	s_trap 2
	ds_load_b64 v[8:9], v0
	s_wait_dscnt 0x0
	v_add_nc_u64_e32 v[48:49], v[48:49], v[52:53]
	s_mov_b32 s41, exec_lo
	s_delay_alu instid0(VALU_DEP_1)
	v_cmpx_lt_u64_e64 v[8:9], v[48:49]
	s_cbranch_execz .LBB6_1398
; %bb.1390:                             ;   in Loop: Header=BB6_1335 Depth=3
	s_mov_b32 s60, 0
	s_mov_b32 s63, 0
                                        ; implicit-def: $sgpr61
                                        ; implicit-def: $sgpr62
	s_branch .LBB6_1392
.LBB6_1391:                             ;   in Loop: Header=BB6_1392 Depth=4
	s_or_b32 exec_lo, exec_lo, s73
	s_delay_alu instid0(SALU_CYCLE_1) | instskip(NEXT) | instid1(SALU_CYCLE_1)
	s_and_b32 s72, exec_lo, s74
	s_or_b32 s60, s72, s60
	s_and_not1_b32 s61, s61, exec_lo
	s_and_b32 s72, s62, exec_lo
	s_delay_alu instid0(SALU_CYCLE_1)
	s_or_b32 s61, s61, s72
	s_and_not1_b32 exec_lo, exec_lo, s60
	s_cbranch_execz .LBB6_1396
.LBB6_1392:                             ;   Parent Loop BB6_47 Depth=1
                                        ;     Parent Loop BB6_1151 Depth=2
                                        ;       Parent Loop BB6_1335 Depth=3
                                        ; =>      This Inner Loop Header: Depth=4
	s_add_co_i32 s63, s63, 1
	s_delay_alu instid0(SALU_CYCLE_1) | instskip(SKIP_1) | instid1(SALU_CYCLE_1)
	s_cmp_lg_u32 s63, 0x2710
	s_cselect_b32 s72, -1, 0
	s_and_b32 vcc_lo, exec_lo, s72
	s_cbranch_vccz .LBB6_1394
; %bb.1393:                             ;   in Loop: Header=BB6_1392 Depth=4
	s_mov_b32 s74, -1
	s_or_b32 s62, s62, exec_lo
	s_and_saveexec_b32 s73, s72
	s_cbranch_execz .LBB6_1391
	s_branch .LBB6_1395
.LBB6_1394:                             ;   in Loop: Header=BB6_1392 Depth=4
	s_trap 2
	ds_load_b64 v[8:9], v0
	s_and_not1_b32 s72, s72, exec_lo
	s_mov_b32 s63, 0
	s_wait_storecnt 0x0
	s_wait_loadcnt_dscnt 0x0
	flat_load_b32 v2, v[8:9] scope:SCOPE_SYS
	s_wait_loadcnt_dscnt 0x0
	global_inv scope:SCOPE_SYS
	v_cmp_eq_u32_e32 vcc_lo, 0, v2
	s_and_b32 s73, vcc_lo, exec_lo
	s_delay_alu instid0(SALU_CYCLE_1)
	s_or_b32 s72, s72, s73
	s_mov_b32 s74, -1
	s_or_b32 s62, s62, exec_lo
	s_and_saveexec_b32 s73, s72
	s_cbranch_execz .LBB6_1391
.LBB6_1395:                             ;   in Loop: Header=BB6_1392 Depth=4
	s_sleep 1
	s_trap 2
	ds_load_b64 v[8:9], v0
	s_wait_dscnt 0x0
	s_and_not1_b32 s62, s62, exec_lo
	v_cmp_ge_u64_e32 vcc_lo, v[8:9], v[48:49]
	s_or_not1_b32 s74, vcc_lo, exec_lo
	s_branch .LBB6_1391
.LBB6_1396:                             ;   in Loop: Header=BB6_1335 Depth=3
	s_or_b32 exec_lo, exec_lo, s60
	s_and_saveexec_b32 s60, s61
	s_delay_alu instid0(SALU_CYCLE_1)
	s_xor_b32 s60, exec_lo, s60
	s_cbranch_execz .LBB6_1398
; %bb.1397:                             ;   in Loop: Header=BB6_1335 Depth=3
	ds_store_b32 v0, v79
	s_trap 2
.LBB6_1398:                             ;   in Loop: Header=BB6_1335 Depth=3
	s_or_b32 exec_lo, exec_lo, s41
	;;#ASMSTART
	s_wakeup
	;;#ASMEND
.LBB6_1399:                             ;   in Loop: Header=BB6_1335 Depth=3
	s_or_b32 exec_lo, exec_lo, s40
.LBB6_1400:                             ;   in Loop: Header=BB6_1335 Depth=3
	s_and_not1_saveexec_b32 s27, s27
	s_cbranch_execz .LBB6_1402
; %bb.1401:                             ;   in Loop: Header=BB6_1335 Depth=3
	;;#ASMSTART
	s_waitcnt lgkmcnt(0) vmcnt(0)
	;;#ASMEND
	s_barrier_signal -1
	s_barrier_wait -1
.LBB6_1402:                             ;   in Loop: Header=BB6_1335 Depth=3
	s_or_b32 exec_lo, exec_lo, s27
	v_and_b32_e32 v2, 16, v30
.LBB6_1403:                             ;   in Loop: Header=BB6_1335 Depth=3
	s_or_b32 exec_lo, exec_lo, s13
	s_delay_alu instid0(VALU_DEP_1) | instskip(SKIP_1) | instid1(SALU_CYCLE_1)
	v_cmp_ne_u32_e32 vcc_lo, 0, v2
	s_xor_b32 s13, s4, -1
	s_and_b32 s27, vcc_lo, s13
	s_delay_alu instid0(SALU_CYCLE_1)
	s_and_saveexec_b32 s13, s27
	s_cbranch_execz .LBB6_1405
; %bb.1404:                             ;   in Loop: Header=BB6_1335 Depth=3
	global_wb scope:SCOPE_SYS
	s_wait_storecnt 0x0
	s_wait_loadcnt_dscnt 0x0
	flat_store_b32 v[38:39], v79 scope:SCOPE_SYS
.LBB6_1405:                             ;   in Loop: Header=BB6_1335 Depth=3
	s_wait_xcnt 0x0
	s_or_b32 exec_lo, exec_lo, s13
	v_and_b32_e32 v2, 48, v30
	s_mov_b32 s13, exec_lo
	s_delay_alu instid0(VALU_DEP_1)
	v_cmpx_ne_u32_e32 0, v2
	s_cbranch_execz .LBB6_1334
; %bb.1406:                             ;   in Loop: Header=BB6_1335 Depth=3
	v_add_nc_u64_e32 v[114:115], 2, v[114:115]
	global_wb scope:SCOPE_SYS
	s_wait_storecnt 0x0
	s_wait_loadcnt_dscnt 0x0
	flat_store_b64 v[32:33], v[114:115] scope:SCOPE_SYS
	s_branch .LBB6_1334
.LBB6_1407:                             ;   in Loop: Header=BB6_1151 Depth=2
	s_or_b32 exec_lo, exec_lo, s15
.LBB6_1408:                             ;   in Loop: Header=BB6_1151 Depth=2
	s_delay_alu instid0(SALU_CYCLE_1)
	s_or_b32 exec_lo, exec_lo, s14
	s_add_co_i32 s13, s18, 1
	s_cmp_eq_u32 s18, s56
	s_cbranch_scc1 .LBB6_1410
; %bb.1409:                             ;   in Loop: Header=BB6_1151 Depth=2
	s_mov_b32 s18, s13
	s_branch .LBB6_1151
.LBB6_1410:                             ;   in Loop: Header=BB6_47 Depth=1
	v_mul_u64_e32 v[10:11], s[28:29], v[112:113]
	s_delay_alu instid0(VALU_DEP_1) | instskip(NEXT) | instid1(VALU_DEP_1)
	v_sub_nc_u64_e32 v[8:9], v[116:117], v[10:11]
	v_min_i64 v[8:9], v[112:113], v[8:9]
	s_delay_alu instid0(VALU_DEP_1) | instskip(SKIP_1) | instid1(VALU_DEP_2)
	v_max_i32_e32 v22, 0, v8
	v_cmp_lt_i32_e32 vcc_lo, 0, v8
	v_dual_mov_b32 v8, 0 :: v_dual_add_nc_u32 v2, 31, v22
	s_and_b32 s13, s57, vcc_lo
	s_delay_alu instid0(VALU_DEP_1) | instskip(NEXT) | instid1(VALU_DEP_1)
	v_lshrrev_b32_e32 v2, 1, v2
	v_and_b32_e32 v9, 0x3ffffff0, v2
	s_delay_alu instid0(VALU_DEP_1)
	v_dual_mov_b32 v2, 0 :: v_dual_max_i32 v23, s45, v9
	s_and_saveexec_b32 s14, s13
	s_cbranch_execz .LBB6_1550
; %bb.1411:                             ;   in Loop: Header=BB6_47 Depth=1
	v_add_nc_u64_e32 v[8:9], v[10:11], v[118:119]
	s_mov_b32 s27, 1
	s_mov_b32 s18, -1
	s_mov_b32 s15, 0
	s_delay_alu instid0(VALU_DEP_1)
	v_lshlrev_b64_e32 v[10:11], 1, v[8:9]
	v_mov_b32_e32 v8, 0
	s_branch .LBB6_1413
.LBB6_1412:                             ;   in Loop: Header=BB6_1413 Depth=2
	s_wait_xcnt 0x0
	s_or_b32 exec_lo, exec_lo, s13
	v_dual_add_nc_u32 v8, v23, v8 :: v_dual_mov_b32 v2, s27
	s_xor_b32 s13, s18, -1
	s_mov_b32 s18, 0
	s_mov_b32 s27, 2
	s_delay_alu instid0(VALU_DEP_1) | instskip(SKIP_1) | instid1(SALU_CYCLE_1)
	v_cmp_ge_i32_e32 vcc_lo, v8, v22
	s_or_b32 s13, s13, vcc_lo
	s_and_b32 s13, exec_lo, s13
	s_delay_alu instid0(SALU_CYCLE_1) | instskip(NEXT) | instid1(SALU_CYCLE_1)
	s_or_b32 s15, s13, s15
	s_and_not1_b32 exec_lo, exec_lo, s15
	s_cbranch_execz .LBB6_1549
.LBB6_1413:                             ;   Parent Loop BB6_47 Depth=1
                                        ; =>  This Loop Header: Depth=2
                                        ;       Child Loop BB6_1421 Depth 3
                                        ;       Child Loop BB6_1445 Depth 3
	;; [unrolled: 1-line block ×9, first 2 shown]
	s_and_saveexec_b32 s13, s0
	s_cbranch_execz .LBB6_1415
; %bb.1414:                             ;   in Loop: Header=BB6_1413 Depth=2
	s_trap 2
	ds_load_b128 v[12:15], v0
	s_wait_dscnt 0x0
	v_cmp_ne_u64_e32 vcc_lo, 0, v[14:15]
	v_ashrrev_i32_e32 v9, 31, v8
	v_add_nc_u64_e32 v[18:19], v[14:15], v[10:11]
	v_add_nc_u64_e32 v[12:13], v[12:13], v[10:11]
	s_delay_alu instid0(VALU_DEP_3) | instskip(NEXT) | instid1(VALU_DEP_1)
	v_lshlrev_b64_e32 v[16:17], 1, v[8:9]
	v_add_nc_u64_e32 v[18:19], v[18:19], v[16:17]
	s_delay_alu instid0(VALU_DEP_3) | instskip(NEXT) | instid1(VALU_DEP_2)
	v_add_nc_u64_e32 v[12:13], v[12:13], v[16:17]
	v_dual_cndmask_b32 v15, 0, v19 :: v_dual_cndmask_b32 v14, 0, v18
	ds_store_b64 v0, v[12:13]
	ds_store_b64 v0, v[14:15]
.LBB6_1415:                             ;   in Loop: Header=BB6_1413 Depth=2
	s_or_b32 exec_lo, exec_lo, s13
	v_and_b32_e32 v2, 4, v30
	s_mov_b32 s40, exec_lo
	s_delay_alu instid0(VALU_DEP_1)
	v_cmpx_ne_u32_e32 0, v2
	s_cbranch_execz .LBB6_1437
; %bb.1416:                             ;   in Loop: Header=BB6_1413 Depth=2
	v_add_nc_u64_e32 v[12:13], 2, v[114:115]
	s_mov_b32 s41, exec_lo
	s_wait_loadcnt_dscnt 0x1
	s_delay_alu instid0(VALU_DEP_1)
	v_cmpx_lt_u64_e64 v[50:51], v[12:13]
	s_cbranch_execz .LBB6_1428
; %bb.1417:                             ;   in Loop: Header=BB6_1413 Depth=2
	v_and_b32_e32 v2, 64, v30
	s_mov_b32 s60, 0
	s_mov_b32 s72, 0
                                        ; implicit-def: $sgpr61
                                        ; implicit-def: $sgpr62
                                        ; implicit-def: $sgpr63
	s_delay_alu instid0(VALU_DEP_1)
	v_cmp_eq_u32_e32 vcc_lo, 0, v2
	s_branch .LBB6_1421
.LBB6_1418:                             ;   in Loop: Header=BB6_1421 Depth=3
	s_wait_loadcnt_dscnt 0x0
	v_cmp_ge_u64_e64 s13, v[50:51], v[12:13]
	s_or_b32 s75, s75, exec_lo
	s_or_not1_b32 s74, s13, exec_lo
.LBB6_1419:                             ;   in Loop: Header=BB6_1421 Depth=3
	s_or_b32 exec_lo, exec_lo, s77
	s_delay_alu instid0(SALU_CYCLE_1)
	s_and_not1_b32 s13, s63, exec_lo
	s_and_b32 s63, s75, exec_lo
	s_and_not1_b32 s62, s62, exec_lo
	s_and_b32 s74, s74, exec_lo
	s_or_b32 s63, s13, s63
	s_or_b32 s62, s62, s74
.LBB6_1420:                             ;   in Loop: Header=BB6_1421 Depth=3
	s_or_b32 exec_lo, exec_lo, s73
	s_delay_alu instid0(SALU_CYCLE_1) | instskip(NEXT) | instid1(SALU_CYCLE_1)
	s_and_b32 s13, exec_lo, s62
	s_or_b32 s60, s13, s60
	s_and_not1_b32 s13, s61, exec_lo
	s_and_b32 s61, s63, exec_lo
	s_delay_alu instid0(SALU_CYCLE_1)
	s_or_b32 s61, s13, s61
	s_and_not1_b32 exec_lo, exec_lo, s60
	s_cbranch_execz .LBB6_1425
.LBB6_1421:                             ;   Parent Loop BB6_47 Depth=1
                                        ;     Parent Loop BB6_1413 Depth=2
                                        ; =>    This Inner Loop Header: Depth=3
	s_sleep 1
	s_wait_loadcnt_dscnt 0x0
	flat_load_b64 v[50:51], v[32:33] scope:SCOPE_SYS
	s_or_b32 s63, s63, exec_lo
	s_or_b32 s62, s62, exec_lo
                                        ; implicit-def: $vgpr2
	s_wait_xcnt 0x0
	s_and_saveexec_b32 s73, vcc_lo
	s_cbranch_execz .LBB6_1420
; %bb.1422:                             ;   in Loop: Header=BB6_1421 Depth=3
	s_cmp_lt_i32 s72, 0x270f
	s_mov_b32 s74, -1
	s_cselect_b32 s76, -1, 0
	s_cmp_gt_i32 s72, 0x270e
	s_cbranch_scc0 .LBB6_1424
; %bb.1423:                             ;   in Loop: Header=BB6_1421 Depth=3
	s_trap 2
	ds_load_b64 v[14:15], v0
	s_and_not1_b32 s72, s76, exec_lo
	s_mov_b32 s75, 0
	s_wait_storecnt 0x0
	s_wait_loadcnt_dscnt 0x0
	flat_load_b32 v2, v[14:15] scope:SCOPE_SYS
	s_wait_loadcnt_dscnt 0x0
	global_inv scope:SCOPE_SYS
	v_cmp_eq_u32_e64 s13, 0, v2
	s_and_b32 s13, s13, exec_lo
	s_delay_alu instid0(SALU_CYCLE_1)
	s_or_b32 s76, s72, s13
	s_mov_b32 s72, 0
	s_and_saveexec_b32 s77, s76
	s_cbranch_execz .LBB6_1419
	s_branch .LBB6_1418
.LBB6_1424:                             ;   in Loop: Header=BB6_1421 Depth=3
	s_add_co_i32 s72, s72, 1
	s_mov_b32 s75, -1
                                        ; implicit-def: $vgpr2
	s_and_saveexec_b32 s77, s76
	s_cbranch_execz .LBB6_1419
	s_branch .LBB6_1418
.LBB6_1425:                             ;   in Loop: Header=BB6_1413 Depth=2
	s_or_b32 exec_lo, exec_lo, s60
	s_xor_b32 s13, s61, -1
	s_delay_alu instid0(SALU_CYCLE_1) | instskip(NEXT) | instid1(SALU_CYCLE_1)
	s_and_saveexec_b32 s60, s13
	s_xor_b32 s13, exec_lo, s60
	s_cbranch_execz .LBB6_1427
; %bb.1426:                             ;   in Loop: Header=BB6_1413 Depth=2
	v_or_b32_e32 v30, 64, v30
	s_wait_storecnt 0x0
	s_wait_loadcnt_dscnt 0x0
	ds_store_b32 v0, v2
	s_trap 2
.LBB6_1427:                             ;   in Loop: Header=BB6_1413 Depth=2
	s_or_b32 exec_lo, exec_lo, s13
.LBB6_1428:                             ;   in Loop: Header=BB6_1413 Depth=2
	s_delay_alu instid0(SALU_CYCLE_1) | instskip(SKIP_3) | instid1(VALU_DEP_1)
	s_or_b32 exec_lo, exec_lo, s41
	v_and_b32_e32 v2, 0x100, v30
	s_mov_b32 s13, -1
	;;#ASMSTART
	s_wakeup
	;;#ASMEND
                                        ; implicit-def: $vgpr14_vgpr15
	v_cmp_ne_u32_e32 vcc_lo, 0, v2
	v_and_b32_e32 v2, 7, v114
	s_and_saveexec_b32 s41, vcc_lo
	s_cbranch_execz .LBB6_1432
; %bb.1429:                             ;   in Loop: Header=BB6_1413 Depth=2
	s_delay_alu instid0(VALU_DEP_1)
	v_mad_nc_u64_u32 v[16:17], v2, 24, v[6:7]
	s_mov_b32 s60, exec_lo
                                        ; implicit-def: $vgpr14_vgpr15
	flat_load_b32 v9, v[16:17]
	s_wait_loadcnt_dscnt 0x0
	v_cmp_ne_u32_e32 vcc_lo, 1, v9
	s_wait_xcnt 0x0
	v_cmpx_eq_u32_e32 1, v9
	s_cbranch_execz .LBB6_1431
; %bb.1430:                             ;   in Loop: Header=BB6_1413 Depth=2
	flat_load_b32 v14, v[16:17] offset:4 scope:SCOPE_SYS
	s_wait_loadcnt_dscnt 0x0
	v_ashrrev_i32_e32 v15, 31, v14
	s_delay_alu instid0(VALU_DEP_1)
	v_lshrrev_b64 v[14:15], 1, v[14:15]
.LBB6_1431:                             ;   in Loop: Header=BB6_1413 Depth=2
	s_wait_xcnt 0x0
	s_or_b32 exec_lo, exec_lo, s60
	s_delay_alu instid0(SALU_CYCLE_1)
	s_or_not1_b32 s13, vcc_lo, exec_lo
.LBB6_1432:                             ;   in Loop: Header=BB6_1413 Depth=2
	s_or_b32 exec_lo, exec_lo, s41
	s_and_saveexec_b32 s41, s13
; %bb.1433:                             ;   in Loop: Header=BB6_1413 Depth=2
	v_mul_u64_e32 v[14:15], v[2:3], v[34:35]
; %bb.1434:                             ;   in Loop: Header=BB6_1413 Depth=2
	s_or_b32 exec_lo, exec_lo, s41
	v_and_b32_e32 v2, 0x2000, v30
	s_delay_alu instid0(VALU_DEP_2)
	v_lshl_add_u64 v[14:15], v[14:15], 1, v[36:37]
	s_mov_b32 s13, exec_lo
	ds_store_b64 v0, v[14:15] offset:720
	v_cmpx_ne_u32_e32 0, v2
	s_cbranch_execz .LBB6_1436
; %bb.1435:                             ;   in Loop: Header=BB6_1413 Depth=2
	ds_load_b64 v[14:15], v0 offset:872
	s_wait_dscnt 0x0
	v_add_nc_u64_e32 v[14:15], 1, v[14:15]
	ds_store_b64 v0, v[14:15] offset:872
.LBB6_1436:                             ;   in Loop: Header=BB6_1413 Depth=2
	s_or_b32 exec_lo, exec_lo, s13
	v_mov_b64_e32 v[114:115], v[12:13]
.LBB6_1437:                             ;   in Loop: Header=BB6_1413 Depth=2
	s_or_b32 exec_lo, exec_lo, s40
	s_and_saveexec_b32 s13, s2
	s_cbranch_execz .LBB6_1456
; %bb.1438:                             ;   in Loop: Header=BB6_1413 Depth=2
	s_and_saveexec_b32 s40, s3
	s_delay_alu instid0(SALU_CYCLE_1)
	s_xor_b32 s40, exec_lo, s40
	s_cbranch_execz .LBB6_1453
; %bb.1439:                             ;   in Loop: Header=BB6_1413 Depth=2
	s_and_saveexec_b32 s41, s6
	s_cbranch_execz .LBB6_1452
; %bb.1440:                             ;   in Loop: Header=BB6_1413 Depth=2
	s_mov_b32 s61, exec_lo
	s_mov_b32 s60, exec_lo
	v_mbcnt_lo_u32_b32 v2, s61, 0
	global_wb scope:SCOPE_DEV
	s_wait_storecnt 0x0
	s_wait_loadcnt_dscnt 0x0
	global_inv scope:SCOPE_DEV
	v_cmpx_eq_u32_e32 0, v2
	s_cbranch_execz .LBB6_1442
; %bb.1441:                             ;   in Loop: Header=BB6_1413 Depth=2
	s_bcnt1_i32_b32 s61, s61
	s_delay_alu instid0(SALU_CYCLE_1)
	v_mov_b32_e32 v2, s61
	s_wait_loadcnt 0x0
	ds_add_u64 v0, v[2:3]
	s_trap 2
.LBB6_1442:                             ;   in Loop: Header=BB6_1413 Depth=2
	s_or_b32 exec_lo, exec_lo, s60
	s_trap 2
	ds_load_b64 v[12:13], v0
	s_wait_dscnt 0x0
	v_add_nc_u64_e32 v[48:49], v[48:49], v[52:53]
	s_mov_b32 s60, exec_lo
	s_delay_alu instid0(VALU_DEP_1)
	v_cmpx_lt_u64_e64 v[12:13], v[48:49]
	s_cbranch_execz .LBB6_1451
; %bb.1443:                             ;   in Loop: Header=BB6_1413 Depth=2
	s_mov_b32 s61, 0
	s_mov_b32 s72, 0
                                        ; implicit-def: $sgpr62
                                        ; implicit-def: $sgpr63
	s_branch .LBB6_1445
.LBB6_1444:                             ;   in Loop: Header=BB6_1445 Depth=3
	s_or_b32 exec_lo, exec_lo, s74
	s_delay_alu instid0(SALU_CYCLE_1) | instskip(NEXT) | instid1(SALU_CYCLE_1)
	s_and_b32 s73, exec_lo, s75
	s_or_b32 s61, s73, s61
	s_and_not1_b32 s62, s62, exec_lo
	s_and_b32 s73, s63, exec_lo
	s_delay_alu instid0(SALU_CYCLE_1)
	s_or_b32 s62, s62, s73
	s_and_not1_b32 exec_lo, exec_lo, s61
	s_cbranch_execz .LBB6_1449
.LBB6_1445:                             ;   Parent Loop BB6_47 Depth=1
                                        ;     Parent Loop BB6_1413 Depth=2
                                        ; =>    This Inner Loop Header: Depth=3
	s_add_co_i32 s72, s72, 1
	s_delay_alu instid0(SALU_CYCLE_1) | instskip(SKIP_1) | instid1(SALU_CYCLE_1)
	s_cmp_lg_u32 s72, 0x2710
	s_cselect_b32 s73, -1, 0
	s_and_b32 vcc_lo, exec_lo, s73
	s_cbranch_vccz .LBB6_1447
; %bb.1446:                             ;   in Loop: Header=BB6_1445 Depth=3
	s_mov_b32 s75, -1
	s_or_b32 s63, s63, exec_lo
	s_and_saveexec_b32 s74, s73
	s_cbranch_execz .LBB6_1444
	s_branch .LBB6_1448
.LBB6_1447:                             ;   in Loop: Header=BB6_1445 Depth=3
	s_trap 2
	ds_load_b64 v[12:13], v0
	s_and_not1_b32 s73, s73, exec_lo
	s_mov_b32 s72, 0
	s_wait_loadcnt_dscnt 0x0
	flat_load_b32 v2, v[12:13] scope:SCOPE_SYS
	s_wait_loadcnt_dscnt 0x0
	global_inv scope:SCOPE_SYS
	v_cmp_eq_u32_e32 vcc_lo, 0, v2
	s_and_b32 s74, vcc_lo, exec_lo
	s_delay_alu instid0(SALU_CYCLE_1)
	s_or_b32 s73, s73, s74
	s_mov_b32 s75, -1
	s_or_b32 s63, s63, exec_lo
	s_and_saveexec_b32 s74, s73
	s_cbranch_execz .LBB6_1444
.LBB6_1448:                             ;   in Loop: Header=BB6_1445 Depth=3
	s_sleep 1
	s_trap 2
	ds_load_b64 v[12:13], v0
	s_wait_dscnt 0x0
	s_and_not1_b32 s63, s63, exec_lo
	v_cmp_ge_u64_e32 vcc_lo, v[12:13], v[48:49]
	s_or_not1_b32 s75, vcc_lo, exec_lo
	s_branch .LBB6_1444
.LBB6_1449:                             ;   in Loop: Header=BB6_1413 Depth=2
	s_or_b32 exec_lo, exec_lo, s61
	s_and_saveexec_b32 s61, s62
	s_delay_alu instid0(SALU_CYCLE_1)
	s_xor_b32 s61, exec_lo, s61
	s_cbranch_execz .LBB6_1451
; %bb.1450:                             ;   in Loop: Header=BB6_1413 Depth=2
	ds_store_b32 v0, v79
	s_trap 2
.LBB6_1451:                             ;   in Loop: Header=BB6_1413 Depth=2
	s_or_b32 exec_lo, exec_lo, s60
	;;#ASMSTART
	s_wakeup
	;;#ASMEND
.LBB6_1452:                             ;   in Loop: Header=BB6_1413 Depth=2
	s_or_b32 exec_lo, exec_lo, s41
.LBB6_1453:                             ;   in Loop: Header=BB6_1413 Depth=2
	s_and_not1_saveexec_b32 s40, s40
	s_cbranch_execz .LBB6_1455
; %bb.1454:                             ;   in Loop: Header=BB6_1413 Depth=2
	global_wb scope:SCOPE_DEV
	s_wait_storecnt 0x0
	s_wait_loadcnt_dscnt 0x0
	global_inv scope:SCOPE_DEV
	s_barrier_signal -1
	s_barrier_wait -1
.LBB6_1455:                             ;   in Loop: Header=BB6_1413 Depth=2
	s_or_b32 exec_lo, exec_lo, s40
.LBB6_1456:                             ;   in Loop: Header=BB6_1413 Depth=2
	s_delay_alu instid0(SALU_CYCLE_1) | instskip(SKIP_4) | instid1(VALU_DEP_1)
	s_or_b32 exec_lo, exec_lo, s13
	s_trap 2
	ds_load_b32 v9, v0
	v_and_b32_e32 v2, 0x4000, v30
	s_xor_b32 s13, s1, -1
	v_cmp_ne_u32_e32 vcc_lo, 0, v2
	s_and_b32 s40, s13, vcc_lo
	s_delay_alu instid0(SALU_CYCLE_1)
	s_and_saveexec_b32 s13, s40
	s_cbranch_execz .LBB6_1475
; %bb.1457:                             ;   in Loop: Header=BB6_1413 Depth=2
	s_and_saveexec_b32 s40, s3
	s_delay_alu instid0(SALU_CYCLE_1)
	s_xor_b32 s40, exec_lo, s40
	s_cbranch_execz .LBB6_1472
; %bb.1458:                             ;   in Loop: Header=BB6_1413 Depth=2
	s_and_saveexec_b32 s41, s6
	s_cbranch_execz .LBB6_1471
; %bb.1459:                             ;   in Loop: Header=BB6_1413 Depth=2
	s_mov_b32 s61, exec_lo
	s_mov_b32 s60, exec_lo
	v_mbcnt_lo_u32_b32 v2, s61, 0
	global_wb scope:SCOPE_DEV
	s_wait_storecnt 0x0
	s_wait_loadcnt_dscnt 0x0
	global_inv scope:SCOPE_DEV
	v_cmpx_eq_u32_e32 0, v2
	s_cbranch_execz .LBB6_1461
; %bb.1460:                             ;   in Loop: Header=BB6_1413 Depth=2
	s_bcnt1_i32_b32 s61, s61
	s_delay_alu instid0(SALU_CYCLE_1)
	v_mov_b32_e32 v2, s61
	s_wait_loadcnt 0x0
	ds_add_u64 v0, v[2:3]
	s_trap 2
.LBB6_1461:                             ;   in Loop: Header=BB6_1413 Depth=2
	s_or_b32 exec_lo, exec_lo, s60
	s_trap 2
	ds_load_b64 v[12:13], v0
	s_wait_dscnt 0x0
	v_add_nc_u64_e32 v[48:49], v[48:49], v[52:53]
	s_mov_b32 s60, exec_lo
	s_delay_alu instid0(VALU_DEP_1)
	v_cmpx_lt_u64_e64 v[12:13], v[48:49]
	s_cbranch_execz .LBB6_1470
; %bb.1462:                             ;   in Loop: Header=BB6_1413 Depth=2
	s_mov_b32 s61, 0
	s_mov_b32 s72, 0
                                        ; implicit-def: $sgpr62
                                        ; implicit-def: $sgpr63
	s_branch .LBB6_1464
.LBB6_1463:                             ;   in Loop: Header=BB6_1464 Depth=3
	s_or_b32 exec_lo, exec_lo, s74
	s_delay_alu instid0(SALU_CYCLE_1) | instskip(NEXT) | instid1(SALU_CYCLE_1)
	s_and_b32 s73, exec_lo, s75
	s_or_b32 s61, s73, s61
	s_and_not1_b32 s62, s62, exec_lo
	s_and_b32 s73, s63, exec_lo
	s_delay_alu instid0(SALU_CYCLE_1)
	s_or_b32 s62, s62, s73
	s_and_not1_b32 exec_lo, exec_lo, s61
	s_cbranch_execz .LBB6_1468
.LBB6_1464:                             ;   Parent Loop BB6_47 Depth=1
                                        ;     Parent Loop BB6_1413 Depth=2
                                        ; =>    This Inner Loop Header: Depth=3
	s_add_co_i32 s72, s72, 1
	s_delay_alu instid0(SALU_CYCLE_1) | instskip(SKIP_1) | instid1(SALU_CYCLE_1)
	s_cmp_lg_u32 s72, 0x2710
	s_cselect_b32 s73, -1, 0
	s_and_b32 vcc_lo, exec_lo, s73
	s_cbranch_vccz .LBB6_1466
; %bb.1465:                             ;   in Loop: Header=BB6_1464 Depth=3
	s_mov_b32 s75, -1
	s_or_b32 s63, s63, exec_lo
	s_and_saveexec_b32 s74, s73
	s_cbranch_execz .LBB6_1463
	s_branch .LBB6_1467
.LBB6_1466:                             ;   in Loop: Header=BB6_1464 Depth=3
	s_trap 2
	ds_load_b64 v[12:13], v0
	s_and_not1_b32 s73, s73, exec_lo
	s_mov_b32 s72, 0
	s_wait_loadcnt_dscnt 0x0
	flat_load_b32 v2, v[12:13] scope:SCOPE_SYS
	s_wait_loadcnt_dscnt 0x0
	global_inv scope:SCOPE_SYS
	v_cmp_eq_u32_e32 vcc_lo, 0, v2
	s_and_b32 s74, vcc_lo, exec_lo
	s_delay_alu instid0(SALU_CYCLE_1)
	s_or_b32 s73, s73, s74
	s_mov_b32 s75, -1
	s_or_b32 s63, s63, exec_lo
	s_and_saveexec_b32 s74, s73
	s_cbranch_execz .LBB6_1463
.LBB6_1467:                             ;   in Loop: Header=BB6_1464 Depth=3
	s_sleep 1
	s_trap 2
	ds_load_b64 v[12:13], v0
	s_wait_dscnt 0x0
	s_and_not1_b32 s63, s63, exec_lo
	v_cmp_ge_u64_e32 vcc_lo, v[12:13], v[48:49]
	s_or_not1_b32 s75, vcc_lo, exec_lo
	s_branch .LBB6_1463
.LBB6_1468:                             ;   in Loop: Header=BB6_1413 Depth=2
	s_or_b32 exec_lo, exec_lo, s61
	s_and_saveexec_b32 s61, s62
	s_delay_alu instid0(SALU_CYCLE_1)
	s_xor_b32 s61, exec_lo, s61
	s_cbranch_execz .LBB6_1470
; %bb.1469:                             ;   in Loop: Header=BB6_1413 Depth=2
	ds_store_b32 v0, v79
	s_trap 2
.LBB6_1470:                             ;   in Loop: Header=BB6_1413 Depth=2
	s_or_b32 exec_lo, exec_lo, s60
	;;#ASMSTART
	s_wakeup
	;;#ASMEND
.LBB6_1471:                             ;   in Loop: Header=BB6_1413 Depth=2
	s_or_b32 exec_lo, exec_lo, s41
.LBB6_1472:                             ;   in Loop: Header=BB6_1413 Depth=2
	s_and_not1_saveexec_b32 s40, s40
	s_cbranch_execz .LBB6_1474
; %bb.1473:                             ;   in Loop: Header=BB6_1413 Depth=2
	global_wb scope:SCOPE_DEV
	s_wait_storecnt 0x0
	s_wait_loadcnt_dscnt 0x0
	global_inv scope:SCOPE_DEV
	s_barrier_signal -1
	s_barrier_wait -1
.LBB6_1474:                             ;   in Loop: Header=BB6_1413 Depth=2
	s_or_b32 exec_lo, exec_lo, s40
.LBB6_1475:                             ;   in Loop: Header=BB6_1413 Depth=2
	s_delay_alu instid0(SALU_CYCLE_1) | instskip(SKIP_3) | instid1(VALU_DEP_1)
	s_or_b32 exec_lo, exec_lo, s13
	s_trap 2
	ds_load_b64 v[12:13], v0
	v_sub_nc_u32_e32 v2, v22, v8
	v_min_i32_e32 v23, v23, v2
	s_wait_dscnt 0x0
	v_cmp_eq_u64_e32 vcc_lo, 0, v[12:13]
	s_cbranch_vccnz .LBB6_1483
; %bb.1476:                             ;   in Loop: Header=BB6_1413 Depth=2
	s_trap 2
	ds_load_b64 v[14:15], v0
	s_wait_dscnt 0x0
	v_cmp_eq_u64_e32 vcc_lo, 0, v[14:15]
	s_cbranch_vccnz .LBB6_1483
; %bb.1477:                             ;   in Loop: Header=BB6_1413 Depth=2
	s_mov_b32 s13, -1
	s_and_saveexec_b32 s40, s11
	s_cbranch_execz .LBB6_1479
; %bb.1478:                             ;   in Loop: Header=BB6_1413 Depth=2
	ds_load_b32 v2, v0 offset:720
	s_wait_dscnt 0x0
	v_and_b32_e32 v2, 15, v2
	s_delay_alu instid0(VALU_DEP_1)
	v_cmp_eq_u32_e32 vcc_lo, 0, v2
	s_or_not1_b32 s13, vcc_lo, exec_lo
.LBB6_1479:                             ;   in Loop: Header=BB6_1413 Depth=2
	s_or_b32 exec_lo, exec_lo, s40
	s_and_saveexec_b32 s40, s7
	s_cbranch_execz .LBB6_1481
; %bb.1480:                             ;   in Loop: Header=BB6_1413 Depth=2
	ds_load_b32 v2, v0 offset:784
	s_wait_dscnt 0x0
	v_and_b32_e32 v2, 15, v2
	s_delay_alu instid0(VALU_DEP_1) | instskip(SKIP_3) | instid1(SALU_CYCLE_1)
	v_cmp_eq_u32_e32 vcc_lo, 0, v2
	s_and_b32 s41, s13, vcc_lo
	s_and_not1_b32 s13, s13, exec_lo
	s_and_b32 s41, s41, exec_lo
	s_or_b32 s13, s13, s41
.LBB6_1481:                             ;   in Loop: Header=BB6_1413 Depth=2
	s_or_b32 exec_lo, exec_lo, s40
	v_cmp_eq_u32_e32 vcc_lo, 0, v9
	s_xor_b32 s13, s13, -1
	s_mov_b32 s41, -1
	v_cndmask_b32_e64 v16, 0, 1, s13
	v_dual_mov_b32 v116, 0 :: v_dual_cndmask_b32 v2, 0, v23, vcc_lo
	s_delay_alu instid0(VALU_DEP_2) | instskip(NEXT) | instid1(VALU_DEP_2)
	v_cmp_ne_u32_e32 vcc_lo, 0, v16
	v_lshlrev_b32_e32 v9, 1, v2
	s_cbranch_vccz .LBB6_1488
; %bb.1482:                             ;   in Loop: Header=BB6_1413 Depth=2
	v_dual_mov_b32 v117, v0 :: v_dual_mov_b32 v16, v90
	s_and_saveexec_b32 s13, s41
	s_cbranch_execnz .LBB6_1501
	s_branch .LBB6_1509
.LBB6_1483:                             ;   in Loop: Header=BB6_1413 Depth=2
	s_mov_b32 s13, 0
	s_and_saveexec_b32 s40, s2
	s_cbranch_execnz .LBB6_1510
.LBB6_1484:                             ;   in Loop: Header=BB6_1413 Depth=2
	s_or_b32 exec_lo, exec_lo, s40
	s_and_saveexec_b32 s40, s10
	s_delay_alu instid0(SALU_CYCLE_1)
	s_xor_b32 s40, exec_lo, s40
	s_cbranch_execz .LBB6_1528
.LBB6_1485:                             ;   in Loop: Header=BB6_1413 Depth=2
	v_and_b32_e32 v2, 16, v30
	s_delay_alu instid0(VALU_DEP_1) | instskip(SKIP_1) | instid1(SALU_CYCLE_1)
	v_cmp_ne_u32_e32 vcc_lo, 0, v2
	s_and_b32 s41, vcc_lo, s13
	s_and_saveexec_b32 s13, s41
	s_cbranch_execz .LBB6_1487
; %bb.1486:                             ;   in Loop: Header=BB6_1413 Depth=2
	global_wb scope:SCOPE_SYS
	s_wait_storecnt 0x0
	s_wait_loadcnt_dscnt 0x0
	global_inv scope:SCOPE_SYS
.LBB6_1487:                             ;   in Loop: Header=BB6_1413 Depth=2
	s_or_b32 exec_lo, exec_lo, s13
	s_and_not1_saveexec_b32 s13, s40
	s_cbranch_execz .LBB6_1547
	s_branch .LBB6_1529
.LBB6_1488:                             ;   in Loop: Header=BB6_1413 Depth=2
	s_delay_alu instid0(VALU_DEP_1) | instskip(SKIP_1) | instid1(VALU_DEP_1)
	v_ashrrev_i32_e32 v16, 31, v9
	s_mov_b32 s13, exec_lo
	v_lshrrev_b32_e32 v16, 21, v16
	s_delay_alu instid0(VALU_DEP_1) | instskip(NEXT) | instid1(VALU_DEP_1)
	v_add_nc_u32_e32 v16, v9, v16
	v_ashrrev_i32_e32 v21, 11, v16
	s_delay_alu instid0(VALU_DEP_1) | instskip(NEXT) | instid1(VALU_DEP_1)
	v_sub_nc_u32_e32 v20, v21, v90
	v_cmpx_lt_i32_e32 0, v20
	s_cbranch_execz .LBB6_1492
; %bb.1489:                             ;   in Loop: Header=BB6_1413 Depth=2
	v_mov_b64_e32 v[16:17], v[14:15]
	v_mov_b64_e32 v[18:19], v[12:13]
	s_mov_b32 s40, 0
.LBB6_1490:                             ;   Parent Loop BB6_47 Depth=1
                                        ;     Parent Loop BB6_1413 Depth=2
                                        ; =>    This Inner Loop Header: Depth=3
	s_delay_alu instid0(VALU_DEP_1) | instskip(SKIP_1) | instid1(VALU_DEP_4)
	v_add_nc_u64_e32 v[56:57], v[98:99], v[18:19]
	v_sub_nc_u32_e32 v20, v20, v52
	v_add_nc_u64_e32 v[60:61], v[98:99], v[16:17]
	v_add_nc_u64_e32 v[18:19], v[18:19], v[68:69]
	;; [unrolled: 1-line block ×3, first 2 shown]
	s_clause 0x3
	global_load_b128 v[116:119], v[56:57], off th:TH_LOAD_NT
	global_load_b128 v[40:43], v[56:57], off offset:512 th:TH_LOAD_NT
	global_load_b128 v[44:47], v[56:57], off offset:1024 th:TH_LOAD_NT
	;; [unrolled: 1-line block ×3, first 2 shown]
	v_cmp_gt_i32_e32 vcc_lo, 1, v20
	s_wait_loadcnt 0x3
	global_store_b128 v[60:61], v[116:119], off th:TH_STORE_NT
	s_wait_loadcnt 0x2
	global_store_b128 v[60:61], v[40:43], off offset:512 th:TH_STORE_NT
	s_wait_loadcnt 0x1
	global_store_b128 v[60:61], v[44:47], off offset:1024 th:TH_STORE_NT
	;; [unrolled: 2-line block ×3, first 2 shown]
	s_or_b32 s40, vcc_lo, s40
	s_wait_xcnt 0x0
	s_and_not1_b32 exec_lo, exec_lo, s40
	s_cbranch_execnz .LBB6_1490
; %bb.1491:                             ;   in Loop: Header=BB6_1413 Depth=2
	s_or_b32 exec_lo, exec_lo, s40
.LBB6_1492:                             ;   in Loop: Header=BB6_1413 Depth=2
	s_delay_alu instid0(SALU_CYCLE_1) | instskip(SKIP_3) | instid1(VALU_DEP_1)
	s_or_b32 exec_lo, exec_lo, s13
	v_dual_lshlrev_b32 v18, 11, v21 :: v_dual_mov_b32 v116, 0
	s_mov_b32 s41, 0
	s_mov_b32 s40, exec_lo
                                        ; implicit-def: $vgpr117
                                        ; implicit-def: $vgpr16
	v_cmpx_ne_u32_e64 v9, v18
	s_cbranch_execz .LBB6_1500
; %bb.1493:                             ;   in Loop: Header=BB6_1413 Depth=2
	v_dual_lshlrev_b32 v16, 5, v20 :: v_dual_sub_nc_u32 v116, v9, v18
	s_mov_b32 s41, exec_lo
	s_delay_alu instid0(VALU_DEP_1) | instskip(NEXT) | instid1(VALU_DEP_2)
	v_sub_nc_u32_e32 v16, v91, v16
	v_ashrrev_i32_e32 v19, 31, v116
	s_delay_alu instid0(VALU_DEP_1) | instskip(NEXT) | instid1(VALU_DEP_1)
	v_dual_ashrrev_i32 v17, 31, v16 :: v_dual_lshrrev_b32 v19, 23, v19
	v_lshrrev_b32_e32 v17, 27, v17
	s_delay_alu instid0(VALU_DEP_1) | instskip(NEXT) | instid1(VALU_DEP_3)
	v_add_nc_u32_e32 v17, v16, v17
	v_add_nc_u32_e32 v117, v116, v19
	s_delay_alu instid0(VALU_DEP_2) | instskip(SKIP_1) | instid1(VALU_DEP_3)
	v_and_b32_e32 v20, 0xffffffe0, v17
	v_ashrrev_i32_e32 v17, 5, v17
	v_and_b32_e32 v19, 0xfffffe00, v117
	s_delay_alu instid0(VALU_DEP_3) | instskip(NEXT) | instid1(VALU_DEP_1)
	v_dual_ashrrev_i32 v117, 9, v117 :: v_dual_sub_nc_u32 v20, v16, v20
	v_dual_sub_nc_u32 v21, v116, v19 :: v_dual_lshlrev_b32 v16, 4, v20
	s_delay_alu instid0(VALU_DEP_1) | instskip(NEXT) | instid1(VALU_DEP_2)
	v_cmp_lt_i32_e32 vcc_lo, 15, v21
	v_lshl_add_u32 v16, v17, 9, v16
	s_delay_alu instid0(VALU_DEP_4) | instskip(NEXT) | instid1(VALU_DEP_1)
	v_add_co_ci_u32_e64 v117, null, 0, v117, vcc_lo
	v_dual_sub_nc_u32 v116, v116, v16 :: v_dual_sub_nc_u32 v118, v117, v17
	s_delay_alu instid0(VALU_DEP_1)
	v_cmpx_lt_i32_e32 15, v116
	s_cbranch_execz .LBB6_1497
; %bb.1494:                             ;   in Loop: Header=BB6_1413 Depth=2
	v_add_nc_u32_e32 v16, v16, v18
	s_mov_b32 s60, 0
	s_delay_alu instid0(VALU_DEP_1)
	v_ashrrev_i32_e32 v17, 31, v16
.LBB6_1495:                             ;   Parent Loop BB6_47 Depth=1
                                        ;     Parent Loop BB6_1413 Depth=2
                                        ; =>    This Inner Loop Header: Depth=3
	s_delay_alu instid0(VALU_DEP_1) | instskip(SKIP_3) | instid1(VALU_DEP_3)
	v_add_nc_u64_e32 v[40:41], v[12:13], v[16:17]
	v_dual_sub_nc_u32 v116, v116, v70 :: v_dual_sub_nc_u32 v118, v118, v52
	v_add_nc_u64_e32 v[44:45], v[14:15], v[16:17]
	v_add_nc_u64_e32 v[16:17], v[16:17], v[70:71]
	v_cmp_gt_i32_e64 s13, 16, v116
	global_load_b128 v[40:43], v[40:41], off th:TH_LOAD_NT
	s_or_b32 s60, s13, s60
	s_wait_loadcnt 0x0
	global_store_b128 v[44:45], v[40:43], off th:TH_STORE_NT
	s_wait_xcnt 0x0
	s_and_not1_b32 exec_lo, exec_lo, s60
	s_cbranch_execnz .LBB6_1495
; %bb.1496:                             ;   in Loop: Header=BB6_1413 Depth=2
	s_or_b32 exec_lo, exec_lo, s60
.LBB6_1497:                             ;   in Loop: Header=BB6_1413 Depth=2
	s_delay_alu instid0(SALU_CYCLE_1) | instskip(SKIP_3) | instid1(VALU_DEP_1)
	s_or_b32 exec_lo, exec_lo, s41
	v_dual_mov_b32 v116, 0 :: v_dual_bitop2_b32 v17, 14, v9 bitop3:0x40
	s_mov_b32 s41, 0
	s_mov_b32 s60, exec_lo
                                        ; implicit-def: $vgpr117
                                        ; implicit-def: $vgpr16
	v_cndmask_b32_e32 v9, v21, v17, vcc_lo
	s_delay_alu instid0(VALU_DEP_1)
	v_cmpx_ne_u32_e32 0, v9
	s_cbranch_execz .LBB6_1499
; %bb.1498:                             ;   in Loop: Header=BB6_1413 Depth=2
	v_cmp_lt_i32_e64 s13, 0, v118
	s_mov_b32 s41, exec_lo
	v_dual_sub_nc_u32 v17, v21, v17 :: v_dual_cndmask_b32 v16, 0, v52, s13
	s_delay_alu instid0(VALU_DEP_1) | instskip(NEXT) | instid1(VALU_DEP_1)
	v_dual_cndmask_b32 v17, 0, v17 :: v_dual_sub_nc_u32 v16, v16, v118
	v_add3_u32 v116, v19, v18, v17
	s_delay_alu instid0(VALU_DEP_2) | instskip(NEXT) | instid1(VALU_DEP_1)
	v_lshl_add_u32 v117, v16, 5, v20
	v_ashrrev_i32_e32 v16, 31, v117
	s_delay_alu instid0(VALU_DEP_1) | instskip(NEXT) | instid1(VALU_DEP_1)
	v_lshrrev_b32_e32 v16, 27, v16
	v_add_nc_u32_e32 v16, v117, v16
	s_delay_alu instid0(VALU_DEP_1)
	v_ashrrev_i32_e32 v16, 5, v16
.LBB6_1499:                             ;   in Loop: Header=BB6_1413 Depth=2
	s_or_b32 exec_lo, exec_lo, s60
	s_delay_alu instid0(SALU_CYCLE_1)
	s_and_b32 s41, s41, exec_lo
.LBB6_1500:                             ;   in Loop: Header=BB6_1413 Depth=2
	s_or_b32 exec_lo, exec_lo, s40
	s_and_saveexec_b32 s13, s41
	s_cbranch_execz .LBB6_1509
.LBB6_1501:                             ;   in Loop: Header=BB6_1413 Depth=2
	v_ashrrev_i32_e32 v17, 31, v9
	s_mov_b32 s40, exec_lo
	s_delay_alu instid0(VALU_DEP_1) | instskip(NEXT) | instid1(VALU_DEP_1)
	v_lshrrev_b32_e32 v17, 23, v17
	v_add_nc_u32_e32 v17, v9, v17
	s_delay_alu instid0(VALU_DEP_1) | instskip(SKIP_1) | instid1(VALU_DEP_1)
	v_ashrrev_i32_e32 v40, 9, v17
	v_ashrrev_i32_e32 v17, 31, v117
	v_dual_lshrrev_b32 v119, 27, v17 :: v_dual_sub_nc_u32 v118, v40, v16
	s_delay_alu instid0(VALU_DEP_1)
	v_cmpx_lt_i32_e32 0, v118
	s_cbranch_execz .LBB6_1505
; %bb.1502:                             ;   in Loop: Header=BB6_1413 Depth=2
	s_delay_alu instid0(VALU_DEP_2) | instskip(SKIP_3) | instid1(VALU_DEP_3)
	v_dual_add_nc_u32 v17, v117, v119 :: v_dual_lshlrev_b32 v16, 9, v16
	v_mov_b64_e32 v[18:19], v[14:15]
	v_mov_b64_e32 v[20:21], v[12:13]
	s_mov_b32 s41, 0
	v_and_b32_e32 v17, 0x7fffffe0, v17
	s_delay_alu instid0(VALU_DEP_1) | instskip(NEXT) | instid1(VALU_DEP_1)
	v_sub_nc_u32_e32 v17, v117, v17
	v_lshlrev_b32_e32 v17, 1, v17
	s_delay_alu instid0(VALU_DEP_1) | instskip(NEXT) | instid1(VALU_DEP_1)
	v_add3_u32 v16, v17, v116, v16
	v_ashrrev_i32_e32 v17, 31, v16
.LBB6_1503:                             ;   Parent Loop BB6_47 Depth=1
                                        ;     Parent Loop BB6_1413 Depth=2
                                        ; =>    This Inner Loop Header: Depth=3
	s_delay_alu instid0(VALU_DEP_1)
	v_add_nc_u64_e32 v[42:43], v[16:17], v[20:21]
	v_sub_nc_u32_e32 v118, v118, v52
	v_add_nc_u64_e32 v[20:21], v[20:21], v[70:71]
	s_clause 0x7
	flat_load_u16 v41, v[42:43] th:TH_LOAD_NT
	flat_load_u16 v44, v[42:43] offset:64 th:TH_LOAD_NT
	flat_load_u16 v45, v[42:43] offset:128 th:TH_LOAD_NT
	;; [unrolled: 1-line block ×7, first 2 shown]
	s_wait_xcnt 0x0
	v_add_nc_u64_e32 v[42:43], v[16:17], v[18:19]
	v_add_nc_u64_e32 v[18:19], v[18:19], v[70:71]
	v_cmp_gt_i32_e32 vcc_lo, 1, v118
	s_wait_loadcnt_dscnt 0x707
	flat_store_b16 v[42:43], v41 th:TH_STORE_NT
	s_wait_loadcnt_dscnt 0x607
	flat_store_b16 v[42:43], v44 offset:64 th:TH_STORE_NT
	s_wait_loadcnt_dscnt 0x507
	flat_store_b16 v[42:43], v45 offset:128 th:TH_STORE_NT
	s_wait_loadcnt_dscnt 0x407
	flat_store_b16 v[42:43], v46 offset:192 th:TH_STORE_NT
	s_wait_loadcnt_dscnt 0x307
	flat_store_b16 v[42:43], v47 offset:256 th:TH_STORE_NT
	s_wait_loadcnt_dscnt 0x207
	flat_store_b16 v[42:43], v56 offset:320 th:TH_STORE_NT
	s_wait_loadcnt_dscnt 0x107
	flat_store_b16 v[42:43], v57 offset:384 th:TH_STORE_NT
	s_wait_loadcnt_dscnt 0x7
	flat_store_b16 v[42:43], v58 offset:448 th:TH_STORE_NT
	s_or_b32 s41, vcc_lo, s41
	s_wait_xcnt 0x0
	s_and_not1_b32 exec_lo, exec_lo, s41
	s_cbranch_execnz .LBB6_1503
; %bb.1504:                             ;   in Loop: Header=BB6_1413 Depth=2
	s_or_b32 exec_lo, exec_lo, s41
.LBB6_1505:                             ;   in Loop: Header=BB6_1413 Depth=2
	s_delay_alu instid0(SALU_CYCLE_1) | instskip(SKIP_1) | instid1(VALU_DEP_1)
	s_or_b32 exec_lo, exec_lo, s40
	v_lshlrev_b32_e32 v16, 9, v40
	v_cmp_ne_u32_e32 vcc_lo, v9, v16
	s_and_b32 exec_lo, exec_lo, vcc_lo
	s_cbranch_execz .LBB6_1509
; %bb.1506:                             ;   in Loop: Header=BB6_1413 Depth=2
	v_dual_add_nc_u32 v17, v117, v119 :: v_dual_lshlrev_b32 v18, 5, v118
	s_delay_alu instid0(VALU_DEP_1) | instskip(NEXT) | instid1(VALU_DEP_1)
	v_and_b32_e32 v17, 0xffffffe0, v17
	v_sub_nc_u32_e32 v17, v117, v17
	s_delay_alu instid0(VALU_DEP_1) | instskip(NEXT) | instid1(VALU_DEP_1)
	v_sub_nc_u32_e32 v17, v17, v18
	v_ashrrev_i32_e32 v18, 31, v17
	s_delay_alu instid0(VALU_DEP_1) | instskip(NEXT) | instid1(VALU_DEP_1)
	v_lshrrev_b32_e32 v18, 27, v18
	v_add_nc_u32_e32 v18, v17, v18
	s_delay_alu instid0(VALU_DEP_1) | instskip(NEXT) | instid1(VALU_DEP_1)
	v_and_b32_e32 v19, 0x7fffffe0, v18
	v_dual_lshlrev_b32 v18, 1, v18 :: v_dual_sub_nc_u32 v17, v17, v19
	s_delay_alu instid0(VALU_DEP_1) | instskip(NEXT) | instid1(VALU_DEP_2)
	v_and_b32_e32 v18, 0xffffffc0, v18
	v_lshlrev_b32_e32 v17, 1, v17
	s_delay_alu instid0(VALU_DEP_1) | instskip(NEXT) | instid1(VALU_DEP_1)
	v_add3_u32 v16, v18, v17, v16
	v_sub_nc_u32_e32 v9, v9, v16
	s_delay_alu instid0(VALU_DEP_1)
	v_cmp_lt_i32_e32 vcc_lo, 1, v9
	s_and_b32 exec_lo, exec_lo, vcc_lo
	s_cbranch_execz .LBB6_1509
; %bb.1507:                             ;   in Loop: Header=BB6_1413 Depth=2
	v_add_nc_u32_e32 v16, v16, v116
	s_mov_b32 s40, 0
	s_delay_alu instid0(VALU_DEP_1)
	v_ashrrev_i32_e32 v17, 31, v16
.LBB6_1508:                             ;   Parent Loop BB6_47 Depth=1
                                        ;     Parent Loop BB6_1413 Depth=2
                                        ; =>    This Inner Loop Header: Depth=3
	s_delay_alu instid0(VALU_DEP_1) | instskip(SKIP_1) | instid1(VALU_DEP_1)
	v_add_nc_u64_e32 v[18:19], v[12:13], v[16:17]
	v_sub_nc_u32_e32 v9, v9, v80
	v_cmp_gt_i32_e32 vcc_lo, 2, v9
	flat_load_u16 v20, v[18:19] th:TH_LOAD_NT
	s_wait_xcnt 0x0
	v_add_nc_u64_e32 v[18:19], v[14:15], v[16:17]
	v_add_nc_u64_e32 v[16:17], v[16:17], v[80:81]
	s_or_b32 s40, vcc_lo, s40
	s_wait_loadcnt_dscnt 0x0
	flat_store_b16 v[18:19], v20 th:TH_STORE_NT
	s_wait_xcnt 0x0
	s_and_not1_b32 exec_lo, exec_lo, s40
	s_cbranch_execnz .LBB6_1508
.LBB6_1509:                             ;   in Loop: Header=BB6_1413 Depth=2
	s_or_b32 exec_lo, exec_lo, s13
	v_cmp_lt_i32_e64 s13, 0, v2
	s_and_saveexec_b32 s40, s2
	s_cbranch_execz .LBB6_1484
.LBB6_1510:                             ;   in Loop: Header=BB6_1413 Depth=2
	s_and_saveexec_b32 s41, s3
	s_delay_alu instid0(SALU_CYCLE_1)
	s_xor_b32 s41, exec_lo, s41
	s_cbranch_execz .LBB6_1525
; %bb.1511:                             ;   in Loop: Header=BB6_1413 Depth=2
	s_and_saveexec_b32 s60, s6
	s_cbranch_execz .LBB6_1524
; %bb.1512:                             ;   in Loop: Header=BB6_1413 Depth=2
	s_mov_b32 s62, exec_lo
	s_mov_b32 s61, exec_lo
	v_mbcnt_lo_u32_b32 v2, s62, 0
	global_wb scope:SCOPE_DEV
	s_wait_storecnt 0x0
	s_wait_loadcnt_dscnt 0x0
	global_inv scope:SCOPE_DEV
	v_cmpx_eq_u32_e32 0, v2
	s_cbranch_execz .LBB6_1514
; %bb.1513:                             ;   in Loop: Header=BB6_1413 Depth=2
	s_bcnt1_i32_b32 s62, s62
	s_delay_alu instid0(SALU_CYCLE_1)
	v_mov_b32_e32 v2, s62
	s_wait_loadcnt 0x0
	ds_add_u64 v0, v[2:3]
	s_trap 2
.LBB6_1514:                             ;   in Loop: Header=BB6_1413 Depth=2
	s_or_b32 exec_lo, exec_lo, s61
	s_trap 2
	ds_load_b64 v[12:13], v0
	s_wait_dscnt 0x0
	v_add_nc_u64_e32 v[48:49], v[48:49], v[52:53]
	s_mov_b32 s61, exec_lo
	s_delay_alu instid0(VALU_DEP_1)
	v_cmpx_lt_u64_e64 v[12:13], v[48:49]
	s_cbranch_execz .LBB6_1523
; %bb.1515:                             ;   in Loop: Header=BB6_1413 Depth=2
	s_mov_b32 s62, 0
	s_mov_b32 s73, 0
                                        ; implicit-def: $sgpr63
                                        ; implicit-def: $sgpr72
	s_branch .LBB6_1517
.LBB6_1516:                             ;   in Loop: Header=BB6_1517 Depth=3
	s_or_b32 exec_lo, exec_lo, s75
	s_delay_alu instid0(SALU_CYCLE_1) | instskip(NEXT) | instid1(SALU_CYCLE_1)
	s_and_b32 s74, exec_lo, s76
	s_or_b32 s62, s74, s62
	s_and_not1_b32 s63, s63, exec_lo
	s_and_b32 s74, s72, exec_lo
	s_delay_alu instid0(SALU_CYCLE_1)
	s_or_b32 s63, s63, s74
	s_and_not1_b32 exec_lo, exec_lo, s62
	s_cbranch_execz .LBB6_1521
.LBB6_1517:                             ;   Parent Loop BB6_47 Depth=1
                                        ;     Parent Loop BB6_1413 Depth=2
                                        ; =>    This Inner Loop Header: Depth=3
	s_add_co_i32 s73, s73, 1
	s_delay_alu instid0(SALU_CYCLE_1) | instskip(SKIP_1) | instid1(SALU_CYCLE_1)
	s_cmp_lg_u32 s73, 0x2710
	s_cselect_b32 s74, -1, 0
	s_and_b32 vcc_lo, exec_lo, s74
	s_cbranch_vccz .LBB6_1519
; %bb.1518:                             ;   in Loop: Header=BB6_1517 Depth=3
	s_mov_b32 s76, -1
	s_or_b32 s72, s72, exec_lo
	s_and_saveexec_b32 s75, s74
	s_cbranch_execz .LBB6_1516
	s_branch .LBB6_1520
.LBB6_1519:                             ;   in Loop: Header=BB6_1517 Depth=3
	s_trap 2
	ds_load_b64 v[12:13], v0
	s_and_not1_b32 s74, s74, exec_lo
	s_mov_b32 s73, 0
	s_wait_loadcnt_dscnt 0x0
	flat_load_b32 v2, v[12:13] scope:SCOPE_SYS
	s_wait_loadcnt_dscnt 0x0
	global_inv scope:SCOPE_SYS
	v_cmp_eq_u32_e32 vcc_lo, 0, v2
	s_and_b32 s75, vcc_lo, exec_lo
	s_delay_alu instid0(SALU_CYCLE_1)
	s_or_b32 s74, s74, s75
	s_mov_b32 s76, -1
	s_or_b32 s72, s72, exec_lo
	s_and_saveexec_b32 s75, s74
	s_cbranch_execz .LBB6_1516
.LBB6_1520:                             ;   in Loop: Header=BB6_1517 Depth=3
	s_sleep 1
	s_trap 2
	ds_load_b64 v[12:13], v0
	s_wait_dscnt 0x0
	s_and_not1_b32 s72, s72, exec_lo
	v_cmp_ge_u64_e32 vcc_lo, v[12:13], v[48:49]
	s_or_not1_b32 s76, vcc_lo, exec_lo
	s_branch .LBB6_1516
.LBB6_1521:                             ;   in Loop: Header=BB6_1413 Depth=2
	s_or_b32 exec_lo, exec_lo, s62
	s_and_saveexec_b32 s62, s63
	s_delay_alu instid0(SALU_CYCLE_1)
	s_xor_b32 s62, exec_lo, s62
	s_cbranch_execz .LBB6_1523
; %bb.1522:                             ;   in Loop: Header=BB6_1413 Depth=2
	ds_store_b32 v0, v79
	s_trap 2
.LBB6_1523:                             ;   in Loop: Header=BB6_1413 Depth=2
	s_or_b32 exec_lo, exec_lo, s61
	;;#ASMSTART
	s_wakeup
	;;#ASMEND
.LBB6_1524:                             ;   in Loop: Header=BB6_1413 Depth=2
	s_or_b32 exec_lo, exec_lo, s60
.LBB6_1525:                             ;   in Loop: Header=BB6_1413 Depth=2
	s_and_not1_saveexec_b32 s41, s41
	s_cbranch_execz .LBB6_1527
; %bb.1526:                             ;   in Loop: Header=BB6_1413 Depth=2
	global_wb scope:SCOPE_DEV
	s_wait_storecnt 0x0
	s_wait_loadcnt_dscnt 0x0
	global_inv scope:SCOPE_DEV
	s_barrier_signal -1
	s_barrier_wait -1
.LBB6_1527:                             ;   in Loop: Header=BB6_1413 Depth=2
	s_or_b32 exec_lo, exec_lo, s41
	s_delay_alu instid0(SALU_CYCLE_1) | instskip(SKIP_1) | instid1(SALU_CYCLE_1)
	s_or_b32 exec_lo, exec_lo, s40
	s_and_saveexec_b32 s40, s10
	s_xor_b32 s40, exec_lo, s40
	s_cbranch_execnz .LBB6_1485
.LBB6_1528:                             ;   in Loop: Header=BB6_1413 Depth=2
	s_and_not1_saveexec_b32 s13, s40
	s_cbranch_execz .LBB6_1547
.LBB6_1529:                             ;   in Loop: Header=BB6_1413 Depth=2
	s_and_saveexec_b32 s40, s3
	s_delay_alu instid0(SALU_CYCLE_1)
	s_xor_b32 s40, exec_lo, s40
	s_cbranch_execz .LBB6_1544
; %bb.1530:                             ;   in Loop: Header=BB6_1413 Depth=2
	s_and_saveexec_b32 s41, s6
	s_cbranch_execz .LBB6_1543
; %bb.1531:                             ;   in Loop: Header=BB6_1413 Depth=2
	s_mov_b32 s61, exec_lo
	s_mov_b32 s60, exec_lo
	v_mbcnt_lo_u32_b32 v2, s61, 0
	;;#ASMSTART
	s_waitcnt lgkmcnt(0) vmcnt(0)
	;;#ASMEND
	s_delay_alu instid0(VALU_DEP_1)
	v_cmpx_eq_u32_e32 0, v2
	s_cbranch_execz .LBB6_1533
; %bb.1532:                             ;   in Loop: Header=BB6_1413 Depth=2
	s_bcnt1_i32_b32 s61, s61
	s_delay_alu instid0(SALU_CYCLE_1)
	v_mov_b32_e32 v2, s61
	s_wait_storecnt 0x0
	s_wait_loadcnt_dscnt 0x0
	ds_add_u64 v0, v[2:3]
	s_trap 2
.LBB6_1533:                             ;   in Loop: Header=BB6_1413 Depth=2
	s_or_b32 exec_lo, exec_lo, s60
	s_trap 2
	ds_load_b64 v[12:13], v0
	s_wait_dscnt 0x0
	v_add_nc_u64_e32 v[48:49], v[48:49], v[52:53]
	s_mov_b32 s60, exec_lo
	s_delay_alu instid0(VALU_DEP_1)
	v_cmpx_lt_u64_e64 v[12:13], v[48:49]
	s_cbranch_execz .LBB6_1542
; %bb.1534:                             ;   in Loop: Header=BB6_1413 Depth=2
	s_mov_b32 s61, 0
	s_mov_b32 s72, 0
                                        ; implicit-def: $sgpr62
                                        ; implicit-def: $sgpr63
	s_branch .LBB6_1536
.LBB6_1535:                             ;   in Loop: Header=BB6_1536 Depth=3
	s_or_b32 exec_lo, exec_lo, s74
	s_delay_alu instid0(SALU_CYCLE_1) | instskip(NEXT) | instid1(SALU_CYCLE_1)
	s_and_b32 s73, exec_lo, s75
	s_or_b32 s61, s73, s61
	s_and_not1_b32 s62, s62, exec_lo
	s_and_b32 s73, s63, exec_lo
	s_delay_alu instid0(SALU_CYCLE_1)
	s_or_b32 s62, s62, s73
	s_and_not1_b32 exec_lo, exec_lo, s61
	s_cbranch_execz .LBB6_1540
.LBB6_1536:                             ;   Parent Loop BB6_47 Depth=1
                                        ;     Parent Loop BB6_1413 Depth=2
                                        ; =>    This Inner Loop Header: Depth=3
	s_add_co_i32 s72, s72, 1
	s_delay_alu instid0(SALU_CYCLE_1) | instskip(SKIP_1) | instid1(SALU_CYCLE_1)
	s_cmp_lg_u32 s72, 0x2710
	s_cselect_b32 s73, -1, 0
	s_and_b32 vcc_lo, exec_lo, s73
	s_cbranch_vccz .LBB6_1538
; %bb.1537:                             ;   in Loop: Header=BB6_1536 Depth=3
	s_mov_b32 s75, -1
	s_or_b32 s63, s63, exec_lo
	s_and_saveexec_b32 s74, s73
	s_cbranch_execz .LBB6_1535
	s_branch .LBB6_1539
.LBB6_1538:                             ;   in Loop: Header=BB6_1536 Depth=3
	s_trap 2
	ds_load_b64 v[12:13], v0
	s_and_not1_b32 s73, s73, exec_lo
	s_mov_b32 s72, 0
	s_wait_storecnt 0x0
	s_wait_loadcnt_dscnt 0x0
	flat_load_b32 v2, v[12:13] scope:SCOPE_SYS
	s_wait_loadcnt_dscnt 0x0
	global_inv scope:SCOPE_SYS
	v_cmp_eq_u32_e32 vcc_lo, 0, v2
	s_and_b32 s74, vcc_lo, exec_lo
	s_delay_alu instid0(SALU_CYCLE_1)
	s_or_b32 s73, s73, s74
	s_mov_b32 s75, -1
	s_or_b32 s63, s63, exec_lo
	s_and_saveexec_b32 s74, s73
	s_cbranch_execz .LBB6_1535
.LBB6_1539:                             ;   in Loop: Header=BB6_1536 Depth=3
	s_sleep 1
	s_trap 2
	ds_load_b64 v[12:13], v0
	s_wait_dscnt 0x0
	s_and_not1_b32 s63, s63, exec_lo
	v_cmp_ge_u64_e32 vcc_lo, v[12:13], v[48:49]
	s_or_not1_b32 s75, vcc_lo, exec_lo
	s_branch .LBB6_1535
.LBB6_1540:                             ;   in Loop: Header=BB6_1413 Depth=2
	s_or_b32 exec_lo, exec_lo, s61
	s_and_saveexec_b32 s61, s62
	s_delay_alu instid0(SALU_CYCLE_1)
	s_xor_b32 s61, exec_lo, s61
	s_cbranch_execz .LBB6_1542
; %bb.1541:                             ;   in Loop: Header=BB6_1413 Depth=2
	ds_store_b32 v0, v79
	s_trap 2
.LBB6_1542:                             ;   in Loop: Header=BB6_1413 Depth=2
	s_or_b32 exec_lo, exec_lo, s60
	;;#ASMSTART
	s_wakeup
	;;#ASMEND
.LBB6_1543:                             ;   in Loop: Header=BB6_1413 Depth=2
	s_or_b32 exec_lo, exec_lo, s41
.LBB6_1544:                             ;   in Loop: Header=BB6_1413 Depth=2
	s_and_not1_saveexec_b32 s40, s40
	s_cbranch_execz .LBB6_1546
; %bb.1545:                             ;   in Loop: Header=BB6_1413 Depth=2
	;;#ASMSTART
	s_waitcnt lgkmcnt(0) vmcnt(0)
	;;#ASMEND
	s_barrier_signal -1
	s_barrier_wait -1
.LBB6_1546:                             ;   in Loop: Header=BB6_1413 Depth=2
	s_or_b32 exec_lo, exec_lo, s40
.LBB6_1547:                             ;   in Loop: Header=BB6_1413 Depth=2
	s_delay_alu instid0(SALU_CYCLE_1) | instskip(SKIP_2) | instid1(VALU_DEP_1)
	s_or_b32 exec_lo, exec_lo, s13
	v_and_b32_e32 v2, 32, v30
	s_mov_b32 s13, exec_lo
	v_cmpx_ne_u32_e32 0, v2
	s_cbranch_execz .LBB6_1412
; %bb.1548:                             ;   in Loop: Header=BB6_1413 Depth=2
	v_add_nc_u64_e32 v[114:115], 2, v[114:115]
	global_wb scope:SCOPE_SYS
	s_wait_storecnt 0x0
	s_wait_loadcnt_dscnt 0x0
	flat_store_b64 v[32:33], v[114:115] scope:SCOPE_SYS
	s_branch .LBB6_1412
.LBB6_1549:                             ;   in Loop: Header=BB6_47 Depth=1
	s_or_b32 exec_lo, exec_lo, s15
.LBB6_1550:                             ;   in Loop: Header=BB6_47 Depth=1
	s_delay_alu instid0(SALU_CYCLE_1) | instskip(NEXT) | instid1(SALU_CYCLE_1)
	s_or_b32 exec_lo, exec_lo, s14
	s_mov_b32 s14, exec_lo
	v_cmpx_gt_i32_e32 2, v2
	s_cbranch_execz .LBB6_46
; %bb.1551:                             ;   in Loop: Header=BB6_47 Depth=1
	v_cmp_eq_u32_e64 s18, 0, v2
	s_mov_b32 s15, 0
	s_branch .LBB6_1553
.LBB6_1552:                             ;   in Loop: Header=BB6_1553 Depth=2
	s_wait_xcnt 0x0
	s_or_b32 exec_lo, exec_lo, s13
	v_add_nc_u32_e32 v8, v23, v8
	s_mov_b32 s18, 0
	s_and_not1_b32 exec_lo, exec_lo, s15
	s_cbranch_execz .LBB6_45
.LBB6_1553:                             ;   Parent Loop BB6_47 Depth=1
                                        ; =>  This Loop Header: Depth=2
                                        ;       Child Loop BB6_1559 Depth 3
                                        ;       Child Loop BB6_1583 Depth 3
	;; [unrolled: 1-line block ×3, first 2 shown]
	v_and_b32_e32 v2, 4, v30
	s_mov_b32 s27, exec_lo
	s_delay_alu instid0(VALU_DEP_1)
	v_cmpx_ne_u32_e32 0, v2
	s_cbranch_execz .LBB6_1575
; %bb.1554:                             ;   in Loop: Header=BB6_1553 Depth=2
	v_add_nc_u64_e32 v[10:11], 2, v[114:115]
	s_mov_b32 s40, exec_lo
	s_wait_loadcnt_dscnt 0x1
	s_delay_alu instid0(VALU_DEP_1)
	v_cmpx_lt_u64_e64 v[50:51], v[10:11]
	s_cbranch_execz .LBB6_1566
; %bb.1555:                             ;   in Loop: Header=BB6_1553 Depth=2
	v_and_b32_e32 v2, 64, v30
	s_mov_b32 s41, 0
	s_mov_b32 s63, 0
                                        ; implicit-def: $sgpr60
                                        ; implicit-def: $sgpr61
                                        ; implicit-def: $sgpr62
	s_delay_alu instid0(VALU_DEP_1)
	v_cmp_eq_u32_e32 vcc_lo, 0, v2
	s_branch .LBB6_1559
.LBB6_1556:                             ;   in Loop: Header=BB6_1559 Depth=3
	s_wait_loadcnt_dscnt 0x0
	v_cmp_ge_u64_e64 s13, v[50:51], v[10:11]
	s_or_b32 s74, s74, exec_lo
	s_or_not1_b32 s73, s13, exec_lo
.LBB6_1557:                             ;   in Loop: Header=BB6_1559 Depth=3
	s_or_b32 exec_lo, exec_lo, s76
	s_delay_alu instid0(SALU_CYCLE_1)
	s_and_not1_b32 s13, s62, exec_lo
	s_and_b32 s62, s74, exec_lo
	s_and_not1_b32 s61, s61, exec_lo
	s_and_b32 s73, s73, exec_lo
	s_or_b32 s62, s13, s62
	s_or_b32 s61, s61, s73
.LBB6_1558:                             ;   in Loop: Header=BB6_1559 Depth=3
	s_or_b32 exec_lo, exec_lo, s72
	s_delay_alu instid0(SALU_CYCLE_1) | instskip(NEXT) | instid1(SALU_CYCLE_1)
	s_and_b32 s13, exec_lo, s61
	s_or_b32 s41, s13, s41
	s_and_not1_b32 s13, s60, exec_lo
	s_and_b32 s60, s62, exec_lo
	s_delay_alu instid0(SALU_CYCLE_1)
	s_or_b32 s60, s13, s60
	s_and_not1_b32 exec_lo, exec_lo, s41
	s_cbranch_execz .LBB6_1563
.LBB6_1559:                             ;   Parent Loop BB6_47 Depth=1
                                        ;     Parent Loop BB6_1553 Depth=2
                                        ; =>    This Inner Loop Header: Depth=3
	s_sleep 1
	s_wait_loadcnt_dscnt 0x0
	flat_load_b64 v[50:51], v[32:33] scope:SCOPE_SYS
	s_or_b32 s62, s62, exec_lo
	s_or_b32 s61, s61, exec_lo
                                        ; implicit-def: $vgpr2
	s_wait_xcnt 0x0
	s_and_saveexec_b32 s72, vcc_lo
	s_cbranch_execz .LBB6_1558
; %bb.1560:                             ;   in Loop: Header=BB6_1559 Depth=3
	s_cmp_lt_i32 s63, 0x270f
	s_mov_b32 s73, -1
	s_cselect_b32 s75, -1, 0
	s_cmp_gt_i32 s63, 0x270e
	s_cbranch_scc0 .LBB6_1562
; %bb.1561:                             ;   in Loop: Header=BB6_1559 Depth=3
	s_trap 2
	ds_load_b64 v[12:13], v0
	s_and_not1_b32 s63, s75, exec_lo
	s_mov_b32 s74, 0
	s_wait_storecnt 0x0
	s_wait_loadcnt_dscnt 0x0
	flat_load_b32 v2, v[12:13] scope:SCOPE_SYS
	s_wait_loadcnt_dscnt 0x0
	global_inv scope:SCOPE_SYS
	v_cmp_eq_u32_e64 s13, 0, v2
	s_and_b32 s13, s13, exec_lo
	s_delay_alu instid0(SALU_CYCLE_1)
	s_or_b32 s75, s63, s13
	s_mov_b32 s63, 0
	s_and_saveexec_b32 s76, s75
	s_cbranch_execz .LBB6_1557
	s_branch .LBB6_1556
.LBB6_1562:                             ;   in Loop: Header=BB6_1559 Depth=3
	s_add_co_i32 s63, s63, 1
	s_mov_b32 s74, -1
                                        ; implicit-def: $vgpr2
	s_and_saveexec_b32 s76, s75
	s_cbranch_execz .LBB6_1557
	s_branch .LBB6_1556
.LBB6_1563:                             ;   in Loop: Header=BB6_1553 Depth=2
	s_or_b32 exec_lo, exec_lo, s41
	s_xor_b32 s13, s60, -1
	s_delay_alu instid0(SALU_CYCLE_1) | instskip(NEXT) | instid1(SALU_CYCLE_1)
	s_and_saveexec_b32 s41, s13
	s_xor_b32 s13, exec_lo, s41
	s_cbranch_execz .LBB6_1565
; %bb.1564:                             ;   in Loop: Header=BB6_1553 Depth=2
	v_or_b32_e32 v30, 64, v30
	s_wait_storecnt 0x0
	s_wait_loadcnt_dscnt 0x0
	ds_store_b32 v0, v2
	s_trap 2
.LBB6_1565:                             ;   in Loop: Header=BB6_1553 Depth=2
	s_or_b32 exec_lo, exec_lo, s13
.LBB6_1566:                             ;   in Loop: Header=BB6_1553 Depth=2
	s_delay_alu instid0(SALU_CYCLE_1) | instskip(SKIP_3) | instid1(VALU_DEP_1)
	s_or_b32 exec_lo, exec_lo, s40
	v_and_b32_e32 v2, 0x100, v30
	s_mov_b32 s13, -1
	;;#ASMSTART
	s_wakeup
	;;#ASMEND
                                        ; implicit-def: $vgpr12_vgpr13
	v_cmp_ne_u32_e32 vcc_lo, 0, v2
	v_and_b32_e32 v2, 7, v114
	s_and_saveexec_b32 s40, vcc_lo
	s_cbranch_execz .LBB6_1570
; %bb.1567:                             ;   in Loop: Header=BB6_1553 Depth=2
	s_delay_alu instid0(VALU_DEP_1)
	v_mad_nc_u64_u32 v[14:15], v2, 24, v[6:7]
	s_mov_b32 s41, exec_lo
                                        ; implicit-def: $vgpr12_vgpr13
	flat_load_b32 v9, v[14:15]
	s_wait_loadcnt_dscnt 0x0
	v_cmp_ne_u32_e32 vcc_lo, 1, v9
	s_wait_xcnt 0x0
	v_cmpx_eq_u32_e32 1, v9
	s_cbranch_execz .LBB6_1569
; %bb.1568:                             ;   in Loop: Header=BB6_1553 Depth=2
	flat_load_b32 v12, v[14:15] offset:4 scope:SCOPE_SYS
	s_wait_loadcnt_dscnt 0x0
	v_ashrrev_i32_e32 v13, 31, v12
	s_delay_alu instid0(VALU_DEP_1)
	v_lshrrev_b64 v[12:13], 1, v[12:13]
.LBB6_1569:                             ;   in Loop: Header=BB6_1553 Depth=2
	s_wait_xcnt 0x0
	s_or_b32 exec_lo, exec_lo, s41
	s_delay_alu instid0(SALU_CYCLE_1)
	s_or_not1_b32 s13, vcc_lo, exec_lo
.LBB6_1570:                             ;   in Loop: Header=BB6_1553 Depth=2
	s_or_b32 exec_lo, exec_lo, s40
	s_and_saveexec_b32 s40, s13
; %bb.1571:                             ;   in Loop: Header=BB6_1553 Depth=2
	v_mul_u64_e32 v[12:13], v[2:3], v[34:35]
; %bb.1572:                             ;   in Loop: Header=BB6_1553 Depth=2
	s_or_b32 exec_lo, exec_lo, s40
	v_and_b32_e32 v2, 0x2000, v30
	s_delay_alu instid0(VALU_DEP_2)
	v_lshl_add_u64 v[12:13], v[12:13], 1, v[36:37]
	s_mov_b32 s13, exec_lo
	ds_store_b64 v0, v[12:13] offset:720
	v_cmpx_ne_u32_e32 0, v2
	s_cbranch_execz .LBB6_1574
; %bb.1573:                             ;   in Loop: Header=BB6_1553 Depth=2
	ds_load_b64 v[12:13], v0 offset:872
	s_wait_dscnt 0x0
	v_add_nc_u64_e32 v[12:13], 1, v[12:13]
	ds_store_b64 v0, v[12:13] offset:872
.LBB6_1574:                             ;   in Loop: Header=BB6_1553 Depth=2
	s_or_b32 exec_lo, exec_lo, s13
	v_mov_b64_e32 v[114:115], v[10:11]
.LBB6_1575:                             ;   in Loop: Header=BB6_1553 Depth=2
	s_or_b32 exec_lo, exec_lo, s27
	s_xor_b32 s13, s18, -1
	s_delay_alu instid0(SALU_CYCLE_1) | instskip(NEXT) | instid1(SALU_CYCLE_1)
	s_and_b32 s13, exec_lo, s13
	s_or_b32 s15, s13, s15
	s_and_saveexec_b32 s13, s2
	s_cbranch_execz .LBB6_1594
; %bb.1576:                             ;   in Loop: Header=BB6_1553 Depth=2
	s_and_saveexec_b32 s18, s3
	s_delay_alu instid0(SALU_CYCLE_1)
	s_xor_b32 s18, exec_lo, s18
	s_cbranch_execz .LBB6_1591
; %bb.1577:                             ;   in Loop: Header=BB6_1553 Depth=2
	s_and_saveexec_b32 s27, s6
	s_cbranch_execz .LBB6_1590
; %bb.1578:                             ;   in Loop: Header=BB6_1553 Depth=2
	s_mov_b32 s41, exec_lo
	s_mov_b32 s40, exec_lo
	v_mbcnt_lo_u32_b32 v2, s41, 0
	global_wb scope:SCOPE_DEV
	s_wait_storecnt 0x0
	s_wait_loadcnt_dscnt 0x0
	global_inv scope:SCOPE_DEV
	v_cmpx_eq_u32_e32 0, v2
	s_cbranch_execz .LBB6_1580
; %bb.1579:                             ;   in Loop: Header=BB6_1553 Depth=2
	s_bcnt1_i32_b32 s41, s41
	s_delay_alu instid0(SALU_CYCLE_1)
	v_mov_b32_e32 v2, s41
	s_wait_loadcnt 0x0
	ds_add_u64 v0, v[2:3]
	s_trap 2
.LBB6_1580:                             ;   in Loop: Header=BB6_1553 Depth=2
	s_or_b32 exec_lo, exec_lo, s40
	s_trap 2
	ds_load_b64 v[10:11], v0
	s_wait_dscnt 0x0
	v_add_nc_u64_e32 v[48:49], v[48:49], v[52:53]
	s_mov_b32 s40, exec_lo
	s_delay_alu instid0(VALU_DEP_1)
	v_cmpx_lt_u64_e64 v[10:11], v[48:49]
	s_cbranch_execz .LBB6_1589
; %bb.1581:                             ;   in Loop: Header=BB6_1553 Depth=2
	s_mov_b32 s41, 0
	s_mov_b32 s62, 0
                                        ; implicit-def: $sgpr60
                                        ; implicit-def: $sgpr61
	s_branch .LBB6_1583
.LBB6_1582:                             ;   in Loop: Header=BB6_1583 Depth=3
	s_or_b32 exec_lo, exec_lo, s72
	s_delay_alu instid0(SALU_CYCLE_1) | instskip(NEXT) | instid1(SALU_CYCLE_1)
	s_and_b32 s63, exec_lo, s73
	s_or_b32 s41, s63, s41
	s_and_not1_b32 s60, s60, exec_lo
	s_and_b32 s63, s61, exec_lo
	s_delay_alu instid0(SALU_CYCLE_1)
	s_or_b32 s60, s60, s63
	s_and_not1_b32 exec_lo, exec_lo, s41
	s_cbranch_execz .LBB6_1587
.LBB6_1583:                             ;   Parent Loop BB6_47 Depth=1
                                        ;     Parent Loop BB6_1553 Depth=2
                                        ; =>    This Inner Loop Header: Depth=3
	s_add_co_i32 s62, s62, 1
	s_delay_alu instid0(SALU_CYCLE_1) | instskip(SKIP_1) | instid1(SALU_CYCLE_1)
	s_cmp_lg_u32 s62, 0x2710
	s_cselect_b32 s63, -1, 0
	s_and_b32 vcc_lo, exec_lo, s63
	s_cbranch_vccz .LBB6_1585
; %bb.1584:                             ;   in Loop: Header=BB6_1583 Depth=3
	s_mov_b32 s73, -1
	s_or_b32 s61, s61, exec_lo
	s_and_saveexec_b32 s72, s63
	s_cbranch_execz .LBB6_1582
	s_branch .LBB6_1586
.LBB6_1585:                             ;   in Loop: Header=BB6_1583 Depth=3
	s_trap 2
	ds_load_b64 v[10:11], v0
	s_and_not1_b32 s63, s63, exec_lo
	s_mov_b32 s62, 0
	s_wait_loadcnt_dscnt 0x0
	flat_load_b32 v2, v[10:11] scope:SCOPE_SYS
	s_wait_loadcnt_dscnt 0x0
	global_inv scope:SCOPE_SYS
	v_cmp_eq_u32_e32 vcc_lo, 0, v2
	s_and_b32 s72, vcc_lo, exec_lo
	s_delay_alu instid0(SALU_CYCLE_1)
	s_or_b32 s63, s63, s72
	s_mov_b32 s73, -1
	s_or_b32 s61, s61, exec_lo
	s_and_saveexec_b32 s72, s63
	s_cbranch_execz .LBB6_1582
.LBB6_1586:                             ;   in Loop: Header=BB6_1583 Depth=3
	s_sleep 1
	s_trap 2
	ds_load_b64 v[10:11], v0
	s_wait_dscnt 0x0
	s_and_not1_b32 s61, s61, exec_lo
	v_cmp_ge_u64_e32 vcc_lo, v[10:11], v[48:49]
	s_or_not1_b32 s73, vcc_lo, exec_lo
	s_branch .LBB6_1582
.LBB6_1587:                             ;   in Loop: Header=BB6_1553 Depth=2
	s_or_b32 exec_lo, exec_lo, s41
	s_and_saveexec_b32 s41, s60
	s_delay_alu instid0(SALU_CYCLE_1)
	s_xor_b32 s41, exec_lo, s41
	s_cbranch_execz .LBB6_1589
; %bb.1588:                             ;   in Loop: Header=BB6_1553 Depth=2
	ds_store_b32 v0, v79
	s_trap 2
.LBB6_1589:                             ;   in Loop: Header=BB6_1553 Depth=2
	s_or_b32 exec_lo, exec_lo, s40
	;;#ASMSTART
	s_wakeup
	;;#ASMEND
.LBB6_1590:                             ;   in Loop: Header=BB6_1553 Depth=2
	s_or_b32 exec_lo, exec_lo, s27
.LBB6_1591:                             ;   in Loop: Header=BB6_1553 Depth=2
	s_and_not1_saveexec_b32 s18, s18
	s_cbranch_execz .LBB6_1593
; %bb.1592:                             ;   in Loop: Header=BB6_1553 Depth=2
	global_wb scope:SCOPE_DEV
	s_wait_storecnt 0x0
	s_wait_loadcnt_dscnt 0x0
	global_inv scope:SCOPE_DEV
	s_barrier_signal -1
	s_barrier_wait -1
.LBB6_1593:                             ;   in Loop: Header=BB6_1553 Depth=2
	s_or_b32 exec_lo, exec_lo, s18
.LBB6_1594:                             ;   in Loop: Header=BB6_1553 Depth=2
	s_delay_alu instid0(SALU_CYCLE_1) | instskip(SKIP_1) | instid1(VALU_DEP_1)
	s_or_b32 exec_lo, exec_lo, s13
	v_sub_nc_u32_e32 v2, v22, v8
	v_min_i32_e32 v23, v23, v2
	s_and_saveexec_b32 s13, s10
	s_delay_alu instid0(SALU_CYCLE_1)
	s_xor_b32 s18, exec_lo, s13
	s_cbranch_execz .LBB6_1598
; %bb.1595:                             ;   in Loop: Header=BB6_1553 Depth=2
	s_trap 2
	ds_load_b32 v2, v0
	v_cmp_lt_i32_e32 vcc_lo, 0, v23
	s_wait_dscnt 0x0
	v_readfirstlane_b32 s13, v2
	v_and_b32_e32 v2, 16, v30
	s_cmp_eq_u32 s13, 0
	s_delay_alu instid0(VALU_DEP_1) | instskip(SKIP_1) | instid1(SALU_CYCLE_1)
	v_cmp_ne_u32_e64 s13, 0, v2
	s_cselect_b32 s27, -1, 0
	s_and_b32 s27, vcc_lo, s27
	s_delay_alu instid0(SALU_CYCLE_1) | instskip(NEXT) | instid1(SALU_CYCLE_1)
	s_and_b32 s27, s13, s27
	s_and_saveexec_b32 s13, s27
	s_cbranch_execz .LBB6_1597
; %bb.1596:                             ;   in Loop: Header=BB6_1553 Depth=2
	global_wb scope:SCOPE_SYS
	s_wait_loadcnt 0x0
	s_wait_storecnt 0x0
	global_inv scope:SCOPE_SYS
.LBB6_1597:                             ;   in Loop: Header=BB6_1553 Depth=2
	s_or_b32 exec_lo, exec_lo, s13
.LBB6_1598:                             ;   in Loop: Header=BB6_1553 Depth=2
	s_and_not1_saveexec_b32 s13, s18
	s_cbranch_execz .LBB6_1617
; %bb.1599:                             ;   in Loop: Header=BB6_1553 Depth=2
	s_and_saveexec_b32 s18, s3
	s_delay_alu instid0(SALU_CYCLE_1)
	s_xor_b32 s18, exec_lo, s18
	s_cbranch_execz .LBB6_1614
; %bb.1600:                             ;   in Loop: Header=BB6_1553 Depth=2
	s_and_saveexec_b32 s27, s6
	s_cbranch_execz .LBB6_1613
; %bb.1601:                             ;   in Loop: Header=BB6_1553 Depth=2
	s_mov_b32 s41, exec_lo
	s_mov_b32 s40, exec_lo
	v_mbcnt_lo_u32_b32 v2, s41, 0
	;;#ASMSTART
	s_waitcnt lgkmcnt(0) vmcnt(0)
	;;#ASMEND
	s_delay_alu instid0(VALU_DEP_1)
	v_cmpx_eq_u32_e32 0, v2
	s_cbranch_execz .LBB6_1603
; %bb.1602:                             ;   in Loop: Header=BB6_1553 Depth=2
	s_bcnt1_i32_b32 s41, s41
	s_delay_alu instid0(SALU_CYCLE_1)
	v_mov_b32_e32 v2, s41
	s_wait_storecnt 0x0
	s_wait_loadcnt_dscnt 0x0
	ds_add_u64 v0, v[2:3]
	s_trap 2
.LBB6_1603:                             ;   in Loop: Header=BB6_1553 Depth=2
	s_or_b32 exec_lo, exec_lo, s40
	s_trap 2
	ds_load_b64 v[10:11], v0
	s_wait_dscnt 0x0
	v_add_nc_u64_e32 v[48:49], v[48:49], v[52:53]
	s_mov_b32 s40, exec_lo
	s_delay_alu instid0(VALU_DEP_1)
	v_cmpx_lt_u64_e64 v[10:11], v[48:49]
	s_cbranch_execz .LBB6_1612
; %bb.1604:                             ;   in Loop: Header=BB6_1553 Depth=2
	s_mov_b32 s41, 0
	s_mov_b32 s62, 0
                                        ; implicit-def: $sgpr60
                                        ; implicit-def: $sgpr61
	s_branch .LBB6_1606
.LBB6_1605:                             ;   in Loop: Header=BB6_1606 Depth=3
	s_or_b32 exec_lo, exec_lo, s72
	s_delay_alu instid0(SALU_CYCLE_1) | instskip(NEXT) | instid1(SALU_CYCLE_1)
	s_and_b32 s63, exec_lo, s73
	s_or_b32 s41, s63, s41
	s_and_not1_b32 s60, s60, exec_lo
	s_and_b32 s63, s61, exec_lo
	s_delay_alu instid0(SALU_CYCLE_1)
	s_or_b32 s60, s60, s63
	s_and_not1_b32 exec_lo, exec_lo, s41
	s_cbranch_execz .LBB6_1610
.LBB6_1606:                             ;   Parent Loop BB6_47 Depth=1
                                        ;     Parent Loop BB6_1553 Depth=2
                                        ; =>    This Inner Loop Header: Depth=3
	s_add_co_i32 s62, s62, 1
	s_delay_alu instid0(SALU_CYCLE_1) | instskip(SKIP_1) | instid1(SALU_CYCLE_1)
	s_cmp_lg_u32 s62, 0x2710
	s_cselect_b32 s63, -1, 0
	s_and_b32 vcc_lo, exec_lo, s63
	s_cbranch_vccz .LBB6_1608
; %bb.1607:                             ;   in Loop: Header=BB6_1606 Depth=3
	s_mov_b32 s73, -1
	s_or_b32 s61, s61, exec_lo
	s_and_saveexec_b32 s72, s63
	s_cbranch_execz .LBB6_1605
	s_branch .LBB6_1609
.LBB6_1608:                             ;   in Loop: Header=BB6_1606 Depth=3
	s_trap 2
	ds_load_b64 v[10:11], v0
	s_and_not1_b32 s63, s63, exec_lo
	s_mov_b32 s62, 0
	s_wait_storecnt 0x0
	s_wait_loadcnt_dscnt 0x0
	flat_load_b32 v2, v[10:11] scope:SCOPE_SYS
	s_wait_loadcnt_dscnt 0x0
	global_inv scope:SCOPE_SYS
	v_cmp_eq_u32_e32 vcc_lo, 0, v2
	s_and_b32 s72, vcc_lo, exec_lo
	s_delay_alu instid0(SALU_CYCLE_1)
	s_or_b32 s63, s63, s72
	s_mov_b32 s73, -1
	s_or_b32 s61, s61, exec_lo
	s_and_saveexec_b32 s72, s63
	s_cbranch_execz .LBB6_1605
.LBB6_1609:                             ;   in Loop: Header=BB6_1606 Depth=3
	s_sleep 1
	s_trap 2
	ds_load_b64 v[10:11], v0
	s_wait_dscnt 0x0
	s_and_not1_b32 s61, s61, exec_lo
	v_cmp_ge_u64_e32 vcc_lo, v[10:11], v[48:49]
	s_or_not1_b32 s73, vcc_lo, exec_lo
	s_branch .LBB6_1605
.LBB6_1610:                             ;   in Loop: Header=BB6_1553 Depth=2
	s_or_b32 exec_lo, exec_lo, s41
	s_and_saveexec_b32 s41, s60
	s_delay_alu instid0(SALU_CYCLE_1)
	s_xor_b32 s41, exec_lo, s41
	s_cbranch_execz .LBB6_1612
; %bb.1611:                             ;   in Loop: Header=BB6_1553 Depth=2
	ds_store_b32 v0, v79
	s_trap 2
.LBB6_1612:                             ;   in Loop: Header=BB6_1553 Depth=2
	s_or_b32 exec_lo, exec_lo, s40
	;;#ASMSTART
	s_wakeup
	;;#ASMEND
.LBB6_1613:                             ;   in Loop: Header=BB6_1553 Depth=2
	s_or_b32 exec_lo, exec_lo, s27
.LBB6_1614:                             ;   in Loop: Header=BB6_1553 Depth=2
	s_and_not1_saveexec_b32 s18, s18
	s_cbranch_execz .LBB6_1616
; %bb.1615:                             ;   in Loop: Header=BB6_1553 Depth=2
	;;#ASMSTART
	s_waitcnt lgkmcnt(0) vmcnt(0)
	;;#ASMEND
	s_barrier_signal -1
	s_barrier_wait -1
.LBB6_1616:                             ;   in Loop: Header=BB6_1553 Depth=2
	s_or_b32 exec_lo, exec_lo, s18
.LBB6_1617:                             ;   in Loop: Header=BB6_1553 Depth=2
	s_delay_alu instid0(SALU_CYCLE_1) | instskip(SKIP_2) | instid1(VALU_DEP_1)
	s_or_b32 exec_lo, exec_lo, s13
	v_and_b32_e32 v2, 32, v30
	s_mov_b32 s13, exec_lo
	v_cmpx_ne_u32_e32 0, v2
	s_cbranch_execz .LBB6_1552
; %bb.1618:                             ;   in Loop: Header=BB6_1553 Depth=2
	v_add_nc_u64_e32 v[114:115], 2, v[114:115]
	global_wb scope:SCOPE_SYS
	s_wait_storecnt 0x0
	s_wait_loadcnt_dscnt 0x0
	flat_store_b64 v[32:33], v[114:115] scope:SCOPE_SYS
	s_branch .LBB6_1552
.LBB6_1619:
	s_or_b32 exec_lo, exec_lo, s59
.LBB6_1620:
	s_delay_alu instid0(SALU_CYCLE_1) | instskip(SKIP_2) | instid1(VALU_DEP_1)
	s_or_b32 exec_lo, exec_lo, s43
	v_and_b32_e32 v0, 0x800, v30
	s_mov_b32 s1, exec_lo
	v_cmpx_eq_u32_e32 0, v0
	s_cbranch_execz .LBB6_1653
; %bb.1621:
	v_and_b32_e32 v0, 48, v30
	s_mov_b32 s0, exec_lo
	s_delay_alu instid0(VALU_DEP_1)
	v_cmpx_ne_u32_e32 0, v0
	s_cbranch_execz .LBB6_1623
; %bb.1622:
	flat_store_b64 v[28:29], v[114:115] offset:104
.LBB6_1623:
	s_wait_xcnt 0x0
	s_or_b32 exec_lo, exec_lo, s0
	v_and_b32_e32 v0, 0x88, v30
	s_mov_b32 s2, exec_lo
	s_delay_alu instid0(VALU_DEP_1)
	v_cmpx_eq_u32_e32 0x88, v0
	s_cbranch_execz .LBB6_1633
; %bb.1624:
	v_add_nc_u32_e32 v0, 6, v114
	s_mov_b32 s3, 0
	s_delay_alu instid0(VALU_DEP_1) | instskip(NEXT) | instid1(VALU_DEP_1)
	v_and_b32_e32 v0, 7, v0
	v_mad_nc_u64_u32 v[2:3], v0, 24, v[6:7]
	v_and_b32_e32 v0, 64, v30
	s_delay_alu instid0(VALU_DEP_1)
	v_cmp_eq_u32_e64 s0, 0, v0
	flat_load_b64 v[4:5], v[2:3] offset:8 scope:SCOPE_SYS
	s_wait_loadcnt_dscnt 0x0
	v_cmp_ne_u64_e32 vcc_lo, -1, v[4:5]
	s_and_b32 s0, vcc_lo, s0
	s_wait_xcnt 0x0
	s_and_b32 exec_lo, exec_lo, s0
	s_cbranch_execz .LBB6_1633
; %bb.1625:
	s_mov_b32 s5, 0
                                        ; implicit-def: $sgpr0
                                        ; implicit-def: $sgpr4
	s_branch .LBB6_1628
.LBB6_1626:                             ;   in Loop: Header=BB6_1628 Depth=1
	flat_load_b64 v[4:5], v[2:3] offset:8 scope:SCOPE_SYS
	s_wait_loadcnt 0x0
	s_and_not1_b32 s4, s4, exec_lo
	s_wait_dscnt 0x0
	v_cmp_eq_u64_e32 vcc_lo, -1, v[4:5]
	s_or_not1_b32 s7, vcc_lo, exec_lo
.LBB6_1627:                             ;   in Loop: Header=BB6_1628 Depth=1
	s_wait_xcnt 0x0
	s_or_b32 exec_lo, exec_lo, s10
	s_delay_alu instid0(SALU_CYCLE_1) | instskip(NEXT) | instid1(SALU_CYCLE_1)
	s_and_b32 s6, exec_lo, s7
	s_or_b32 s3, s6, s3
	s_and_not1_b32 s0, s0, exec_lo
	s_and_b32 s6, s4, exec_lo
	s_delay_alu instid0(SALU_CYCLE_1)
	s_or_b32 s0, s0, s6
	s_and_not1_b32 exec_lo, exec_lo, s3
	s_cbranch_execz .LBB6_1631
.LBB6_1628:                             ; =>This Inner Loop Header: Depth=1
	s_cmp_lt_i32 s5, 0x270f
	s_cselect_b32 s6, -1, 0
	s_delay_alu instid0(SALU_CYCLE_1)
	s_and_b32 vcc_lo, exec_lo, s6
	s_cbranch_vccnz .LBB6_1630
; %bb.1629:                             ;   in Loop: Header=BB6_1628 Depth=1
	s_trap 2
	ds_load_b64 v[4:5], v0
	s_and_not1_b32 s6, s6, exec_lo
	s_mov_b32 s5, 0
	s_wait_storecnt_dscnt 0x0
	flat_load_b32 v0, v[4:5] scope:SCOPE_SYS
	s_wait_loadcnt_dscnt 0x0
	global_inv scope:SCOPE_SYS
	v_cmp_eq_u32_e32 vcc_lo, 0, v0
	s_and_b32 s7, vcc_lo, exec_lo
	s_delay_alu instid0(SALU_CYCLE_1)
	s_or_b32 s6, s6, s7
	s_mov_b32 s7, -1
	s_or_b32 s4, s4, exec_lo
	s_wait_xcnt 0x0
	s_and_saveexec_b32 s10, s6
	s_cbranch_execz .LBB6_1627
	s_branch .LBB6_1626
.LBB6_1630:                             ;   in Loop: Header=BB6_1628 Depth=1
	s_add_co_i32 s5, s5, 1
                                        ; implicit-def: $vgpr0
	s_mov_b32 s7, -1
	s_or_b32 s4, s4, exec_lo
	s_and_saveexec_b32 s10, s6
	s_cbranch_execz .LBB6_1627
	s_branch .LBB6_1626
.LBB6_1631:
	s_or_b32 exec_lo, exec_lo, s3
	s_and_saveexec_b32 s3, s0
	s_delay_alu instid0(SALU_CYCLE_1)
	s_xor_b32 s3, exec_lo, s3
	s_cbranch_execz .LBB6_1633
; %bb.1632:
	s_wait_loadcnt 0x0
	s_wait_storecnt 0x0
	ds_store_b32 v0, v0
	s_trap 2
.LBB6_1633:
	s_or_b32 exec_lo, exec_lo, s2
	v_and_b32_e32 v0, 0x2000, v30
	s_mov_b32 s0, exec_lo
	s_delay_alu instid0(VALU_DEP_1)
	v_cmpx_ne_u32_e32 0, v0
	s_cbranch_execz .LBB6_1635
; %bb.1634:
	s_trap 2
	ds_load_b64 v[2:3], v0
	s_wait_dscnt 0x0
	flat_store_b64 v[26:27], v[2:3] offset:16
.LBB6_1635:
	s_wait_xcnt 0x0
	s_or_b32 exec_lo, exec_lo, s0
	v_cmp_ne_u32_e32 vcc_lo, 32, v1
	s_and_b32 exec_lo, exec_lo, vcc_lo
	s_cbranch_execz .LBB6_1653
; %bb.1636:
	s_mov_b32 s0, exec_lo
	v_cmpx_ne_u32_e64 v1, v78
	s_xor_b32 s0, exec_lo, s0
	s_cbranch_execz .LBB6_1651
; %bb.1637:
	v_and_b32_e32 v0, 31, v31
	s_mov_b32 s2, exec_lo
	s_delay_alu instid0(VALU_DEP_1)
	v_cmpx_eq_u32_e32 0, v0
	s_cbranch_execz .LBB6_1650
; %bb.1638:
	s_mov_b32 s4, exec_lo
	s_mov_b32 s3, exec_lo
	v_mbcnt_lo_u32_b32 v0, s4, 0
	global_wb scope:SCOPE_DEV
	s_wait_storecnt 0x0
	s_wait_loadcnt_dscnt 0x0
	global_inv scope:SCOPE_DEV
	v_cmpx_eq_u32_e32 0, v0
	s_cbranch_execz .LBB6_1640
; %bb.1639:
	s_bcnt1_i32_b32 s4, s4
	s_delay_alu instid0(SALU_CYCLE_1)
	v_dual_mov_b32 v3, 0 :: v_dual_mov_b32 v2, s4
	s_wait_loadcnt 0x0
	ds_add_u64 v0, v[2:3]
	s_trap 2
.LBB6_1640:
	s_or_b32 exec_lo, exec_lo, s3
	s_trap 2
	ds_load_b64 v[2:3], v0
	s_wait_dscnt 0x0
	v_dual_mov_b32 v1, 0 :: v_dual_lshrrev_b32 v0, 5, v1
	s_mov_b32 s3, exec_lo
	s_delay_alu instid0(VALU_DEP_1) | instskip(NEXT) | instid1(VALU_DEP_1)
	v_add_nc_u64_e32 v[0:1], v[48:49], v[0:1]
	v_cmpx_lt_u64_e64 v[2:3], v[0:1]
	s_cbranch_execz .LBB6_1649
; %bb.1641:
	s_mov_b32 s4, 0
	s_mov_b32 s7, 0
                                        ; implicit-def: $sgpr5
                                        ; implicit-def: $sgpr6
	s_branch .LBB6_1643
.LBB6_1642:                             ;   in Loop: Header=BB6_1643 Depth=1
	s_or_b32 exec_lo, exec_lo, s11
	s_delay_alu instid0(SALU_CYCLE_1) | instskip(NEXT) | instid1(SALU_CYCLE_1)
	s_and_b32 s10, exec_lo, s12
	s_or_b32 s4, s10, s4
	s_and_not1_b32 s5, s5, exec_lo
	s_and_b32 s10, s6, exec_lo
	s_delay_alu instid0(SALU_CYCLE_1)
	s_or_b32 s5, s5, s10
	s_and_not1_b32 exec_lo, exec_lo, s4
	s_cbranch_execz .LBB6_1647
.LBB6_1643:                             ; =>This Inner Loop Header: Depth=1
	s_add_co_i32 s7, s7, 1
	s_delay_alu instid0(SALU_CYCLE_1) | instskip(SKIP_1) | instid1(SALU_CYCLE_1)
	s_cmp_lg_u32 s7, 0x2710
	s_cselect_b32 s10, -1, 0
	s_and_b32 vcc_lo, exec_lo, s10
	s_cbranch_vccz .LBB6_1645
; %bb.1644:                             ;   in Loop: Header=BB6_1643 Depth=1
	s_mov_b32 s12, -1
	s_or_b32 s6, s6, exec_lo
	s_and_saveexec_b32 s11, s10
	s_cbranch_execz .LBB6_1642
	s_branch .LBB6_1646
.LBB6_1645:                             ;   in Loop: Header=BB6_1643 Depth=1
	s_trap 2
	ds_load_b64 v[2:3], v0
	s_and_not1_b32 s10, s10, exec_lo
	s_mov_b32 s7, 0
	s_wait_loadcnt_dscnt 0x0
	flat_load_b32 v2, v[2:3] scope:SCOPE_SYS
	s_wait_loadcnt_dscnt 0x0
	global_inv scope:SCOPE_SYS
	v_cmp_eq_u32_e32 vcc_lo, 0, v2
	s_and_b32 s11, vcc_lo, exec_lo
	s_delay_alu instid0(SALU_CYCLE_1)
	s_or_b32 s10, s10, s11
	s_mov_b32 s12, -1
	s_or_b32 s6, s6, exec_lo
	s_and_saveexec_b32 s11, s10
	s_cbranch_execz .LBB6_1642
.LBB6_1646:                             ;   in Loop: Header=BB6_1643 Depth=1
	s_sleep 1
	s_trap 2
	ds_load_b64 v[2:3], v0
	s_wait_dscnt 0x0
	s_and_not1_b32 s6, s6, exec_lo
	v_cmp_ge_u64_e32 vcc_lo, v[2:3], v[0:1]
	s_or_not1_b32 s12, vcc_lo, exec_lo
	s_branch .LBB6_1642
.LBB6_1647:
	s_or_b32 exec_lo, exec_lo, s4
	s_and_saveexec_b32 s4, s5
	s_delay_alu instid0(SALU_CYCLE_1)
	s_xor_b32 s4, exec_lo, s4
	s_cbranch_execz .LBB6_1649
; %bb.1648:
	v_mov_b32_e32 v0, 1
	ds_store_b32 v0, v0
	s_trap 2
.LBB6_1649:
	s_or_b32 exec_lo, exec_lo, s3
	;;#ASMSTART
	s_wakeup
	;;#ASMEND
.LBB6_1650:
	s_or_b32 exec_lo, exec_lo, s2
.LBB6_1651:
	s_and_not1_saveexec_b32 s0, s0
	s_cbranch_execz .LBB6_1653
; %bb.1652:
	global_wb scope:SCOPE_DEV
	s_wait_storecnt 0x0
	s_wait_loadcnt_dscnt 0x0
	global_inv scope:SCOPE_DEV
	s_barrier_signal -1
	s_barrier_wait -1
.LBB6_1653:
	s_or_b32 exec_lo, exec_lo, s1
.LBB6_1654:
	s_and_not1_saveexec_b32 s21, s42
	s_cbranch_execz .LBB6_1656
; %bb.1655:
	s_get_pc_i64 s[0:1]
	s_add_nc_u64 s[0:1], s[0:1], __PRETTY_FUNCTION__._ZN10PrimitivesI12hip_bfloat168FuncProdIS0_E12FanSymmetricILi1EELi0E11ProtoSimpleILi2ELi2ELi0ELi2ELi0ELi0EELi0ELb0ELi0ELi0ELi0EEC2EiiPKiS9_PKvPvmhhhP15ncclDevWorkCollP14ncclDevWorkP2pii@rel64+4
	s_get_pc_i64 s[2:3]
	s_add_nc_u64 s[2:3], s[2:3], __assert_fail@rel64+4
	v_dual_mov_b32 v0, s0 :: v_dual_mov_b32 v1, s1
	s_swap_pc_i64 s[30:31], s[2:3]
	; divergent unreachable
.LBB6_1656:
	s_or_b32 exec_lo, exec_lo, s21
	s_clause 0x23
	scratch_load_b32 v107, off, s33
	scratch_load_b32 v106, off, s33 offset:4
	scratch_load_b32 v105, off, s33 offset:8
	;; [unrolled: 1-line block ×35, first 2 shown]
	v_readlane_b32 s30, v108, 0
	v_readlane_b32 s31, v108, 1
	s_mov_b32 s32, s33
	s_wait_xcnt 0x0
	s_or_saveexec_b32 s0, -1
	scratch_load_b32 v108, off, s33 offset:144 ; 4-byte Folded Reload
	s_wait_xcnt 0x0
	s_mov_b32 exec_lo, s0
	s_mov_b32 s33, s79
	s_wait_loadcnt_dscnt 0x0
	s_set_pc_i64 s[30:31]
.Lfunc_end6:
	.size	_ZN12_GLOBAL__N_17runRingI12hip_bfloat168FuncProdIS1_E11ProtoSimpleILi2ELi2ELi0ELi2ELi0ELi0EELi0ELi0ELi2ELi0EEEviiP15ncclDevWorkColl, .Lfunc_end6-_ZN12_GLOBAL__N_17runRingI12hip_bfloat168FuncProdIS1_E11ProtoSimpleILi2ELi2ELi0ELi2ELi0ELi0EELi0ELi0ELi2ELi0EEEviiP15ncclDevWorkColl
                                        ; -- End function
	.set .L_ZN12_GLOBAL__N_17runRingI12hip_bfloat168FuncProdIS1_E11ProtoSimpleILi2ELi2ELi0ELi2ELi0ELi0EELi0ELi0ELi2ELi0EEEviiP15ncclDevWorkColl.num_vgpr, max(120, .L__assert_fail.num_vgpr)
	.set .L_ZN12_GLOBAL__N_17runRingI12hip_bfloat168FuncProdIS1_E11ProtoSimpleILi2ELi2ELi0ELi2ELi0ELi0EELi0ELi0ELi2ELi0EEEviiP15ncclDevWorkColl.num_agpr, max(0, .L__assert_fail.num_agpr)
	.set .L_ZN12_GLOBAL__N_17runRingI12hip_bfloat168FuncProdIS1_E11ProtoSimpleILi2ELi2ELi0ELi2ELi0ELi0EELi0ELi0ELi2ELi0EEEviiP15ncclDevWorkColl.numbered_sgpr, max(80, .L__assert_fail.numbered_sgpr)
	.set .L_ZN12_GLOBAL__N_17runRingI12hip_bfloat168FuncProdIS1_E11ProtoSimpleILi2ELi2ELi0ELi2ELi0ELi0EELi0ELi0ELi2ELi0EEEviiP15ncclDevWorkColl.num_named_barrier, max(0, .L__assert_fail.num_named_barrier)
	.set .L_ZN12_GLOBAL__N_17runRingI12hip_bfloat168FuncProdIS1_E11ProtoSimpleILi2ELi2ELi0ELi2ELi0ELi0EELi0ELi0ELi2ELi0EEEviiP15ncclDevWorkColl.private_seg_size, 160+max(.L__assert_fail.private_seg_size)
	.set .L_ZN12_GLOBAL__N_17runRingI12hip_bfloat168FuncProdIS1_E11ProtoSimpleILi2ELi2ELi0ELi2ELi0ELi0EELi0ELi0ELi2ELi0EEEviiP15ncclDevWorkColl.uses_vcc, or(1, .L__assert_fail.uses_vcc)
	.set .L_ZN12_GLOBAL__N_17runRingI12hip_bfloat168FuncProdIS1_E11ProtoSimpleILi2ELi2ELi0ELi2ELi0ELi0EELi0ELi0ELi2ELi0EEEviiP15ncclDevWorkColl.uses_flat_scratch, or(1, .L__assert_fail.uses_flat_scratch)
	.set .L_ZN12_GLOBAL__N_17runRingI12hip_bfloat168FuncProdIS1_E11ProtoSimpleILi2ELi2ELi0ELi2ELi0ELi0EELi0ELi0ELi2ELi0EEEviiP15ncclDevWorkColl.has_dyn_sized_stack, or(0, .L__assert_fail.has_dyn_sized_stack)
	.set .L_ZN12_GLOBAL__N_17runRingI12hip_bfloat168FuncProdIS1_E11ProtoSimpleILi2ELi2ELi0ELi2ELi0ELi0EELi0ELi0ELi2ELi0EEEviiP15ncclDevWorkColl.has_recursion, or(1, .L__assert_fail.has_recursion)
	.set .L_ZN12_GLOBAL__N_17runRingI12hip_bfloat168FuncProdIS1_E11ProtoSimpleILi2ELi2ELi0ELi2ELi0ELi0EELi0ELi0ELi2ELi0EEEviiP15ncclDevWorkColl.has_indirect_call, or(0, .L__assert_fail.has_indirect_call)
	.section	.AMDGPU.csdata,"",@progbits
; Function info:
; codeLenInByte = 55572
; TotalNumSgprs: 82
; NumVgprs: 120
; ScratchSize: 224
; MemoryBound: 1
	.text
	.p2align	2                               ; -- Begin function _Z49ncclDevFunc_AllReduce_RING_SIMPLE_Prod_bf16_0_0_2v
	.type	_Z49ncclDevFunc_AllReduce_RING_SIMPLE_Prod_bf16_0_0_2v,@function
_Z49ncclDevFunc_AllReduce_RING_SIMPLE_Prod_bf16_0_0_2v: ; @_Z49ncclDevFunc_AllReduce_RING_SIMPLE_Prod_bf16_0_0_2v
; %bb.0:
	s_wait_loadcnt_dscnt 0x0
	s_wait_kmcnt 0x0
	s_mov_b32 s95, s33
	s_mov_b32 s33, s32
	s_or_saveexec_b32 s0, -1
	scratch_store_b32 off, v42, s33 offset:12 ; 4-byte Folded Spill
	s_wait_xcnt 0x0
	s_mov_b32 exec_lo, s0
	s_add_co_i32 s32, s32, 32
	s_clause 0x2
	scratch_store_b32 off, v40, s33 offset:8
	; meta instruction
	scratch_store_b32 off, v41, s33 offset:4
	; meta instruction
	scratch_store_b32 off, v108, s33
	v_writelane_b32 v42, s30, 0
	v_writelane_b32 v42, s31, 1
	s_trap 2
	ds_load_b32 v0, v0
	s_wait_xcnt 0x2
	v_mov_b32_e32 v40, v31
	s_wait_dscnt 0x0
	v_cmp_gt_i32_e32 vcc_lo, 1, v0
	s_cbranch_vccnz .LBB7_8
; %bb.1:
	s_wait_xcnt 0x1
	v_and_b32_e32 v41, 0x3ff, v40
	s_mov_b32 s90, s12
	s_mov_b64 s[88:89], s[8:9]
	s_mov_b32 s91, 0
	s_get_pc_i64 s[92:93]
	s_add_nc_u64 s[92:93], s[92:93], _ZN12_GLOBAL__N_17runRingI12hip_bfloat168FuncProdIS1_E11ProtoSimpleILi2ELi2ELi0ELi2ELi0ELi0EELi0ELi0ELi2ELi0EEEviiP15ncclDevWorkColl@rel64+4
	s_branch .LBB7_3
.LBB7_2:                                ;   in Loop: Header=BB7_3 Depth=1
	s_or_b32 exec_lo, exec_lo, s94
	s_trap 2
	ds_load_b32 v0, v0
	s_add_co_i32 s91, s91, 1
	s_wait_dscnt 0x0
	v_cmp_lt_i32_e32 vcc_lo, s91, v0
	s_cbranch_vccz .LBB7_8
.LBB7_3:                                ; =>This Inner Loop Header: Depth=1
	s_trap 2
	ds_load_b32 v0, v0
	s_cmp_eq_u32 s91, 0
	s_cbranch_scc1 .LBB7_6
; %bb.4:                                ;   in Loop: Header=BB7_3 Depth=1
	s_trap 2
	s_wait_dscnt 0x0
	ds_load_b32 v1, v0
	s_wait_dscnt 0x0
	v_xor_b32_e32 v1, v1, v0
	s_delay_alu instid0(VALU_DEP_1) | instskip(NEXT) | instid1(VALU_DEP_1)
	v_and_b32_e32 v1, 0xff0000, v1
	v_cmp_eq_u32_e32 vcc_lo, 0, v1
	s_cbranch_vccnz .LBB7_6
; %bb.5:                                ;   in Loop: Header=BB7_3 Depth=1
	s_wait_storecnt 0x0
	s_barrier_signal -1
	s_barrier_wait -1
	ds_load_b32 v0, v0
.LBB7_6:                                ;   in Loop: Header=BB7_3 Depth=1
	s_wait_dscnt 0x0
	v_lshrrev_b32_e32 v0, 11, v0
	s_mov_b32 s94, exec_lo
	s_delay_alu instid0(VALU_DEP_1) | instskip(SKIP_1) | instid1(VALU_DEP_1)
	v_and_b32_e32 v1, 0x1fe0, v0
	s_wait_xcnt 0x0
	v_cmpx_lt_u32_e64 v41, v1
	s_cbranch_execz .LBB7_2
; %bb.7:                                ;   in Loop: Header=BB7_3 Depth=1
	s_mov_b64 s[0:1], src_shared_base
	v_dual_mov_b32 v31, v40 :: v_dual_mov_b32 v0, v41
	v_mov_b32_e32 v3, s1
	s_mov_b64 s[8:9], s[88:89]
	s_mov_b32 s12, s90
	s_swap_pc_i64 s[30:31], s[92:93]
	s_branch .LBB7_2
.LBB7_8:
	s_clause 0x2
	scratch_load_b32 v108, off, s33
	scratch_load_b32 v41, off, s33 offset:4
	scratch_load_b32 v40, off, s33 offset:8
	v_readlane_b32 s30, v42, 0
	v_readlane_b32 s31, v42, 1
	s_mov_b32 s32, s33
	s_wait_xcnt 0x0
	s_or_saveexec_b32 s0, -1
	scratch_load_b32 v42, off, s33 offset:12 ; 4-byte Folded Reload
	s_wait_xcnt 0x0
	s_mov_b32 exec_lo, s0
	s_mov_b32 s33, s95
	s_wait_loadcnt 0x0
	s_set_pc_i64 s[30:31]
.Lfunc_end7:
	.size	_Z49ncclDevFunc_AllReduce_RING_SIMPLE_Prod_bf16_0_0_2v, .Lfunc_end7-_Z49ncclDevFunc_AllReduce_RING_SIMPLE_Prod_bf16_0_0_2v
                                        ; -- End function
	.set .L_Z49ncclDevFunc_AllReduce_RING_SIMPLE_Prod_bf16_0_0_2v.num_vgpr, max(109, .L_ZN12_GLOBAL__N_17runRingI12hip_bfloat168FuncProdIS1_E11ProtoSimpleILi2ELi2ELi0ELi2ELi0ELi0EELi0ELi0ELi2ELi0EEEviiP15ncclDevWorkColl.num_vgpr)
	.set .L_Z49ncclDevFunc_AllReduce_RING_SIMPLE_Prod_bf16_0_0_2v.num_agpr, max(0, .L_ZN12_GLOBAL__N_17runRingI12hip_bfloat168FuncProdIS1_E11ProtoSimpleILi2ELi2ELi0ELi2ELi0ELi0EELi0ELi0ELi2ELi0EEEviiP15ncclDevWorkColl.num_agpr)
	.set .L_Z49ncclDevFunc_AllReduce_RING_SIMPLE_Prod_bf16_0_0_2v.numbered_sgpr, max(96, .L_ZN12_GLOBAL__N_17runRingI12hip_bfloat168FuncProdIS1_E11ProtoSimpleILi2ELi2ELi0ELi2ELi0ELi0EELi0ELi0ELi2ELi0EEEviiP15ncclDevWorkColl.numbered_sgpr)
	.set .L_Z49ncclDevFunc_AllReduce_RING_SIMPLE_Prod_bf16_0_0_2v.num_named_barrier, max(0, .L_ZN12_GLOBAL__N_17runRingI12hip_bfloat168FuncProdIS1_E11ProtoSimpleILi2ELi2ELi0ELi2ELi0ELi0EELi0ELi0ELi2ELi0EEEviiP15ncclDevWorkColl.num_named_barrier)
	.set .L_Z49ncclDevFunc_AllReduce_RING_SIMPLE_Prod_bf16_0_0_2v.private_seg_size, 32+max(.L_ZN12_GLOBAL__N_17runRingI12hip_bfloat168FuncProdIS1_E11ProtoSimpleILi2ELi2ELi0ELi2ELi0ELi0EELi0ELi0ELi2ELi0EEEviiP15ncclDevWorkColl.private_seg_size)
	.set .L_Z49ncclDevFunc_AllReduce_RING_SIMPLE_Prod_bf16_0_0_2v.uses_vcc, or(1, .L_ZN12_GLOBAL__N_17runRingI12hip_bfloat168FuncProdIS1_E11ProtoSimpleILi2ELi2ELi0ELi2ELi0ELi0EELi0ELi0ELi2ELi0EEEviiP15ncclDevWorkColl.uses_vcc)
	.set .L_Z49ncclDevFunc_AllReduce_RING_SIMPLE_Prod_bf16_0_0_2v.uses_flat_scratch, or(1, .L_ZN12_GLOBAL__N_17runRingI12hip_bfloat168FuncProdIS1_E11ProtoSimpleILi2ELi2ELi0ELi2ELi0ELi0EELi0ELi0ELi2ELi0EEEviiP15ncclDevWorkColl.uses_flat_scratch)
	.set .L_Z49ncclDevFunc_AllReduce_RING_SIMPLE_Prod_bf16_0_0_2v.has_dyn_sized_stack, or(0, .L_ZN12_GLOBAL__N_17runRingI12hip_bfloat168FuncProdIS1_E11ProtoSimpleILi2ELi2ELi0ELi2ELi0ELi0EELi0ELi0ELi2ELi0EEEviiP15ncclDevWorkColl.has_dyn_sized_stack)
	.set .L_Z49ncclDevFunc_AllReduce_RING_SIMPLE_Prod_bf16_0_0_2v.has_recursion, or(1, .L_ZN12_GLOBAL__N_17runRingI12hip_bfloat168FuncProdIS1_E11ProtoSimpleILi2ELi2ELi0ELi2ELi0ELi0EELi0ELi0ELi2ELi0EEEviiP15ncclDevWorkColl.has_recursion)
	.set .L_Z49ncclDevFunc_AllReduce_RING_SIMPLE_Prod_bf16_0_0_2v.has_indirect_call, or(0, .L_ZN12_GLOBAL__N_17runRingI12hip_bfloat168FuncProdIS1_E11ProtoSimpleILi2ELi2ELi0ELi2ELi0ELi0EELi0ELi0ELi2ELi0EEEviiP15ncclDevWorkColl.has_indirect_call)
	.section	.AMDGPU.csdata,"",@progbits
; Function info:
; codeLenInByte = 464
; TotalNumSgprs: 98
; NumVgprs: 120
; ScratchSize: 256
; MemoryBound: 0
	.text
	.p2align	2                               ; -- Begin function _ZN12_GLOBAL__N_17runRingI12hip_bfloat168FuncProdIS1_E11ProtoSimpleILi2ELi2ELi0ELi2ELi0ELi0EELi0ELi0ELi2ELi1EEEviiP15ncclDevWorkColl
	.type	_ZN12_GLOBAL__N_17runRingI12hip_bfloat168FuncProdIS1_E11ProtoSimpleILi2ELi2ELi0ELi2ELi0ELi0EELi0ELi0ELi2ELi1EEEviiP15ncclDevWorkColl,@function
_ZN12_GLOBAL__N_17runRingI12hip_bfloat168FuncProdIS1_E11ProtoSimpleILi2ELi2ELi0ELi2ELi0ELi0EELi0ELi0ELi2ELi1EEEviiP15ncclDevWorkColl: ; @_ZN12_GLOBAL__N_17runRingI12hip_bfloat168FuncProdIS1_E11ProtoSimpleILi2ELi2ELi0ELi2ELi0ELi0EELi0ELi0ELi2ELi1EEEviiP15ncclDevWorkColl
; %bb.0:
	s_wait_loadcnt_dscnt 0x0
	s_wait_kmcnt 0x0
	s_mov_b32 s94, s33
	s_mov_b32 s33, s32
	s_or_saveexec_b32 s0, -1
	scratch_store_b32 off, v127, s33 offset:308 ; 4-byte Folded Spill
	s_wait_xcnt 0x0
	s_mov_b32 exec_lo, s0
	s_addk_co_i32 s32, 0x140
	s_clause 0x2e
	scratch_store_b32 off, v40, s33 offset:184
	; meta instruction
	scratch_store_b32 off, v41, s33 offset:180
	; meta instruction
	;; [unrolled: 2-line block ×46, first 2 shown]
	scratch_store_b32 off, v126, s33
	v_writelane_b32 v127, s30, 0
	v_writelane_b32 v127, s31, 1
	s_trap 2
	flat_load_b32 v4, v[2:3]
	ds_load_b32 v5, v0
	s_mov_b32 s0, exec_lo
                                        ; implicit-def: $vgpr14_vgpr15
                                        ; implicit-def: $vgpr8_vgpr9
                                        ; kill: killed $vgpr8_vgpr9
                                        ; implicit-def: $vgpr22_vgpr23
	s_wait_dscnt 0x0
	v_readfirstlane_b32 s16, v5
	s_wait_loadcnt 0x0
	v_and_b32_e32 v7, 0xff, v4
	s_wait_xcnt 0x0
	s_delay_alu instid0(VALU_DEP_1)
	v_cmpx_ne_u32_e64 v5, v7
	s_xor_b32 s0, exec_lo, s0
	s_cbranch_execz .LBB8_6
; %bb.1:
	v_bfe_u32 v6, v4, 8, 8
	v_not_b32_e32 v4, v7
	s_mov_b32 s1, exec_lo
                                        ; implicit-def: $vgpr14_vgpr15
                                        ; implicit-def: $vgpr8_vgpr9
                                        ; kill: killed $vgpr8_vgpr9
                                        ; implicit-def: $vgpr22_vgpr23
	s_delay_alu instid0(VALU_DEP_2)
	v_cmpx_ne_u32_e64 v5, v6
	s_xor_b32 s1, exec_lo, s1
	s_cbranch_execz .LBB8_3
; %bb.2:
	s_clause 0x1
	flat_load_b128 v[6:9], v[2:3] offset:72
	flat_load_b64 v[10:11], v[2:3] offset:96
	v_add_nc_u32_e32 v4, v5, v4
	s_wait_loadcnt_dscnt 0x101
	s_delay_alu instid0(VALU_DEP_1) | instskip(SKIP_3) | instid1(VALU_DEP_3)
	v_mad_nc_u64_u32 v[6:7], v8, v4, v[6:7]
	s_wait_loadcnt_dscnt 0x0
	v_lshrrev_b64 v[14:15], 13, v[10:11]
	v_mov_b64_e32 v[22:23], v[8:9]
	v_mad_u32 v5, v9, v4, v7
	v_ashrrev_i32_e32 v4, 31, v4
	s_delay_alu instid0(VALU_DEP_1)
	v_mad_u32 v7, v8, v4, v5
                                        ; implicit-def: $vgpr4
	scratch_store_b64 off, v[6:7], s33 offset:256 ; 8-byte Folded Spill
                                        ; implicit-def: $vgpr6
.LBB8_3:
	s_wait_xcnt 0x0
	s_and_not1_saveexec_b32 s1, s1
	s_cbranch_execz .LBB8_5
; %bb.4:
	s_clause 0x1
	flat_load_b128 v[8:11], v[2:3] offset:72
	flat_load_b128 v[22:25], v[2:3] offset:88
	s_wait_loadcnt_dscnt 0x0
	v_dual_add_nc_u32 v4, v6, v4 :: v_dual_lshrrev_b32 v14, 2, v25
	s_delay_alu instid0(VALU_DEP_1) | instskip(NEXT) | instid1(VALU_DEP_1)
	v_mad_nc_u64_u32 v[6:7], v10, v4, v[8:9]
	v_mad_u32 v5, v11, v4, v7
	v_ashrrev_i32_e32 v4, 31, v4
	s_delay_alu instid0(VALU_DEP_1)
	v_mad_u32 v7, v10, v4, v5
	scratch_store_b64 off, v[6:7], s33 offset:256 ; 8-byte Folded Spill
.LBB8_5:
	s_wait_xcnt 0x0
	s_or_b32 exec_lo, exec_lo, s1
.LBB8_6:
	s_and_not1_saveexec_b32 s0, s0
	s_cbranch_execz .LBB8_8
; %bb.7:
	s_clause 0x1
	flat_load_b64 v[4:5], v[2:3] offset:96
	flat_load_b64 v[22:23], v[2:3] offset:72
	s_wait_loadcnt_dscnt 0x101
	v_lshlrev_b64_e32 v[14:15], 8, v[4:5]
	v_mov_b64_e32 v[4:5], 0
	scratch_store_b64 off, v[4:5], s33 offset:256 ; 8-byte Folded Spill
.LBB8_8:
	s_wait_xcnt 0x0
	s_or_b32 exec_lo, exec_lo, s0
	s_trap 2
	ds_load_b64 v[4:5], v0
	s_mov_b32 s1, 0
	s_mov_b32 s2, exec_lo
	s_wait_dscnt 0x0
	v_cmp_ne_u32_e32 vcc_lo, -1, v4
	v_cndmask_b32_e64 v15, 0, 1, vcc_lo
	v_cmp_ne_u32_e32 vcc_lo, -1, v5
	s_delay_alu instid0(VALU_DEP_2) | instskip(NEXT) | instid1(VALU_DEP_1)
	v_add_co_ci_u32_e64 v4, null, 0, v15, vcc_lo
	v_lshlrev_b32_e32 v5, 1, v4
	s_delay_alu instid0(VALU_DEP_1)
	v_cmpx_le_u32_e64 v5, v1
	s_xor_b32 s42, exec_lo, s2
	s_cbranch_execz .LBB8_2681
; %bb.9:
	s_clause 0x3
	flat_load_b128 v[10:13], v[2:3] offset:16
	flat_load_b64 v[16:17], v[2:3] offset:104
	flat_load_u16 v7, v[2:3] offset:8
	flat_load_b32 v6, v[2:3] offset:4
	s_trap 2
	s_load_b32 s0, s[8:9], 0x0
	s_bfe_u32 s2, ttmp6, 0x4000c
	s_and_b32 s3, ttmp6, 15
	s_add_co_i32 s2, s2, 1
	s_getreg_b32 s4, hwreg(HW_REG_IB_STS2, 6, 4)
	s_mul_i32 s2, ttmp9, s2
	v_dual_mov_b32 v5, 0 :: v_dual_mov_b32 v30, 4
	s_add_co_i32 s3, s3, s2
	s_cmp_eq_u32 s4, 0
	s_cselect_b32 s2, ttmp9, s3
	s_wait_kmcnt 0x0
	s_cmp_lt_u32 s2, s0
	s_cselect_b32 s0, 12, 18
	s_delay_alu instid0(SALU_CYCLE_1)
	s_add_nc_u64 s[0:1], s[8:9], s[0:1]
	global_load_u16 v18, v5, s[0:1]
	s_wait_xcnt 0x0
	ds_load_b32 v5, v0
	s_mov_b32 s1, exec_lo
	s_wait_dscnt 0x0
	v_readfirstlane_b32 s6, v5
	v_cmpx_ge_i32_e64 v0, v15
	s_cbranch_execz .LBB8_19
; %bb.10:
	v_cmp_ge_u32_e64 s0, v0, v4
                                        ; implicit-def: $vgpr30
	s_and_saveexec_b32 s2, s0
	s_delay_alu instid0(SALU_CYCLE_1)
	s_xor_b32 s0, exec_lo, s2
	s_cbranch_execz .LBB8_16
; %bb.11:
	v_cndmask_b32_e64 v5, 0, 1, vcc_lo
	s_mov_b32 s2, exec_lo
	s_delay_alu instid0(VALU_DEP_1) | instskip(NEXT) | instid1(VALU_DEP_1)
	v_sub_nc_u32_e32 v5, v1, v5
	v_cmpx_ge_u32_e64 v0, v5
	s_xor_b32 s2, exec_lo, s2
; %bb.12:
                                        ; implicit-def: $vgpr4
; %bb.13:
	s_delay_alu instid0(SALU_CYCLE_1)
	s_or_saveexec_b32 s2, s2
	v_mov_b32_e32 v30, 16
	s_xor_b32 exec_lo, exec_lo, s2
; %bb.14:
	v_sub_nc_u32_e32 v4, v1, v4
	s_delay_alu instid0(VALU_DEP_1)
	v_cmp_lt_i32_e32 vcc_lo, v0, v4
	v_cndmask_b32_e64 v30, 32, 0, vcc_lo
; %bb.15:
	s_or_b32 exec_lo, exec_lo, s2
.LBB8_16:
	s_and_not1_saveexec_b32 s0, s0
; %bb.17:
	v_mov_b32_e32 v30, 8
; %bb.18:
	s_or_b32 exec_lo, exec_lo, s0
.LBB8_19:
	s_delay_alu instid0(SALU_CYCLE_1) | instskip(NEXT) | instid1(VALU_DEP_1)
	s_or_b32 exec_lo, exec_lo, s1
	v_dual_mov_b32 v19, -1 :: v_dual_bitop2_b32 v4, 36, v30 bitop3:0x40
	s_delay_alu instid0(VALU_DEP_1)
	v_cmp_ne_u32_e32 vcc_lo, 0, v4
	s_and_saveexec_b32 s0, vcc_lo
	s_cbranch_execz .LBB8_21
; %bb.20:
	s_trap 2
	ds_load_b32 v19, v0
.LBB8_21:
	s_or_b32 exec_lo, exec_lo, s0
	v_and_b32_e32 v4, 24, v30
	s_mov_b32 s1, exec_lo
	s_delay_alu instid0(VALU_DEP_1)
	v_cmpx_ne_u32_e32 0, v4
	s_cbranch_execz .LBB8_23
; %bb.22:
	s_trap 2
	s_wait_dscnt 0x0
	ds_load_b32 v19, v0
.LBB8_23:
	s_or_b32 exec_lo, exec_lo, s1
	s_wait_loadcnt 0x1
	v_lshrrev_b64 v[4:5], 31, v[6:7]
	v_mov_b64_e32 v[24:25], 0
	v_mov_b64_e32 v[6:7], 0
                                        ; implicit-def: $vgpr66
                                        ; implicit-def: $vgpr58_vgpr59
                                        ; implicit-def: $vgpr68_vgpr69
                                        ; implicit-def: $vgpr82_vgpr83
                                        ; implicit-def: $vgpr64_vgpr65
	s_delay_alu instid0(VALU_DEP_3) | instskip(NEXT) | instid1(VALU_DEP_1)
	v_and_b32_e32 v4, 3, v4
	v_and_b32_e32 v20, 0xffff, v4
                                        ; implicit-def: $vgpr4_vgpr5
                                        ; kill: killed $vgpr4_vgpr5
	s_and_saveexec_b32 s0, vcc_lo
	s_cbranch_execz .LBB8_33
; %bb.24:
	s_trap 2
	ds_load_b64 v[4:5], v0
	s_wait_dscnt 0x0
	v_readfirstlane_b32 s2, v4
	v_readfirstlane_b32 s3, v5
	flat_load_b64 v[4:5], v19, s[2:3] scale_offset
	s_wait_loadcnt_dscnt 0x0
	v_mad_nc_u64_u32 v[8:9], 0xa8, v20, v[4:5]
	flat_load_b32 v4, v[8:9] offset:640
	s_wait_loadcnt_dscnt 0x0
	v_cmp_eq_u32_e32 vcc_lo, 1, v4
                                        ; implicit-def: $vgpr4_vgpr5
                                        ; kill: killed $vgpr4_vgpr5
	s_wait_xcnt 0x0
	s_and_saveexec_b32 s1, vcc_lo
	s_cbranch_execz .LBB8_26
; %bb.25:
	flat_load_b64 v[6:7], v[8:9] offset:648
	v_or_b32_e32 v30, 0x2000, v30
	s_wait_loadcnt_dscnt 0x0
	flat_load_b64 v[4:5], v[6:7]
	s_trap 2
	scratch_store_b64 off, v[6:7], s33 offset:300 ; 8-byte Folded Spill
	s_wait_loadcnt_dscnt 0x0
	ds_store_b64 v0, v[4:5]
	flat_load_b64 v[4:5], v[6:7] offset:8
	s_wait_loadcnt_dscnt 0x0
	ds_store_b64 v0, v[4:5]
	flat_load_b64 v[4:5], v[6:7] offset:16
	s_wait_loadcnt_dscnt 0x0
	ds_store_b64 v0, v[4:5]
.LBB8_26:
	s_wait_xcnt 0x0
	s_or_b32 exec_lo, exec_lo, s1
	flat_load_b64 v[4:5], v[8:9] offset:608
	s_mov_b32 s1, exec_lo
                                        ; implicit-def: $vgpr64_vgpr65
	s_wait_loadcnt_dscnt 0x0
	v_add_nc_u64_e32 v[58:59], 3, v[4:5]
	v_and_b32_e32 v4, 32, v30
	s_delay_alu instid0(VALU_DEP_2) | instskip(SKIP_1) | instid1(VALU_DEP_2)
	v_and_b32_e32 v58, -4, v58
	s_wait_xcnt 0x0
	v_cmpx_ne_u32_e32 0, v4
	s_cbranch_execz .LBB8_28
; %bb.27:
	flat_load_b64 v[64:65], v[8:9] offset:560
	global_wb scope:SCOPE_SYS
	s_wait_storecnt 0x0
	s_wait_xcnt 0x0
	s_wait_loadcnt_dscnt 0x0
	flat_store_b64 v[64:65], v[58:59] scope:SCOPE_SYS
.LBB8_28:
	s_wait_xcnt 0x0
	s_or_b32 exec_lo, exec_lo, s1
	v_add_nc_u64_e32 v[24:25], 0x1f8, v[8:9]
	v_mov_b64_e32 v[6:7], 0
	v_and_b32_e32 v4, 4, v30
	s_mov_b32 s1, exec_lo
                                        ; implicit-def: $vgpr66
                                        ; implicit-def: $vgpr68_vgpr69
                                        ; implicit-def: $vgpr82_vgpr83
	s_delay_alu instid0(VALU_DEP_1)
	v_cmpx_ne_u32_e32 0, v4
	s_cbranch_execz .LBB8_32
; %bb.29:
	v_and_b32_e32 v4, 0x800, v30
	s_mov_b32 s2, exec_lo
	s_delay_alu instid0(VALU_DEP_1)
	v_cmpx_eq_u32_e32 0, v4
	s_cbranch_execz .LBB8_31
; %bb.30:
	s_trap 2
	ds_store_b64 v0, v[24:25]
.LBB8_31:
	s_or_b32 exec_lo, exec_lo, s2
	flat_load_b64 v[64:65], v[8:9] offset:552
	v_or_b32_e32 v5, 0x100, v30
	s_wait_loadcnt_dscnt 0x0
	flat_load_b64 v[82:83], v[64:65] scope:SCOPE_SYS
	s_clause 0x2
	flat_load_b32 v4, v[8:9] offset:576
	flat_load_b64 v[6:7], v[8:9] offset:600
	flat_load_b64 v[68:69], v[8:9] offset:520
	s_wait_loadcnt_dscnt 0x101
	v_cmp_eq_u64_e32 vcc_lo, 0, v[6:7]
	v_dual_ashrrev_i32 v66, 1, v4 :: v_dual_cndmask_b32 v30, v5, v30, vcc_lo
.LBB8_32:
	s_wait_xcnt 0x0
	s_or_b32 exec_lo, exec_lo, s1
.LBB8_33:
	s_delay_alu instid0(SALU_CYCLE_1) | instskip(NEXT) | instid1(VALU_DEP_1)
	s_or_b32 exec_lo, exec_lo, s0
	v_and_b32_e32 v4, 24, v30
	s_mov_b32 s0, exec_lo
                                        ; implicit-def: $vgpr70_vgpr71
	s_delay_alu instid0(VALU_DEP_1)
	v_cmpx_ne_u32_e32 0, v4
	s_cbranch_execz .LBB8_41
; %bb.34:
	s_trap 2
	ds_load_b64 v[4:5], v0
	s_mov_b32 s1, exec_lo
                                        ; implicit-def: $vgpr70_vgpr71
	s_wait_dscnt 0x0
	v_readfirstlane_b32 s2, v4
	v_readfirstlane_b32 s3, v5
	flat_load_b64 v[4:5], v19, s[2:3] scale_offset
	s_wait_loadcnt_dscnt 0x0
	v_mad_nc_u64_u32 v[24:25], 0xa8, v20, v[4:5]
	v_or_b32_e32 v4, 0x100, v30
	flat_load_b128 v[6:9], v[24:25] offset:96
	s_wait_loadcnt_dscnt 0x0
	v_cmp_eq_u64_e32 vcc_lo, 0, v[6:7]
	v_cndmask_b32_e32 v30, v4, v30, vcc_lo
	s_delay_alu instid0(VALU_DEP_1) | instskip(SKIP_1) | instid1(VALU_DEP_1)
	v_and_b32_e32 v4, 16, v30
	s_wait_xcnt 0x0
	v_cmpx_ne_u32_e32 0, v4
	s_cbranch_execz .LBB8_36
; %bb.35:
	s_clause 0x2
	flat_load_b64 v[64:65], v[24:25] offset:48
	flat_load_b64 v[70:71], v[24:25] offset:120
	;; [unrolled: 1-line block ×3, first 2 shown]
.LBB8_36:
	s_wait_xcnt 0x0
	s_or_b32 exec_lo, exec_lo, s1
	v_add_nc_u64_e32 v[58:59], 3, v[8:9]
	v_and_b32_e32 v4, 8, v30
	s_mov_b32 s1, exec_lo
	s_delay_alu instid0(VALU_DEP_2) | instskip(NEXT) | instid1(VALU_DEP_2)
	v_and_b32_e32 v58, -4, v58
	v_cmpx_ne_u32_e32 0, v4
	s_cbranch_execz .LBB8_40
; %bb.37:
	v_and_b32_e32 v4, 0x800, v30
	s_mov_b32 s2, exec_lo
	s_delay_alu instid0(VALU_DEP_1)
	v_cmpx_eq_u32_e32 0, v4
	s_cbranch_execz .LBB8_39
; %bb.38:
	s_trap 2
	ds_store_b64 v0, v[24:25]
.LBB8_39:
	s_or_b32 exec_lo, exec_lo, s2
	s_wait_loadcnt_dscnt 0x202
	flat_load_b64 v[64:65], v[24:25] offset:56
	s_wait_loadcnt_dscnt 0x0
	flat_load_b64 v[82:83], v[64:65] scope:SCOPE_SYS
	s_clause 0x1
	flat_load_b32 v4, v[24:25] offset:72
	flat_load_b64 v[68:69], v[24:25] offset:16
	s_wait_loadcnt_dscnt 0x101
	v_ashrrev_i32_e32 v66, 1, v4
.LBB8_40:
	s_wait_xcnt 0x0
	s_or_b32 exec_lo, exec_lo, s1
.LBB8_41:
	s_delay_alu instid0(SALU_CYCLE_1)
	s_or_b32 exec_lo, exec_lo, s0
	v_cmp_eq_u32_e64 s0, 0, v0
	s_and_saveexec_b32 s1, s0
	s_cbranch_execz .LBB8_43
; %bb.42:
	flat_load_b64 v[4:5], v[2:3] offset:32
	v_dual_mov_b32 v8, v12 :: v_dual_mov_b32 v9, v13
	ds_store_2addr_b64 v0, v[8:9], v[10:11] offset1:1
	s_trap 2
	s_wait_loadcnt_dscnt 0x1
	ds_store_b64 v0, v[4:5]
	ds_store_b64 v0, v[16:17]
.LBB8_43:
	s_wait_xcnt 0x0
	s_or_b32 exec_lo, exec_lo, s1
	v_mov_b64_e32 v[80:81], 0
	s_wait_loadcnt 0x0
	v_and_b32_e32 v8, 0xffff, v18
	s_mov_b32 s43, exec_lo
	v_cmpx_lt_i64_e32 0, v[22:23]
	s_cbranch_execz .LBB8_2647
; %bb.44:
	flat_load_b32 v4, v[2:3] offset:4
	s_clause 0x1
	scratch_store_b64 off, v[24:25], s33 offset:288
	scratch_store_b32 off, v8, s33 offset:296
	s_wait_xcnt 0x2
	v_dual_mov_b32 v3, 0 :: v_dual_bitop2_b32 v5, 31, v31 bitop3:0x40
	v_dual_ashrrev_i32 v67, 31, v66 :: v_dual_lshrrev_b32 v84, 5, v1
	v_cmp_ne_u32_e64 s3, v1, v8
	s_wait_xcnt 0x0
	v_dual_mov_b32 v111, 1 :: v_dual_ashrrev_i32 v8, 31, v0
	s_ashr_i32 s7, s6, 31
	v_and_b32_e32 v2, 0x1fffff00, v14
	s_lshr_b32 s7, s7, 29
	v_lshl_add_u32 v102, v84, 10, 0xfffffc00
	s_add_co_i32 s7, s6, s7
	v_cmp_eq_u32_e64 s6, 0, v5
	v_lshrrev_b32_e32 v5, 27, v8
	s_ashr_i32 s17, s16, 31
	v_lshl_add_u32 v100, v84, 11, 0xfffff800
	s_wait_dscnt 0x1
	v_mul_u64_e32 v[18:19], s[16:17], v[2:3]
	v_mov_b64_e32 v[56:57], v[2:3]
	v_dual_ashrrev_i32 v103, 31, v102 :: v_dual_lshlrev_b32 v123, 6, v84
	v_dual_add_nc_u32 v2, v0, v5 :: v_dual_ashrrev_i32 v101, 31, v100
	v_cmp_ge_i32_e32 vcc_lo, v0, v1
	s_add_co_i32 s44, s16, s16
	s_not_b32 s10, s16
	s_delay_alu instid0(VALU_DEP_2) | instskip(SKIP_4) | instid1(VALU_DEP_2)
	v_ashrrev_i32_e32 v124, 5, v2
	v_and_b32_e32 v2, 0xffffffe0, v2
	v_dual_mov_b32 v121, 0x88 :: v_dual_lshlrev_b32 v122, 9, v84
	s_ashr_i32 s11, s7, 4
	s_cmp_gt_i32 s16, 0
	v_dual_sub_nc_u32 v0, v0, v2 :: v_dual_lshlrev_b32 v5, 10, v124
	s_cselect_b32 s10, s10, -1
	s_ashr_i32 s7, s7, 31
	v_add_nc_u32_e32 v112, 0xfffffe00, v122
	v_subrev_nc_u32_e32 v114, 64, v123
	s_lshr_b32 s7, s7, 28
	s_add_co_i32 s24, s10, s44
	s_add_co_i32 s11, s11, s7
	s_ashr_i32 s25, s24, 31
	s_ashr_i32 s45, s11, 4
	v_dual_ashrrev_i32 v113, 31, v112 :: v_dual_ashrrev_i32 v115, 31, v114
	s_cmp_gt_i32 s16, 2
	v_mov_b64_e32 v[86:87], 0
	s_cselect_b32 s46, -1, 0
	s_add_co_i32 s13, s16, 1
	s_add_co_i32 s47, s33, 0xf0
	;; [unrolled: 1-line block ×7, first 2 shown]
	v_cmp_eq_u64_e64 s4, 0, v[70:71]
	v_cmp_ne_u64_e64 s5, 0, v[70:71]
	v_mov_b64_e32 v[96:97], 0
	v_mov_b64_e32 v[80:81], 0
	v_add_nc_u64_e32 v[116:117], 0x800, v[100:101]
	v_add_nc_u64_e32 v[118:119], 0x400, v[102:103]
	;; [unrolled: 1-line block ×4, first 2 shown]
	v_cmp_eq_u32_e64 s1, 32, v1
	v_cmp_ne_u32_e64 s2, 32, v1
	v_dual_mov_b32 v120, 0x90 :: v_dual_mov_b32 v85, v3
	s_mov_b32 s19, 0
	s_mov_b64 s[20:21], 0xffffffff
	s_add_nc_u64 s[22:23], s[16:17], -1
	s_mov_b32 s73, 0
	s_trap 2
	s_clause 0x1
	scratch_store_b128 off, v[22:25], s33 offset:264
	scratch_store_b64 off, v[18:19], s33 offset:280
	s_wait_loadcnt_dscnt 0x0
	v_and_b32_e32 v4, 1, v4
	v_lshlrev_b32_e32 v2, 4, v0
	v_cmp_gt_i32_e64 s7, 1, v0
	v_cmp_lt_i32_e64 s11, v0, v15
	v_cmp_le_i32_e64 s12, v0, v15
	v_cmp_eq_u32_e64 s10, 1, v4
	v_lshl_add_u32 v42, v124, 11, v2
	s_xor_b32 s61, s10, -1
	s_delay_alu instid0(VALU_DEP_1) | instskip(SKIP_3) | instid1(VALU_DEP_1)
	v_dual_ashrrev_i32 v43, 31, v42 :: v_dual_sub_nc_u32 v46, v42, v5
	s_cmp_ge_i32 s13, s16
	s_cselect_b32 s14, s16, 0
	s_add_co_i32 s62, s16, -2
	v_ashrrev_i32_e32 v47, 31, v46
	s_sub_co_i32 s28, s13, s14
	s_xor_b32 s63, vcc_lo, -1
	s_ashr_i32 s26, s17, 31
	s_sub_co_i32 s72, 0, s16
	s_ashr_i32 s29, s28, 31
	s_branch .LBB8_47
.LBB8_45:                               ;   in Loop: Header=BB8_47 Depth=1
	s_or_b32 exec_lo, exec_lo, s15
.LBB8_46:                               ;   in Loop: Header=BB8_47 Depth=1
	s_delay_alu instid0(SALU_CYCLE_1) | instskip(SKIP_4) | instid1(VALU_DEP_1)
	s_or_b32 exec_lo, exec_lo, s14
	scratch_load_b128 v[22:25], off, s33 offset:264 ; 16-byte Folded Reload
	s_wait_loadcnt 0x1
	v_add_nc_u64_e32 v[96:97], v[96:97], v[18:19]
	s_wait_loadcnt 0x0
	v_cmp_ge_i64_e32 vcc_lo, v[96:97], v[22:23]
	s_or_b32 s73, vcc_lo, s73
	s_wait_xcnt 0x0
	s_and_not1_b32 exec_lo, exec_lo, s73
	s_cbranch_execz .LBB8_2646
.LBB8_47:                               ; =>This Loop Header: Depth=1
                                        ;     Child Loop BB8_57 Depth 2
                                        ;       Child Loop BB8_65 Depth 3
                                        ;       Child Loop BB8_89 Depth 3
	;; [unrolled: 1-line block ×9, first 2 shown]
                                        ;     Child Loop BB8_230 Depth 2
                                        ;       Child Loop BB8_236 Depth 3
                                        ;       Child Loop BB8_260 Depth 3
	;; [unrolled: 1-line block ×3, first 2 shown]
                                        ;     Child Loop BB8_304 Depth 2
                                        ;       Child Loop BB8_307 Depth 3
                                        ;         Child Loop BB8_315 Depth 4
                                        ;         Child Loop BB8_343 Depth 4
	;; [unrolled: 1-line block ×5, first 2 shown]
                                        ;           Child Loop BB8_596 Depth 5
                                        ;           Child Loop BB8_633 Depth 5
                                        ;         Child Loop BB8_710 Depth 4
                                        ;         Child Loop BB8_817 Depth 4
                                        ;           Child Loop BB8_818 Depth 5
                                        ;           Child Loop BB8_827 Depth 5
                                        ;         Child Loop BB8_846 Depth 4
                                        ;         Child Loop BB8_865 Depth 4
                                        ;       Child Loop BB8_884 Depth 3
                                        ;         Child Loop BB8_890 Depth 4
                                        ;         Child Loop BB8_918 Depth 4
	;; [unrolled: 1-line block ×3, first 2 shown]
                                        ;     Child Loop BB8_959 Depth 2
                                        ;       Child Loop BB8_967 Depth 3
                                        ;       Child Loop BB8_995 Depth 3
	;; [unrolled: 1-line block ×5, first 2 shown]
                                        ;         Child Loop BB8_1246 Depth 4
                                        ;         Child Loop BB8_1281 Depth 4
	;; [unrolled: 1-line block ×4, first 2 shown]
                                        ;       Child Loop BB8_1357 Depth 3
                                        ;       Child Loop BB8_1365 Depth 3
	;; [unrolled: 1-line block ×3, first 2 shown]
                                        ;         Child Loop BB8_1475 Depth 4
                                        ;         Child Loop BB8_1482 Depth 4
	;; [unrolled: 1-line block ×4, first 2 shown]
                                        ;       Child Loop BB8_1501 Depth 3
                                        ;       Child Loop BB8_1513 Depth 3
	;; [unrolled: 1-line block ×3, first 2 shown]
                                        ;         Child Loop BB8_1720 Depth 4
                                        ;         Child Loop BB8_1757 Depth 4
                                        ;       Child Loop BB8_1834 Depth 3
                                        ;       Child Loop BB8_1941 Depth 3
                                        ;         Child Loop BB8_1942 Depth 4
                                        ;         Child Loop BB8_1951 Depth 4
                                        ;       Child Loop BB8_1970 Depth 3
                                        ;       Child Loop BB8_1993 Depth 3
                                        ;     Child Loop BB8_2012 Depth 2
                                        ;       Child Loop BB8_2018 Depth 3
                                        ;       Child Loop BB8_2046 Depth 3
	;; [unrolled: 1-line block ×3, first 2 shown]
                                        ;     Child Loop BB8_2087 Depth 2
                                        ;       Child Loop BB8_2090 Depth 3
                                        ;         Child Loop BB8_2098 Depth 4
                                        ;         Child Loop BB8_2126 Depth 4
	;; [unrolled: 1-line block ×5, first 2 shown]
                                        ;           Child Loop BB8_2188 Depth 5
                                        ;           Child Loop BB8_2193 Depth 5
                                        ;         Child Loop BB8_2199 Depth 4
                                        ;         Child Loop BB8_2207 Depth 4
	;; [unrolled: 1-line block ×3, first 2 shown]
                                        ;           Child Loop BB8_2219 Depth 5
                                        ;           Child Loop BB8_2224 Depth 5
                                        ;         Child Loop BB8_2228 Depth 4
                                        ;         Child Loop BB8_2240 Depth 4
	;; [unrolled: 1-line block ×7, first 2 shown]
                                        ;       Child Loop BB8_2333 Depth 3
                                        ;         Child Loop BB8_2339 Depth 4
                                        ;         Child Loop BB8_2367 Depth 4
	;; [unrolled: 1-line block ×3, first 2 shown]
                                        ;     Child Loop BB8_2411 Depth 2
                                        ;       Child Loop BB8_2419 Depth 3
                                        ;       Child Loop BB8_2443 Depth 3
                                        ;       Child Loop BB8_2462 Depth 3
                                        ;       Child Loop BB8_2491 Depth 3
                                        ;       Child Loop BB8_2503 Depth 3
                                        ;       Child Loop BB8_2519 Depth 3
                                        ;       Child Loop BB8_2530 Depth 3
                                        ;       Child Loop BB8_2544 Depth 3
                                        ;       Child Loop BB8_2563 Depth 3
                                        ;     Child Loop BB8_2580 Depth 2
                                        ;       Child Loop BB8_2586 Depth 3
                                        ;       Child Loop BB8_2610 Depth 3
                                        ;       Child Loop BB8_2633 Depth 3
	v_sub_nc_u64_e32 v[60:61], v[22:23], v[96:97]
	s_mov_b32 s40, exec_lo
	s_wait_xcnt 0x0
	s_delay_alu instid0(VALU_DEP_1)
	v_cmpx_lt_i64_e64 v[60:61], v[18:19]
	s_cbranch_execz .LBB8_53
; %bb.48:                               ;   in Loop: Header=BB8_47 Depth=1
	v_add_nc_u64_e32 v[8:9], s[22:23], v[60:61]
                                        ; implicit-def: $vgpr10_vgpr11
	s_mov_b32 s13, exec_lo
	s_delay_alu instid0(VALU_DEP_1) | instskip(NEXT) | instid1(VALU_DEP_1)
	v_dual_mov_b32 v4, v3 :: v_dual_bitop2_b32 v5, s17, v9 bitop3:0x54
	v_cmpx_ne_u64_e32 0, v[4:5]
	s_xor_b32 s41, exec_lo, s13
	s_cbranch_execz .LBB8_50
; %bb.49:                               ;   in Loop: Header=BB8_47 Depth=1
	s_mov_b32 s27, s26
	v_dual_mov_b32 v13, v3 :: v_dual_ashrrev_i32 v4, 31, v9
	s_add_nc_u64 s[14:15], s[16:17], s[26:27]
	v_mov_b32_e32 v17, v3
	s_xor_b64 s[14:15], s[14:15], s[26:27]
	s_delay_alu instid0(VALU_DEP_2) | instskip(SKIP_3) | instid1(VALU_DEP_1)
	v_mov_b32_e32 v5, v4
	s_cvt_f32_u32 s13, s14
	s_cvt_f32_u32 s18, s15
	s_sub_nc_u64 s[76:77], 0, s[14:15]
	v_add_nc_u64_e32 v[8:9], v[8:9], v[4:5]
	s_delay_alu instid0(SALU_CYCLE_1) | instskip(NEXT) | instid1(SALU_CYCLE_3)
	s_fmamk_f32 s13, s18, 0x4f800000, s13
	v_s_rcp_f32 s13, s13
	s_delay_alu instid0(VALU_DEP_1) | instskip(NEXT) | instid1(VALU_DEP_2)
	v_xor_b32_e32 v2, v8, v4
	v_xor_b32_e32 v12, v9, v4
	;; [unrolled: 1-line block ×3, first 2 shown]
	s_delay_alu instid0(TRANS32_DEP_1) | instskip(NEXT) | instid1(SALU_CYCLE_3)
	s_mul_f32 s13, s13, 0x5f7ffffc
	s_mul_f32 s18, s13, 0x2f800000
	s_delay_alu instid0(SALU_CYCLE_3) | instskip(NEXT) | instid1(SALU_CYCLE_3)
	s_trunc_f32 s18, s18
	s_fmamk_f32 s13, s18, 0xcf800000, s13
	s_cvt_u32_f32 s75, s18
	s_delay_alu instid0(SALU_CYCLE_2) | instskip(NEXT) | instid1(SALU_CYCLE_3)
	s_cvt_u32_f32 s74, s13
	s_mul_u64 s[78:79], s[76:77], s[74:75]
	s_delay_alu instid0(SALU_CYCLE_1)
	s_mul_hi_u32 s89, s74, s79
	s_mul_i32 s88, s74, s79
	s_mul_hi_u32 s18, s74, s78
	s_mul_i32 s27, s75, s78
	s_add_nc_u64 s[88:89], s[18:19], s[88:89]
	s_mul_hi_u32 s13, s75, s78
	s_mul_hi_u32 s90, s75, s79
	s_add_co_u32 s18, s88, s27
	s_add_co_ci_u32 s18, s89, s13
	s_mul_i32 s78, s75, s79
	s_add_co_ci_u32 s79, s90, 0
	s_delay_alu instid0(SALU_CYCLE_1) | instskip(NEXT) | instid1(SALU_CYCLE_1)
	s_add_nc_u64 s[78:79], s[18:19], s[78:79]
	s_add_co_u32 s74, s74, s78
	s_cselect_b32 s13, -1, 0
	s_delay_alu instid0(SALU_CYCLE_1) | instskip(SKIP_1) | instid1(SALU_CYCLE_1)
	s_cmp_lg_u32 s13, 0
	s_add_co_ci_u32 s75, s75, s79
	s_mul_u64 s[76:77], s[76:77], s[74:75]
	s_delay_alu instid0(SALU_CYCLE_1)
	s_mul_hi_u32 s79, s74, s77
	s_mul_i32 s78, s74, s77
	s_mul_hi_u32 s18, s74, s76
	s_mul_i32 s27, s75, s76
	s_add_nc_u64 s[78:79], s[18:19], s[78:79]
	s_mul_hi_u32 s13, s75, s76
	s_mul_hi_u32 s88, s75, s77
	s_add_co_u32 s18, s78, s27
	s_add_co_ci_u32 s18, s79, s13
	s_mul_i32 s76, s75, s77
	s_add_co_ci_u32 s77, s88, 0
	s_delay_alu instid0(SALU_CYCLE_1) | instskip(NEXT) | instid1(SALU_CYCLE_1)
	s_add_nc_u64 s[76:77], s[18:19], s[76:77]
	s_add_co_u32 s74, s74, s76
	s_cselect_b32 s13, -1, 0
	v_mul_hi_u32 v16, v2, s74
	s_cmp_lg_u32 s13, 0
	s_add_co_ci_u32 s18, s75, s77
	s_and_b64 s[76:77], s[74:75], s[20:21]
	v_mul_u64_e32 v[10:11], s[18:19], v[2:3]
	v_mul_u64_e32 v[8:9], s[76:77], v[12:13]
	;; [unrolled: 1-line block ×3, first 2 shown]
	s_delay_alu instid0(VALU_DEP_3) | instskip(NEXT) | instid1(VALU_DEP_1)
	v_add_nc_u64_e32 v[10:11], v[16:17], v[10:11]
	v_add_co_u32 v5, vcc_lo, v10, v8
	s_delay_alu instid0(VALU_DEP_2) | instskip(NEXT) | instid1(VALU_DEP_4)
	v_add_co_ci_u32_e32 v16, vcc_lo, v11, v9, vcc_lo
	v_add_co_ci_u32_e32 v15, vcc_lo, 0, v15, vcc_lo
	s_delay_alu instid0(VALU_DEP_1) | instskip(NEXT) | instid1(VALU_DEP_1)
	v_add_nc_u64_e32 v[8:9], v[16:17], v[14:15]
	v_mul_u64_e32 v[10:11], s[14:15], v[8:9]
	s_delay_alu instid0(VALU_DEP_1) | instskip(NEXT) | instid1(VALU_DEP_2)
	v_sub_nc_u32_e32 v5, v12, v11
	v_sub_co_u32 v2, vcc_lo, v2, v10
	s_delay_alu instid0(VALU_DEP_1) | instskip(NEXT) | instid1(VALU_DEP_3)
	v_sub_co_ci_u32_e64 v14, null, v12, v11, vcc_lo
	v_subrev_co_ci_u32_e64 v5, null, s15, v5, vcc_lo
	s_delay_alu instid0(VALU_DEP_3) | instskip(SKIP_1) | instid1(VALU_DEP_3)
	v_sub_co_u32 v10, s13, v2, s14
	v_add_nc_u64_e32 v[12:13], 1, v[8:9]
	v_subrev_co_ci_u32_e64 v5, null, 0, v5, s13
	s_delay_alu instid0(VALU_DEP_3) | instskip(SKIP_1) | instid1(VALU_DEP_3)
	v_cmp_le_u32_e32 vcc_lo, s14, v10
	v_cndmask_b32_e64 v10, 0, -1, vcc_lo
	v_cmp_le_u32_e32 vcc_lo, s15, v5
	v_cndmask_b32_e64 v11, 0, -1, vcc_lo
	;; [unrolled: 2-line block ×4, first 2 shown]
	v_cmp_eq_u32_e32 vcc_lo, s15, v5
	v_cndmask_b32_e32 v5, v11, v10, vcc_lo
	v_cmp_eq_u32_e32 vcc_lo, s15, v14
	v_add_nc_u64_e32 v[10:11], 2, v[8:9]
	v_cndmask_b32_e32 v2, v15, v2, vcc_lo
	s_delay_alu instid0(VALU_DEP_4) | instskip(NEXT) | instid1(VALU_DEP_2)
	v_cmp_ne_u32_e32 vcc_lo, 0, v5
	v_cmp_ne_u32_e64 s13, 0, v2
	s_delay_alu instid0(VALU_DEP_4) | instskip(NEXT) | instid1(VALU_DEP_1)
	v_dual_cndmask_b32 v5, v13, v11 :: v_dual_cndmask_b32 v2, v12, v10
	v_dual_cndmask_b32 v9, v9, v5, s13 :: v_dual_cndmask_b32 v2, v8, v2, s13
	s_delay_alu instid0(VALU_DEP_1) | instskip(NEXT) | instid1(VALU_DEP_2)
	v_dual_mov_b32 v5, v4 :: v_dual_bitop2_b32 v9, v9, v4 bitop3:0x14
	v_xor_b32_e32 v8, v2, v4
	s_delay_alu instid0(VALU_DEP_1)
	v_sub_nc_u64_e32 v[10:11], v[8:9], v[4:5]
                                        ; implicit-def: $vgpr8_vgpr9
.LBB8_50:                               ;   in Loop: Header=BB8_47 Depth=1
	s_and_not1_saveexec_b32 s13, s41
	s_cbranch_execz .LBB8_52
; %bb.51:                               ;   in Loop: Header=BB8_47 Depth=1
	v_cvt_f32_u32_e32 v2, s16
	s_delay_alu instid0(VALU_DEP_1) | instskip(SKIP_1) | instid1(TRANS32_DEP_1)
	v_rcp_iflag_f32_e32 v2, v2
	v_nop
	v_mul_f32_e32 v2, 0x4f7ffffe, v2
	s_delay_alu instid0(VALU_DEP_1) | instskip(NEXT) | instid1(VALU_DEP_1)
	v_cvt_u32_f32_e32 v2, v2
	v_mul_lo_u32 v4, s72, v2
	s_delay_alu instid0(VALU_DEP_1) | instskip(NEXT) | instid1(VALU_DEP_1)
	v_mul_hi_u32 v4, v2, v4
	v_add_nc_u32_e32 v2, v2, v4
	s_delay_alu instid0(VALU_DEP_1) | instskip(NEXT) | instid1(VALU_DEP_1)
	v_mul_hi_u32 v2, v8, v2
	v_mul_lo_u32 v4, v2, s16
	s_delay_alu instid0(VALU_DEP_1) | instskip(NEXT) | instid1(VALU_DEP_1)
	v_sub_nc_u32_e32 v4, v8, v4
	v_subrev_nc_u32_e32 v8, s16, v4
	v_cmp_le_u32_e32 vcc_lo, s16, v4
	s_delay_alu instid0(VALU_DEP_2) | instskip(NEXT) | instid1(VALU_DEP_1)
	v_dual_cndmask_b32 v4, v4, v8 :: v_dual_add_nc_u32 v5, 1, v2
	v_cndmask_b32_e32 v2, v2, v5, vcc_lo
	s_delay_alu instid0(VALU_DEP_2) | instskip(NEXT) | instid1(VALU_DEP_2)
	v_cmp_le_u32_e32 vcc_lo, s16, v4
	v_add_nc_u32_e32 v5, 1, v2
	s_delay_alu instid0(VALU_DEP_1) | instskip(NEXT) | instid1(VALU_DEP_1)
	v_cndmask_b32_e32 v2, v2, v5, vcc_lo
	v_mov_b64_e32 v[10:11], v[2:3]
.LBB8_52:                               ;   in Loop: Header=BB8_47 Depth=1
	s_or_b32 exec_lo, exec_lo, s13
	s_delay_alu instid0(VALU_DEP_1) | instskip(NEXT) | instid1(VALU_DEP_1)
	v_add_nc_u64_e32 v[56:57], 7, v[10:11]
	v_and_b32_e32 v56, -8, v56
.LBB8_53:                               ;   in Loop: Header=BB8_47 Depth=1
	s_or_b32 exec_lo, exec_lo, s40
	scratch_load_b64 v[8:9], off, s33 offset:256 ; 8-byte Folded Reload
	v_mul_u64_e32 v[76:77], s[24:25], v[56:57]
	v_mov_b32_e32 v74, 0
	s_delay_alu instid0(VALU_DEP_2) | instskip(NEXT) | instid1(VALU_DEP_1)
	v_sub_nc_u64_e32 v[4:5], v[60:61], v[76:77]
	v_min_i64 v[4:5], v[56:57], v[4:5]
	s_delay_alu instid0(VALU_DEP_1) | instskip(SKIP_1) | instid1(VALU_DEP_2)
	v_max_i32_e32 v104, 0, v4
	v_cmp_lt_i32_e32 vcc_lo, 0, v4
	v_add_nc_u32_e32 v2, 31, v104
	s_and_b32 s13, s63, vcc_lo
	s_delay_alu instid0(VALU_DEP_1) | instskip(NEXT) | instid1(VALU_DEP_1)
	v_lshrrev_b32_e32 v2, 1, v2
	v_and_b32_e32 v5, 0x3ffffff0, v2
	s_delay_alu instid0(VALU_DEP_1)
	v_dual_mov_b32 v2, 0 :: v_dual_max_i32 v72, s45, v5
	s_wait_loadcnt 0x0
	v_add_nc_u64_e32 v[62:63], v[96:97], v[8:9]
	s_wait_xcnt 0x0
	s_and_saveexec_b32 s14, s13
	s_cbranch_execz .LBB8_226
; %bb.54:                               ;   in Loop: Header=BB8_47 Depth=1
	v_mov_b32_e32 v74, 0
	s_mov_b32 s27, 1
	s_mov_b32 s18, -1
	s_mov_b32 s15, 0
	s_branch .LBB8_57
.LBB8_55:                               ;   in Loop: Header=BB8_57 Depth=2
	s_wait_xcnt 0x0
	s_or_b32 exec_lo, exec_lo, s40
	v_add_nc_u64_e32 v[58:59], 2, v[58:59]
	global_wb scope:SCOPE_SYS
	s_wait_storecnt 0x0
	s_wait_loadcnt_dscnt 0x0
	flat_store_b64 v[64:65], v[58:59] scope:SCOPE_SYS
.LBB8_56:                               ;   in Loop: Header=BB8_57 Depth=2
	s_wait_xcnt 0x0
	s_or_b32 exec_lo, exec_lo, s13
	v_dual_add_nc_u32 v74, v72, v74 :: v_dual_mov_b32 v2, s27
	s_xor_b32 s13, s18, -1
	s_mov_b32 s18, 0
	s_mov_b32 s27, 2
	s_delay_alu instid0(VALU_DEP_1) | instskip(SKIP_1) | instid1(SALU_CYCLE_1)
	v_cmp_ge_i32_e32 vcc_lo, v74, v104
	s_or_b32 s13, s13, vcc_lo
	s_and_b32 s13, exec_lo, s13
	s_delay_alu instid0(SALU_CYCLE_1) | instskip(NEXT) | instid1(SALU_CYCLE_1)
	s_or_b32 s15, s13, s15
	s_and_not1_b32 exec_lo, exec_lo, s15
	s_cbranch_execz .LBB8_225
.LBB8_57:                               ;   Parent Loop BB8_47 Depth=1
                                        ; =>  This Loop Header: Depth=2
                                        ;       Child Loop BB8_65 Depth 3
                                        ;       Child Loop BB8_89 Depth 3
	;; [unrolled: 1-line block ×9, first 2 shown]
	s_and_saveexec_b32 s13, s0
	s_cbranch_execz .LBB8_59
; %bb.58:                               ;   in Loop: Header=BB8_57 Depth=2
	s_trap 2
	ds_load_b64 v[4:5], v0
	v_ashrrev_i32_e32 v75, 31, v74
	s_wait_dscnt 0x0
	v_lshl_add_u64 v[4:5], v[62:63], 1, v[4:5]
	s_delay_alu instid0(VALU_DEP_1) | instskip(NEXT) | instid1(VALU_DEP_1)
	v_lshl_add_u64 v[4:5], v[76:77], 1, v[4:5]
	v_lshl_add_u64 v[4:5], v[74:75], 1, v[4:5]
	ds_store_b64 v0, v[4:5]
	ds_store_b64 v0, v[86:87]
.LBB8_59:                               ;   in Loop: Header=BB8_57 Depth=2
	s_or_b32 exec_lo, exec_lo, s13
	v_sub_nc_u32_e32 v2, v104, v74
	v_and_b32_e32 v4, 8, v30
	s_mov_b32 s40, exec_lo
	s_delay_alu instid0(VALU_DEP_2) | instskip(NEXT) | instid1(VALU_DEP_2)
	v_min_i32_e32 v72, v72, v2
	v_cmpx_ne_u32_e32 0, v4
	s_cbranch_execz .LBB8_81
; %bb.60:                               ;   in Loop: Header=BB8_57 Depth=2
	s_wait_loadcnt_dscnt 0x1
	v_add_nc_u64_e32 v[4:5], 8, v[82:83]
	v_add_nc_u64_e32 v[8:9], 2, v[58:59]
	s_mov_b32 s41, exec_lo
	s_delay_alu instid0(VALU_DEP_1)
	v_cmpx_lt_u64_e64 v[4:5], v[8:9]
	s_cbranch_execz .LBB8_72
; %bb.61:                               ;   in Loop: Header=BB8_57 Depth=2
	v_and_b32_e32 v2, 64, v30
	s_mov_b32 s74, 0
	s_mov_b32 s78, 0
                                        ; implicit-def: $sgpr75
                                        ; implicit-def: $sgpr76
                                        ; implicit-def: $sgpr77
	s_delay_alu instid0(VALU_DEP_1)
	v_cmp_eq_u32_e32 vcc_lo, 0, v2
	s_branch .LBB8_65
.LBB8_62:                               ;   in Loop: Header=BB8_65 Depth=3
	s_wait_loadcnt_dscnt 0x0
	v_add_nc_u64_e32 v[4:5], 8, v[82:83]
	s_or_b32 s89, s89, exec_lo
	s_delay_alu instid0(VALU_DEP_1)
	v_cmp_ge_u64_e64 s13, v[4:5], v[8:9]
	s_or_not1_b32 s88, s13, exec_lo
.LBB8_63:                               ;   in Loop: Header=BB8_65 Depth=3
	s_or_b32 exec_lo, exec_lo, s91
	s_delay_alu instid0(SALU_CYCLE_1)
	s_and_not1_b32 s13, s77, exec_lo
	s_and_b32 s77, s89, exec_lo
	s_and_not1_b32 s76, s76, exec_lo
	s_and_b32 s88, s88, exec_lo
	s_or_b32 s77, s13, s77
	s_or_b32 s76, s76, s88
.LBB8_64:                               ;   in Loop: Header=BB8_65 Depth=3
	s_or_b32 exec_lo, exec_lo, s79
	s_delay_alu instid0(SALU_CYCLE_1) | instskip(NEXT) | instid1(SALU_CYCLE_1)
	s_and_b32 s13, exec_lo, s76
	s_or_b32 s74, s13, s74
	s_and_not1_b32 s13, s75, exec_lo
	s_and_b32 s75, s77, exec_lo
	s_delay_alu instid0(SALU_CYCLE_1)
	s_or_b32 s75, s13, s75
	s_and_not1_b32 exec_lo, exec_lo, s74
	s_cbranch_execz .LBB8_69
.LBB8_65:                               ;   Parent Loop BB8_47 Depth=1
                                        ;     Parent Loop BB8_57 Depth=2
                                        ; =>    This Inner Loop Header: Depth=3
	s_sleep 1
	s_wait_loadcnt_dscnt 0x0
	flat_load_b64 v[82:83], v[64:65] scope:SCOPE_SYS
	s_or_b32 s77, s77, exec_lo
	s_or_b32 s76, s76, exec_lo
                                        ; implicit-def: $vgpr2
	s_wait_xcnt 0x0
	s_and_saveexec_b32 s79, vcc_lo
	s_cbranch_execz .LBB8_64
; %bb.66:                               ;   in Loop: Header=BB8_65 Depth=3
	s_cmp_lt_i32 s78, 0x270f
	s_mov_b32 s88, -1
	s_cselect_b32 s90, -1, 0
	s_cmp_gt_i32 s78, 0x270e
	s_cbranch_scc0 .LBB8_68
; %bb.67:                               ;   in Loop: Header=BB8_65 Depth=3
	s_trap 2
	ds_load_b64 v[4:5], v0
	s_and_not1_b32 s78, s90, exec_lo
	s_mov_b32 s89, 0
	s_wait_storecnt 0x0
	s_wait_loadcnt_dscnt 0x0
	flat_load_b32 v2, v[4:5] scope:SCOPE_SYS
	s_wait_loadcnt_dscnt 0x0
	global_inv scope:SCOPE_SYS
	v_cmp_eq_u32_e64 s13, 0, v2
	s_and_b32 s13, s13, exec_lo
	s_delay_alu instid0(SALU_CYCLE_1)
	s_or_b32 s90, s78, s13
	s_mov_b32 s78, 0
	s_wait_xcnt 0x0
	s_and_saveexec_b32 s91, s90
	s_cbranch_execz .LBB8_63
	s_branch .LBB8_62
.LBB8_68:                               ;   in Loop: Header=BB8_65 Depth=3
	s_add_co_i32 s78, s78, 1
	s_mov_b32 s89, -1
                                        ; implicit-def: $vgpr2
	s_and_saveexec_b32 s91, s90
	s_cbranch_execz .LBB8_63
	s_branch .LBB8_62
.LBB8_69:                               ;   in Loop: Header=BB8_57 Depth=2
	s_or_b32 exec_lo, exec_lo, s74
	s_xor_b32 s13, s75, -1
	s_delay_alu instid0(SALU_CYCLE_1) | instskip(NEXT) | instid1(SALU_CYCLE_1)
	s_and_saveexec_b32 s74, s13
	s_xor_b32 s13, exec_lo, s74
	s_cbranch_execz .LBB8_71
; %bb.70:                               ;   in Loop: Header=BB8_57 Depth=2
	v_or_b32_e32 v30, 64, v30
	s_wait_storecnt 0x0
	s_wait_loadcnt_dscnt 0x0
	ds_store_b32 v0, v2
	s_trap 2
.LBB8_71:                               ;   in Loop: Header=BB8_57 Depth=2
	s_or_b32 exec_lo, exec_lo, s13
.LBB8_72:                               ;   in Loop: Header=BB8_57 Depth=2
	s_delay_alu instid0(SALU_CYCLE_1) | instskip(SKIP_3) | instid1(VALU_DEP_1)
	s_or_b32 exec_lo, exec_lo, s41
	v_and_b32_e32 v2, 0x100, v30
	s_mov_b32 s41, 0
	;;#ASMSTART
	s_wakeup
	;;#ASMEND
                                        ; implicit-def: $vgpr10_vgpr11
	v_cmp_ne_u32_e32 vcc_lo, 0, v2
	v_and_b32_e32 v2, 7, v58
	s_and_saveexec_b32 s13, vcc_lo
	s_delay_alu instid0(SALU_CYCLE_1)
	s_xor_b32 s13, exec_lo, s13
	s_cbranch_execz .LBB8_93
; %bb.73:                               ;   in Loop: Header=BB8_57 Depth=2
	s_delay_alu instid0(VALU_DEP_1) | instskip(SKIP_2) | instid1(VALU_DEP_1)
	v_mad_nc_u64_u32 v[12:13], v2, 24, v[6:7]
	v_ashrrev_i32_e32 v73, 31, v72
	s_mov_b32 s41, -1
	v_lshlrev_b64_e32 v[4:5], 1, v[72:73]
	s_clause 0x1
	flat_load_b32 v10, v[12:13]
	flat_store_b64 v[12:13], v[4:5] offset:8
	s_wait_loadcnt_dscnt 0x1
	v_cmp_eq_u32_e32 vcc_lo, 1, v10
                                        ; implicit-def: $vgpr10_vgpr11
	s_wait_xcnt 0x0
	s_and_saveexec_b32 s74, vcc_lo
	s_cbranch_execz .LBB8_75
; %bb.74:                               ;   in Loop: Header=BB8_57 Depth=2
	flat_load_b32 v4, v[12:13] offset:4 scope:SCOPE_SYS
	s_xor_b32 s41, exec_lo, -1
	s_wait_loadcnt_dscnt 0x0
	v_ashrrev_i32_e32 v5, 31, v4
	s_delay_alu instid0(VALU_DEP_1)
	v_lshrrev_b64 v[10:11], 1, v[4:5]
.LBB8_75:                               ;   in Loop: Header=BB8_57 Depth=2
	s_wait_xcnt 0x0
	s_or_b32 exec_lo, exec_lo, s74
	s_delay_alu instid0(SALU_CYCLE_1)
	s_and_b32 s41, s41, exec_lo
	s_and_not1_saveexec_b32 s13, s13
	s_cbranch_execnz .LBB8_94
.LBB8_76:                               ;   in Loop: Header=BB8_57 Depth=2
	s_or_b32 exec_lo, exec_lo, s13
	s_and_saveexec_b32 s13, s41
.LBB8_77:                               ;   in Loop: Header=BB8_57 Depth=2
	v_mul_u64_e32 v[10:11], v[2:3], v[66:67]
.LBB8_78:                               ;   in Loop: Header=BB8_57 Depth=2
	s_or_b32 exec_lo, exec_lo, s13
	v_and_b32_e32 v2, 0x2000, v30
	s_delay_alu instid0(VALU_DEP_2)
	v_lshl_add_u64 v[4:5], v[10:11], 1, v[68:69]
	s_mov_b32 s13, exec_lo
	ds_store_b64 v0, v[4:5] offset:784
	v_cmpx_ne_u32_e32 0, v2
	s_cbranch_execz .LBB8_80
; %bb.79:                               ;   in Loop: Header=BB8_57 Depth=2
	ds_load_b64 v[4:5], v0 offset:872
	s_wait_dscnt 0x0
	v_add_nc_u64_e32 v[4:5], 1, v[4:5]
	ds_store_b64 v0, v[4:5] offset:872
.LBB8_80:                               ;   in Loop: Header=BB8_57 Depth=2
	s_or_b32 exec_lo, exec_lo, s13
	v_mov_b64_e32 v[58:59], v[8:9]
.LBB8_81:                               ;   in Loop: Header=BB8_57 Depth=2
	s_or_b32 exec_lo, exec_lo, s40
	s_and_saveexec_b32 s13, s2
	s_cbranch_execz .LBB8_102
; %bb.82:                               ;   in Loop: Header=BB8_57 Depth=2
	s_and_saveexec_b32 s40, s3
	s_delay_alu instid0(SALU_CYCLE_1)
	s_xor_b32 s40, exec_lo, s40
	s_cbranch_execz .LBB8_99
; %bb.83:                               ;   in Loop: Header=BB8_57 Depth=2
	s_and_saveexec_b32 s41, s6
	s_cbranch_execz .LBB8_98
; %bb.84:                               ;   in Loop: Header=BB8_57 Depth=2
	s_mov_b32 s75, exec_lo
	s_mov_b32 s74, exec_lo
	v_mbcnt_lo_u32_b32 v2, s75, 0
	global_wb scope:SCOPE_DEV
	s_wait_storecnt 0x0
	s_wait_loadcnt_dscnt 0x0
	global_inv scope:SCOPE_DEV
	v_cmpx_eq_u32_e32 0, v2
	s_cbranch_execz .LBB8_86
; %bb.85:                               ;   in Loop: Header=BB8_57 Depth=2
	s_bcnt1_i32_b32 s75, s75
	s_delay_alu instid0(SALU_CYCLE_1)
	v_mov_b32_e32 v2, s75
	s_wait_loadcnt 0x0
	ds_add_u64 v0, v[2:3]
	s_trap 2
.LBB8_86:                               ;   in Loop: Header=BB8_57 Depth=2
	s_or_b32 exec_lo, exec_lo, s74
	s_trap 2
	ds_load_b64 v[4:5], v0
	s_wait_dscnt 0x0
	v_add_nc_u64_e32 v[80:81], v[80:81], v[84:85]
	s_mov_b32 s74, exec_lo
	s_delay_alu instid0(VALU_DEP_1)
	v_cmpx_lt_u64_e64 v[4:5], v[80:81]
	s_cbranch_execz .LBB8_97
; %bb.87:                               ;   in Loop: Header=BB8_57 Depth=2
	s_mov_b32 s75, 0
	s_mov_b32 s78, 0
                                        ; implicit-def: $sgpr76
                                        ; implicit-def: $sgpr77
	s_branch .LBB8_89
.LBB8_88:                               ;   in Loop: Header=BB8_89 Depth=3
	s_or_b32 exec_lo, exec_lo, s88
	s_delay_alu instid0(SALU_CYCLE_1) | instskip(NEXT) | instid1(SALU_CYCLE_1)
	s_and_b32 s79, exec_lo, s89
	s_or_b32 s75, s79, s75
	s_and_not1_b32 s76, s76, exec_lo
	s_and_b32 s79, s77, exec_lo
	s_delay_alu instid0(SALU_CYCLE_1)
	s_or_b32 s76, s76, s79
	s_and_not1_b32 exec_lo, exec_lo, s75
	s_cbranch_execz .LBB8_95
.LBB8_89:                               ;   Parent Loop BB8_47 Depth=1
                                        ;     Parent Loop BB8_57 Depth=2
                                        ; =>    This Inner Loop Header: Depth=3
	s_add_co_i32 s78, s78, 1
	s_delay_alu instid0(SALU_CYCLE_1) | instskip(SKIP_1) | instid1(SALU_CYCLE_1)
	s_cmp_lg_u32 s78, 0x2710
	s_cselect_b32 s79, -1, 0
	s_and_b32 vcc_lo, exec_lo, s79
	s_cbranch_vccz .LBB8_91
; %bb.90:                               ;   in Loop: Header=BB8_89 Depth=3
	s_mov_b32 s89, -1
	s_or_b32 s77, s77, exec_lo
	s_and_saveexec_b32 s88, s79
	s_cbranch_execz .LBB8_88
	s_branch .LBB8_92
.LBB8_91:                               ;   in Loop: Header=BB8_89 Depth=3
	s_trap 2
	ds_load_b64 v[4:5], v0
	s_and_not1_b32 s79, s79, exec_lo
	s_mov_b32 s78, 0
	s_wait_loadcnt_dscnt 0x0
	flat_load_b32 v2, v[4:5] scope:SCOPE_SYS
	s_wait_loadcnt_dscnt 0x0
	global_inv scope:SCOPE_SYS
	v_cmp_eq_u32_e32 vcc_lo, 0, v2
	s_and_b32 s88, vcc_lo, exec_lo
	s_delay_alu instid0(SALU_CYCLE_1)
	s_or_b32 s79, s79, s88
	s_mov_b32 s89, -1
	s_or_b32 s77, s77, exec_lo
	s_wait_xcnt 0x0
	s_and_saveexec_b32 s88, s79
	s_cbranch_execz .LBB8_88
.LBB8_92:                               ;   in Loop: Header=BB8_89 Depth=3
	s_sleep 1
	s_trap 2
	ds_load_b64 v[4:5], v0
	s_wait_dscnt 0x0
	s_and_not1_b32 s77, s77, exec_lo
	v_cmp_ge_u64_e32 vcc_lo, v[4:5], v[80:81]
	s_or_not1_b32 s89, vcc_lo, exec_lo
	s_branch .LBB8_88
.LBB8_93:                               ;   in Loop: Header=BB8_57 Depth=2
	s_and_not1_saveexec_b32 s13, s13
	s_cbranch_execz .LBB8_76
.LBB8_94:                               ;   in Loop: Header=BB8_57 Depth=2
	s_or_b32 s41, s41, exec_lo
	s_or_b32 exec_lo, exec_lo, s13
	s_and_saveexec_b32 s13, s41
	s_cbranch_execnz .LBB8_77
	s_branch .LBB8_78
.LBB8_95:                               ;   in Loop: Header=BB8_57 Depth=2
	s_or_b32 exec_lo, exec_lo, s75
	s_and_saveexec_b32 s75, s76
	s_delay_alu instid0(SALU_CYCLE_1)
	s_xor_b32 s75, exec_lo, s75
	s_cbranch_execz .LBB8_97
; %bb.96:                               ;   in Loop: Header=BB8_57 Depth=2
	ds_store_b32 v0, v111
	s_trap 2
.LBB8_97:                               ;   in Loop: Header=BB8_57 Depth=2
	s_or_b32 exec_lo, exec_lo, s74
	;;#ASMSTART
	s_wakeup
	;;#ASMEND
.LBB8_98:                               ;   in Loop: Header=BB8_57 Depth=2
	s_or_b32 exec_lo, exec_lo, s41
.LBB8_99:                               ;   in Loop: Header=BB8_57 Depth=2
	s_and_not1_saveexec_b32 s40, s40
	s_cbranch_execz .LBB8_101
; %bb.100:                              ;   in Loop: Header=BB8_57 Depth=2
	global_wb scope:SCOPE_DEV
	s_wait_storecnt 0x0
	s_wait_loadcnt_dscnt 0x0
	global_inv scope:SCOPE_DEV
	s_barrier_signal -1
	s_barrier_wait -1
.LBB8_101:                              ;   in Loop: Header=BB8_57 Depth=2
	s_or_b32 exec_lo, exec_lo, s40
.LBB8_102:                              ;   in Loop: Header=BB8_57 Depth=2
	s_delay_alu instid0(SALU_CYCLE_1) | instskip(SKIP_4) | instid1(VALU_DEP_1)
	s_or_b32 exec_lo, exec_lo, s13
	s_trap 2
	ds_load_b32 v8, v0
	v_and_b32_e32 v2, 0x4000, v30
	s_xor_b32 s13, s1, -1
	v_cmp_ne_u32_e32 vcc_lo, 0, v2
	s_and_b32 s40, s13, vcc_lo
	s_delay_alu instid0(SALU_CYCLE_1)
	s_and_saveexec_b32 s13, s40
	s_cbranch_execz .LBB8_121
; %bb.103:                              ;   in Loop: Header=BB8_57 Depth=2
	s_and_saveexec_b32 s40, s3
	s_delay_alu instid0(SALU_CYCLE_1)
	s_xor_b32 s40, exec_lo, s40
	s_cbranch_execz .LBB8_118
; %bb.104:                              ;   in Loop: Header=BB8_57 Depth=2
	s_and_saveexec_b32 s41, s6
	s_cbranch_execz .LBB8_117
; %bb.105:                              ;   in Loop: Header=BB8_57 Depth=2
	s_mov_b32 s75, exec_lo
	s_mov_b32 s74, exec_lo
	v_mbcnt_lo_u32_b32 v2, s75, 0
	global_wb scope:SCOPE_DEV
	s_wait_storecnt 0x0
	s_wait_loadcnt_dscnt 0x0
	global_inv scope:SCOPE_DEV
	v_cmpx_eq_u32_e32 0, v2
	s_cbranch_execz .LBB8_107
; %bb.106:                              ;   in Loop: Header=BB8_57 Depth=2
	s_bcnt1_i32_b32 s75, s75
	s_delay_alu instid0(SALU_CYCLE_1)
	v_mov_b32_e32 v2, s75
	s_wait_loadcnt 0x0
	ds_add_u64 v0, v[2:3]
	s_trap 2
.LBB8_107:                              ;   in Loop: Header=BB8_57 Depth=2
	s_or_b32 exec_lo, exec_lo, s74
	s_trap 2
	ds_load_b64 v[4:5], v0
	s_wait_dscnt 0x0
	v_add_nc_u64_e32 v[80:81], v[80:81], v[84:85]
	s_mov_b32 s74, exec_lo
	s_delay_alu instid0(VALU_DEP_1)
	v_cmpx_lt_u64_e64 v[4:5], v[80:81]
	s_cbranch_execz .LBB8_116
; %bb.108:                              ;   in Loop: Header=BB8_57 Depth=2
	s_mov_b32 s75, 0
	s_mov_b32 s78, 0
                                        ; implicit-def: $sgpr76
                                        ; implicit-def: $sgpr77
	s_branch .LBB8_110
.LBB8_109:                              ;   in Loop: Header=BB8_110 Depth=3
	s_or_b32 exec_lo, exec_lo, s88
	s_delay_alu instid0(SALU_CYCLE_1) | instskip(NEXT) | instid1(SALU_CYCLE_1)
	s_and_b32 s79, exec_lo, s89
	s_or_b32 s75, s79, s75
	s_and_not1_b32 s76, s76, exec_lo
	s_and_b32 s79, s77, exec_lo
	s_delay_alu instid0(SALU_CYCLE_1)
	s_or_b32 s76, s76, s79
	s_and_not1_b32 exec_lo, exec_lo, s75
	s_cbranch_execz .LBB8_114
.LBB8_110:                              ;   Parent Loop BB8_47 Depth=1
                                        ;     Parent Loop BB8_57 Depth=2
                                        ; =>    This Inner Loop Header: Depth=3
	s_add_co_i32 s78, s78, 1
	s_delay_alu instid0(SALU_CYCLE_1) | instskip(SKIP_1) | instid1(SALU_CYCLE_1)
	s_cmp_lg_u32 s78, 0x2710
	s_cselect_b32 s79, -1, 0
	s_and_b32 vcc_lo, exec_lo, s79
	s_cbranch_vccz .LBB8_112
; %bb.111:                              ;   in Loop: Header=BB8_110 Depth=3
	s_mov_b32 s89, -1
	s_or_b32 s77, s77, exec_lo
	s_and_saveexec_b32 s88, s79
	s_cbranch_execz .LBB8_109
	s_branch .LBB8_113
.LBB8_112:                              ;   in Loop: Header=BB8_110 Depth=3
	s_trap 2
	ds_load_b64 v[4:5], v0
	s_and_not1_b32 s79, s79, exec_lo
	s_mov_b32 s78, 0
	s_wait_loadcnt_dscnt 0x0
	flat_load_b32 v2, v[4:5] scope:SCOPE_SYS
	s_wait_loadcnt_dscnt 0x0
	global_inv scope:SCOPE_SYS
	v_cmp_eq_u32_e32 vcc_lo, 0, v2
	s_and_b32 s88, vcc_lo, exec_lo
	s_delay_alu instid0(SALU_CYCLE_1)
	s_or_b32 s79, s79, s88
	s_mov_b32 s89, -1
	s_or_b32 s77, s77, exec_lo
	s_wait_xcnt 0x0
	s_and_saveexec_b32 s88, s79
	s_cbranch_execz .LBB8_109
.LBB8_113:                              ;   in Loop: Header=BB8_110 Depth=3
	s_sleep 1
	s_trap 2
	ds_load_b64 v[4:5], v0
	s_wait_dscnt 0x0
	s_and_not1_b32 s77, s77, exec_lo
	v_cmp_ge_u64_e32 vcc_lo, v[4:5], v[80:81]
	s_or_not1_b32 s89, vcc_lo, exec_lo
	s_branch .LBB8_109
.LBB8_114:                              ;   in Loop: Header=BB8_57 Depth=2
	s_or_b32 exec_lo, exec_lo, s75
	s_and_saveexec_b32 s75, s76
	s_delay_alu instid0(SALU_CYCLE_1)
	s_xor_b32 s75, exec_lo, s75
	s_cbranch_execz .LBB8_116
; %bb.115:                              ;   in Loop: Header=BB8_57 Depth=2
	ds_store_b32 v0, v111
	s_trap 2
.LBB8_116:                              ;   in Loop: Header=BB8_57 Depth=2
	s_or_b32 exec_lo, exec_lo, s74
	;;#ASMSTART
	s_wakeup
	;;#ASMEND
.LBB8_117:                              ;   in Loop: Header=BB8_57 Depth=2
	s_or_b32 exec_lo, exec_lo, s41
.LBB8_118:                              ;   in Loop: Header=BB8_57 Depth=2
	s_and_not1_saveexec_b32 s40, s40
	s_cbranch_execz .LBB8_120
; %bb.119:                              ;   in Loop: Header=BB8_57 Depth=2
	global_wb scope:SCOPE_DEV
	s_wait_storecnt 0x0
	s_wait_loadcnt_dscnt 0x0
	global_inv scope:SCOPE_DEV
	s_barrier_signal -1
	s_barrier_wait -1
.LBB8_120:                              ;   in Loop: Header=BB8_57 Depth=2
	s_or_b32 exec_lo, exec_lo, s40
.LBB8_121:                              ;   in Loop: Header=BB8_57 Depth=2
	s_delay_alu instid0(SALU_CYCLE_1)
	s_or_b32 exec_lo, exec_lo, s13
	s_trap 2
	ds_load_b64 v[78:79], v0
	s_wait_dscnt 0x0
	v_cmp_eq_u64_e32 vcc_lo, 0, v[78:79]
	s_cbranch_vccnz .LBB8_129
; %bb.122:                              ;   in Loop: Header=BB8_57 Depth=2
	s_trap 2
	ds_load_b64 v[88:89], v0
	s_wait_dscnt 0x0
	v_cmp_eq_u64_e32 vcc_lo, 0, v[88:89]
	s_cbranch_vccnz .LBB8_129
; %bb.123:                              ;   in Loop: Header=BB8_57 Depth=2
	s_mov_b32 s13, -1
	s_and_saveexec_b32 s40, s7
	s_cbranch_execz .LBB8_125
; %bb.124:                              ;   in Loop: Header=BB8_57 Depth=2
	ds_load_b32 v2, v0 offset:720
	s_wait_dscnt 0x0
	v_and_b32_e32 v2, 15, v2
	s_delay_alu instid0(VALU_DEP_1)
	v_cmp_eq_u32_e32 vcc_lo, 0, v2
	s_or_not1_b32 s13, vcc_lo, exec_lo
.LBB8_125:                              ;   in Loop: Header=BB8_57 Depth=2
	s_or_b32 exec_lo, exec_lo, s40
	s_and_saveexec_b32 s40, s11
	s_cbranch_execz .LBB8_127
; %bb.126:                              ;   in Loop: Header=BB8_57 Depth=2
	ds_load_b32 v2, v0 offset:784
	s_wait_dscnt 0x0
	v_and_b32_e32 v2, 15, v2
	s_delay_alu instid0(VALU_DEP_1) | instskip(SKIP_3) | instid1(SALU_CYCLE_1)
	v_cmp_eq_u32_e32 vcc_lo, 0, v2
	s_and_b32 s41, s13, vcc_lo
	s_and_not1_b32 s13, s13, exec_lo
	s_and_b32 s41, s41, exec_lo
	s_or_b32 s13, s13, s41
.LBB8_127:                              ;   in Loop: Header=BB8_57 Depth=2
	s_or_b32 exec_lo, exec_lo, s40
	s_xor_b32 s13, s13, -1
	s_mov_b32 s41, -1
	v_cndmask_b32_e64 v2, 0, 1, s13
	v_cmp_eq_u32_e64 s13, 0, v8
	s_delay_alu instid0(VALU_DEP_2)
	v_cmp_ne_u32_e32 vcc_lo, 0, v2
	s_cbranch_vccz .LBB8_130
; %bb.128:                              ;   in Loop: Header=BB8_57 Depth=2
	s_mov_b32 s41, 0
	s_mov_b32 s40, -1
	s_branch .LBB8_131
.LBB8_129:                              ;   in Loop: Header=BB8_57 Depth=2
	s_mov_b32 s13, 0
	s_and_saveexec_b32 s40, s2
	s_cbranch_execnz .LBB8_181
	s_branch .LBB8_199
.LBB8_130:                              ;   in Loop: Header=BB8_57 Depth=2
	s_mov_b32 s40, 0
.LBB8_131:                              ;   in Loop: Header=BB8_57 Depth=2
	v_dual_cndmask_b32 v2, 0, v72, s13 :: v_dual_mov_b32 v14, 0
	s_and_not1_b32 vcc_lo, exec_lo, s41
	s_delay_alu instid0(VALU_DEP_1)
	v_lshlrev_b32_e32 v73, 1, v2
	s_cbranch_vccnz .LBB8_139
; %bb.132:                              ;   in Loop: Header=BB8_57 Depth=2
	s_delay_alu instid0(VALU_DEP_1) | instskip(SKIP_3) | instid1(VALU_DEP_2)
	v_ashrrev_i32_e32 v4, 31, v73
	v_add_nc_u64_e32 v[90:91], v[88:89], v[42:43]
	s_mov_b32 s41, 0
	s_mov_b32 s13, exec_lo
                                        ; implicit-def: $vgpr8_vgpr9
                                        ; implicit-def: $vgpr12_vgpr13
                                        ; implicit-def: $vgpr16_vgpr17
                                        ; implicit-def: $vgpr20_vgpr21
	v_lshrrev_b32_e32 v4, 21, v4
	s_delay_alu instid0(VALU_DEP_1) | instskip(NEXT) | instid1(VALU_DEP_1)
	v_add_nc_u32_e32 v4, v73, v4
	v_ashrrev_i32_e32 v28, 11, v4
	s_delay_alu instid0(VALU_DEP_1) | instskip(NEXT) | instid1(VALU_DEP_1)
	v_sub_nc_u32_e32 v29, v28, v124
	v_cmpx_lt_i32_e32 0, v29
	s_cbranch_execz .LBB8_141
; %bb.133:                              ;   in Loop: Header=BB8_57 Depth=2
	v_add_nc_u64_e32 v[92:93], v[78:79], v[42:43]
	s_mov_b32 s75, 0
                                        ; implicit-def: $sgpr74
                                        ; implicit-def: $vgpr8_vgpr9
                                        ; implicit-def: $vgpr12_vgpr13
                                        ; implicit-def: $vgpr16_vgpr17
                                        ; implicit-def: $vgpr20_vgpr21
	s_branch .LBB8_135
.LBB8_134:                              ;   in Loop: Header=BB8_135 Depth=3
	s_or_b32 exec_lo, exec_lo, s76
	s_delay_alu instid0(VALU_DEP_1) | instskip(NEXT) | instid1(VALU_DEP_3)
	v_sub_nc_u32_e32 v29, v4, v5
	v_add_nc_u64_e32 v[4:5], v[90:91], v[94:95]
	s_wait_loadcnt 0x3
	global_store_b128 v[90:91], v[36:39], off th:TH_STORE_NT
	s_wait_loadcnt 0x2
	global_store_b128 v[90:91], v[48:51], off offset:512 th:TH_STORE_NT
	s_wait_loadcnt 0x1
	global_store_b128 v[90:91], v[24:27], off offset:1024 th:TH_STORE_NT
	;; [unrolled: 2-line block ×3, first 2 shown]
	v_add_nc_u64_e32 v[92:93], v[92:93], v[94:95]
	v_cmp_gt_i32_e32 vcc_lo, 1, v29
	s_wait_xcnt 0x0
	v_add_nc_u64_e32 v[90:91], 0x800, v[4:5]
	s_or_b32 s41, vcc_lo, s41
	s_and_not1_b32 s74, s74, exec_lo
	s_and_b32 s76, s75, exec_lo
	s_delay_alu instid0(SALU_CYCLE_1)
	s_or_b32 s74, s74, s76
	s_and_not1_b32 exec_lo, exec_lo, s41
	s_cbranch_execz .LBB8_140
.LBB8_135:                              ;   Parent Loop BB8_47 Depth=1
                                        ;     Parent Loop BB8_57 Depth=2
                                        ; =>    This Inner Loop Header: Depth=3
	s_clause 0x3
	global_load_b128 v[36:39], v[92:93], off th:TH_LOAD_NT
	global_load_b128 v[48:51], v[92:93], off offset:512 th:TH_LOAD_NT
	global_load_b128 v[24:27], v[92:93], off offset:1024 th:TH_LOAD_NT
	;; [unrolled: 1-line block ×3, first 2 shown]
	s_wait_xcnt 0x0
	s_and_saveexec_b32 s76, s75
	s_cbranch_execz .LBB8_137
; %bb.136:                              ;   in Loop: Header=BB8_135 Depth=3
	s_clause 0x3
	global_store_b128 v[90:91], v[8:11], off th:TH_STORE_NT
	global_store_b128 v[90:91], v[12:15], off offset:512 th:TH_STORE_NT
	global_store_b128 v[90:91], v[16:19], off offset:1024 th:TH_STORE_NT
	;; [unrolled: 1-line block ×3, first 2 shown]
	s_wait_xcnt 0x0
	v_add_nc_u64_e32 v[90:91], v[90:91], v[116:117]
.LBB8_137:                              ;   in Loop: Header=BB8_135 Depth=3
	s_or_b32 exec_lo, exec_lo, s76
	v_dual_mov_b32 v5, 0 :: v_dual_sub_nc_u32 v4, v29, v84
	v_add_nc_u64_e32 v[92:93], v[92:93], v[116:117]
	v_mov_b64_e32 v[94:95], 0
	s_delay_alu instid0(VALU_DEP_3)
	v_cmp_lt_i32_e64 s75, 0, v4
	s_and_saveexec_b32 s76, s75
	s_cbranch_execz .LBB8_134
; %bb.138:                              ;   in Loop: Header=BB8_135 Depth=3
	s_clause 0x3
	global_load_b128 v[8:11], v[92:93], off th:TH_LOAD_NT
	global_load_b128 v[12:15], v[92:93], off offset:512 th:TH_LOAD_NT
	global_load_b128 v[16:19], v[92:93], off offset:1024 th:TH_LOAD_NT
	;; [unrolled: 1-line block ×3, first 2 shown]
	s_wait_xcnt 0x0
	v_add_nc_u64_e32 v[92:93], 0x800, v[92:93]
	v_mov_b64_e32 v[94:95], v[100:101]
	v_mov_b32_e32 v5, v84
	s_branch .LBB8_134
.LBB8_139:                              ;   in Loop: Header=BB8_57 Depth=2
	v_dual_mov_b32 v15, v0 :: v_dual_mov_b32 v4, v124
	s_and_saveexec_b32 s13, s40
	s_cbranch_execnz .LBB8_160
	s_branch .LBB8_180
.LBB8_140:                              ;   in Loop: Header=BB8_57 Depth=2
	s_or_b32 exec_lo, exec_lo, s41
	s_delay_alu instid0(SALU_CYCLE_1)
	s_and_b32 s41, s74, exec_lo
.LBB8_141:                              ;   in Loop: Header=BB8_57 Depth=2
	s_or_b32 exec_lo, exec_lo, s13
	s_and_saveexec_b32 s13, s41
	s_cbranch_execz .LBB8_143
; %bb.142:                              ;   in Loop: Header=BB8_57 Depth=2
	s_clause 0x3
	global_store_b128 v[90:91], v[8:11], off th:TH_STORE_NT
	global_store_b128 v[90:91], v[12:15], off offset:512 th:TH_STORE_NT
	global_store_b128 v[90:91], v[16:19], off offset:1024 th:TH_STORE_NT
	;; [unrolled: 1-line block ×3, first 2 shown]
.LBB8_143:                              ;   in Loop: Header=BB8_57 Depth=2
	s_wait_xcnt 0x0
	s_or_b32 exec_lo, exec_lo, s13
	v_lshlrev_b32_e32 v20, 11, v28
	s_mov_b32 s41, exec_lo
                                        ; implicit-def: $vgpr14
                                        ; implicit-def: $vgpr15
                                        ; implicit-def: $vgpr4
	s_delay_alu instid0(VALU_DEP_1)
	v_cmpx_ne_u32_e64 v73, v20
	s_cbranch_execz .LBB8_159
; %bb.144:                              ;   in Loop: Header=BB8_57 Depth=2
	v_dual_lshlrev_b32 v4, 5, v29 :: v_dual_sub_nc_u32 v8, v73, v20
	s_mov_b32 s75, 0
	s_mov_b32 s74, exec_lo
	s_delay_alu instid0(VALU_DEP_1) | instskip(NEXT) | instid1(VALU_DEP_2)
	v_sub_nc_u32_e32 v4, v0, v4
	v_ashrrev_i32_e32 v10, 31, v8
	s_delay_alu instid0(VALU_DEP_2) | instskip(NEXT) | instid1(VALU_DEP_1)
	v_ashrrev_i32_e32 v5, 31, v4
	v_lshrrev_b32_e32 v5, 27, v5
	s_delay_alu instid0(VALU_DEP_1) | instskip(NEXT) | instid1(VALU_DEP_1)
	v_add_nc_u32_e32 v5, v4, v5
	v_and_b32_e32 v9, 0xffffffe0, v5
	v_ashrrev_i32_e32 v5, 5, v5
	s_delay_alu instid0(VALU_DEP_2) | instskip(NEXT) | instid1(VALU_DEP_1)
	v_dual_sub_nc_u32 v22, v4, v9 :: v_dual_lshrrev_b32 v4, 23, v10
	v_dual_lshlrev_b32 v9, 4, v22 :: v_dual_add_nc_u32 v4, v8, v4
	s_delay_alu instid0(VALU_DEP_1) | instskip(NEXT) | instid1(VALU_DEP_2)
	v_lshl_add_u32 v9, v5, 9, v9
	v_and_b32_e32 v21, 0xfffffe00, v4
	s_delay_alu instid0(VALU_DEP_1) | instskip(SKIP_1) | instid1(VALU_DEP_2)
	v_dual_add_nc_u32 v10, v9, v20 :: v_dual_sub_nc_u32 v23, v8, v21
	v_dual_ashrrev_i32 v4, 9, v4 :: v_dual_sub_nc_u32 v25, v8, v9
                                        ; implicit-def: $vgpr8_vgpr9
	v_ashrrev_i32_e32 v11, 31, v10
	s_delay_alu instid0(VALU_DEP_3) | instskip(NEXT) | instid1(VALU_DEP_2)
	v_cmp_lt_i32_e32 vcc_lo, 15, v23
	v_add_nc_u64_e32 v[16:17], v[10:11], v[88:89]
	s_delay_alu instid0(VALU_DEP_4) | instskip(NEXT) | instid1(VALU_DEP_1)
	v_add_co_ci_u32_e64 v4, null, 0, v4, vcc_lo
	v_sub_nc_u32_e32 v24, v4, v5
	v_cmpx_lt_i32_e32 15, v25
	s_cbranch_execz .LBB8_154
; %bb.145:                              ;   in Loop: Header=BB8_57 Depth=2
	v_add_nc_u64_e32 v[18:19], v[10:11], v[78:79]
	s_mov_b32 s77, 0
                                        ; implicit-def: $sgpr76
                                        ; implicit-def: $vgpr8_vgpr9
	s_branch .LBB8_147
.LBB8_146:                              ;   in Loop: Header=BB8_147 Depth=3
	s_or_b32 exec_lo, exec_lo, s13
	s_delay_alu instid0(VALU_DEP_1) | instskip(SKIP_3) | instid1(SALU_CYCLE_1)
	v_cmp_gt_i32_e64 s13, 16, v25
	s_or_b32 s75, s13, s75
	s_and_not1_b32 s13, s76, exec_lo
	s_and_b32 s76, s77, exec_lo
	s_or_b32 s76, s13, s76
	s_and_not1_b32 exec_lo, exec_lo, s75
	s_cbranch_execz .LBB8_153
.LBB8_147:                              ;   Parent Loop BB8_47 Depth=1
                                        ;     Parent Loop BB8_57 Depth=2
                                        ; =>    This Inner Loop Header: Depth=3
	global_load_b128 v[12:15], v[18:19], off th:TH_LOAD_NT
	s_wait_xcnt 0x0
	s_and_saveexec_b32 s13, s77
	s_cbranch_execz .LBB8_149
; %bb.148:                              ;   in Loop: Header=BB8_147 Depth=3
	v_add_nc_u64_e32 v[4:5], v[16:17], v[40:41]
	global_store_b128 v[16:17], v[8:11], off th:TH_STORE_NT
	s_wait_xcnt 0x0
	v_mov_b64_e32 v[16:17], v[4:5]
.LBB8_149:                              ;   in Loop: Header=BB8_147 Depth=3
	s_or_b32 exec_lo, exec_lo, s13
	v_sub_nc_u32_e32 v25, v25, v122
	v_add_nc_u64_e32 v[18:19], v[18:19], v[40:41]
	s_delay_alu instid0(VALU_DEP_2)
	v_cmp_lt_i32_e64 s77, 15, v25
	s_and_saveexec_b32 s13, s77
	s_cbranch_execz .LBB8_151
; %bb.150:                              ;   in Loop: Header=BB8_147 Depth=3
	global_load_b128 v[8:11], v[18:19], off th:TH_LOAD_NT
	s_wait_xcnt 0x0
	v_add_nc_u64_e32 v[18:19], 0x200, v[18:19]
.LBB8_151:                              ;   in Loop: Header=BB8_147 Depth=3
	s_or_b32 exec_lo, exec_lo, s13
	s_wait_loadcnt 0x0
	global_store_b128 v[16:17], v[12:15], off th:TH_STORE_NT
	s_wait_xcnt 0x0
	v_add_nc_u64_e32 v[16:17], 0x200, v[16:17]
	v_sub_nc_u32_e32 v24, v24, v84
	s_and_saveexec_b32 s13, s77
	s_cbranch_execz .LBB8_146
; %bb.152:                              ;   in Loop: Header=BB8_147 Depth=3
	v_add_nc_u64_e32 v[18:19], v[18:19], v[112:113]
	s_delay_alu instid0(VALU_DEP_3)
	v_add_nc_u64_e32 v[16:17], v[16:17], v[112:113]
	v_dual_sub_nc_u32 v24, v24, v84 :: v_dual_sub_nc_u32 v25, v25, v122
	s_branch .LBB8_146
.LBB8_153:                              ;   in Loop: Header=BB8_57 Depth=2
	s_or_b32 exec_lo, exec_lo, s75
	s_delay_alu instid0(SALU_CYCLE_1)
	s_and_b32 s75, s76, exec_lo
.LBB8_154:                              ;   in Loop: Header=BB8_57 Depth=2
	s_or_b32 exec_lo, exec_lo, s74
	s_and_saveexec_b32 s13, s75
	s_cbranch_execz .LBB8_156
; %bb.155:                              ;   in Loop: Header=BB8_57 Depth=2
	global_store_b128 v[16:17], v[8:11], off th:TH_STORE_NT
.LBB8_156:                              ;   in Loop: Header=BB8_57 Depth=2
	s_wait_xcnt 0x0
	s_or_b32 exec_lo, exec_lo, s13
	v_and_b32_e32 v5, 14, v73
	s_mov_b32 s75, s40
	s_mov_b32 s74, exec_lo
                                        ; implicit-def: $vgpr14
                                        ; implicit-def: $vgpr15
                                        ; implicit-def: $vgpr4
	s_delay_alu instid0(VALU_DEP_1) | instskip(NEXT) | instid1(VALU_DEP_1)
	v_cndmask_b32_e32 v73, v23, v5, vcc_lo
	v_cmpx_ne_u32_e32 0, v73
	s_cbranch_execz .LBB8_158
; %bb.157:                              ;   in Loop: Header=BB8_57 Depth=2
	v_cmp_lt_i32_e64 s13, 0, v24
	s_or_b32 s75, s40, exec_lo
	v_dual_sub_nc_u32 v5, v23, v5 :: v_dual_cndmask_b32 v4, 0, v84, s13
	s_delay_alu instid0(VALU_DEP_1) | instskip(NEXT) | instid1(VALU_DEP_1)
	v_dual_cndmask_b32 v5, 0, v5 :: v_dual_sub_nc_u32 v4, v4, v24
	v_add3_u32 v14, v21, v20, v5
	s_delay_alu instid0(VALU_DEP_2) | instskip(NEXT) | instid1(VALU_DEP_1)
	v_lshl_add_u32 v8, v4, 5, v22
	v_ashrrev_i32_e32 v4, 31, v8
	s_delay_alu instid0(VALU_DEP_1) | instskip(NEXT) | instid1(VALU_DEP_1)
	v_lshrrev_b32_e32 v4, 27, v4
	v_add_nc_u32_e32 v4, v8, v4
	s_delay_alu instid0(VALU_DEP_1) | instskip(NEXT) | instid1(VALU_DEP_1)
	v_and_b32_e32 v9, 0xffffffe0, v4
	v_dual_ashrrev_i32 v4, 5, v4 :: v_dual_sub_nc_u32 v15, v8, v9
.LBB8_158:                              ;   in Loop: Header=BB8_57 Depth=2
	s_or_b32 exec_lo, exec_lo, s74
	s_delay_alu instid0(SALU_CYCLE_1) | instskip(SKIP_1) | instid1(SALU_CYCLE_1)
	s_and_not1_b32 s13, s40, exec_lo
	s_and_b32 s40, s75, exec_lo
	s_or_b32 s40, s13, s40
.LBB8_159:                              ;   in Loop: Header=BB8_57 Depth=2
	s_or_b32 exec_lo, exec_lo, s41
	s_and_saveexec_b32 s13, s40
	s_cbranch_execz .LBB8_180
.LBB8_160:                              ;   in Loop: Header=BB8_57 Depth=2
	s_delay_alu instid0(VALU_DEP_1) | instskip(SKIP_2) | instid1(VALU_DEP_1)
	v_dual_ashrrev_i32 v5, 31, v73 :: v_dual_lshlrev_b32 v8, 9, v4
	s_mov_b32 s41, 0
	s_mov_b32 s40, exec_lo
                                        ; implicit-def: $vgpr17
                                        ; implicit-def: $vgpr18
                                        ; implicit-def: $vgpr19
                                        ; implicit-def: $vgpr20
                                        ; implicit-def: $vgpr21
                                        ; implicit-def: $vgpr22
                                        ; implicit-def: $vgpr23
                                        ; implicit-def: $vgpr24
	v_dual_lshlrev_b32 v9, 1, v15 :: v_dual_lshrrev_b32 v5, 23, v5
	s_delay_alu instid0(VALU_DEP_1) | instskip(NEXT) | instid1(VALU_DEP_1)
	v_add3_u32 v10, v14, v9, v8
	v_dual_add_nc_u32 v5, v73, v5 :: v_dual_ashrrev_i32 v11, 31, v10
	s_delay_alu instid0(VALU_DEP_1) | instskip(NEXT) | instid1(VALU_DEP_2)
	v_ashrrev_i32_e32 v16, 9, v5
	v_add_nc_u64_e32 v[8:9], v[88:89], v[10:11]
	s_delay_alu instid0(VALU_DEP_2) | instskip(NEXT) | instid1(VALU_DEP_1)
	v_sub_nc_u32_e32 v25, v16, v4
	v_cmpx_lt_i32_e32 0, v25
	s_cbranch_execz .LBB8_168
; %bb.161:                              ;   in Loop: Header=BB8_57 Depth=2
	v_add_nc_u64_e32 v[10:11], v[10:11], v[78:79]
	s_mov_b32 s75, 0
                                        ; implicit-def: $sgpr74
                                        ; implicit-def: $vgpr17
                                        ; implicit-def: $vgpr18
                                        ; implicit-def: $vgpr19
                                        ; implicit-def: $vgpr20
                                        ; implicit-def: $vgpr21
                                        ; implicit-def: $vgpr22
                                        ; implicit-def: $vgpr23
                                        ; implicit-def: $vgpr24
	s_branch .LBB8_163
.LBB8_162:                              ;   in Loop: Header=BB8_163 Depth=3
	s_or_b32 exec_lo, exec_lo, s76
	s_delay_alu instid0(VALU_DEP_1) | instskip(NEXT) | instid1(VALU_DEP_3)
	v_sub_nc_u32_e32 v25, v4, v5
	v_add_nc_u64_e32 v[4:5], v[8:9], v[12:13]
	s_wait_loadcnt_dscnt 0x707
	flat_store_b16 v[8:9], v26 th:TH_STORE_NT
	s_wait_loadcnt_dscnt 0x607
	flat_store_b16 v[8:9], v27 offset:64 th:TH_STORE_NT
	s_wait_loadcnt_dscnt 0x507
	flat_store_b16 v[8:9], v28 offset:128 th:TH_STORE_NT
	;; [unrolled: 2-line block ×7, first 2 shown]
	v_add_nc_u64_e32 v[10:11], v[10:11], v[12:13]
	v_cmp_gt_i32_e32 vcc_lo, 1, v25
	s_wait_xcnt 0x0
	v_add_nc_u64_e32 v[8:9], 0x200, v[4:5]
	s_or_b32 s41, vcc_lo, s41
	s_and_not1_b32 s74, s74, exec_lo
	s_and_b32 s76, s75, exec_lo
	s_delay_alu instid0(SALU_CYCLE_1)
	s_or_b32 s74, s74, s76
	s_and_not1_b32 exec_lo, exec_lo, s41
	s_cbranch_execz .LBB8_167
.LBB8_163:                              ;   Parent Loop BB8_47 Depth=1
                                        ;     Parent Loop BB8_57 Depth=2
                                        ; =>    This Inner Loop Header: Depth=3
	s_clause 0x7
	flat_load_u16 v26, v[10:11] th:TH_LOAD_NT
	flat_load_u16 v27, v[10:11] offset:64 th:TH_LOAD_NT
	flat_load_u16 v28, v[10:11] offset:128 th:TH_LOAD_NT
	;; [unrolled: 1-line block ×7, first 2 shown]
	s_wait_xcnt 0x0
	s_and_saveexec_b32 s76, s75
	s_cbranch_execz .LBB8_165
; %bb.164:                              ;   in Loop: Header=BB8_163 Depth=3
	s_clause 0x7
	flat_store_b16 v[8:9], v17 th:TH_STORE_NT
	flat_store_b16 v[8:9], v18 offset:64 th:TH_STORE_NT
	flat_store_b16 v[8:9], v19 offset:128 th:TH_STORE_NT
	;; [unrolled: 1-line block ×7, first 2 shown]
	s_wait_xcnt 0x0
	v_add_nc_u64_e32 v[8:9], v[8:9], v[40:41]
.LBB8_165:                              ;   in Loop: Header=BB8_163 Depth=3
	s_or_b32 exec_lo, exec_lo, s76
	v_dual_mov_b32 v5, 0 :: v_dual_sub_nc_u32 v4, v25, v84
	v_add_nc_u64_e32 v[10:11], v[10:11], v[40:41]
	v_mov_b64_e32 v[12:13], 0
	s_delay_alu instid0(VALU_DEP_3)
	v_cmp_lt_i32_e64 s75, 0, v4
	s_and_saveexec_b32 s76, s75
	s_cbranch_execz .LBB8_162
; %bb.166:                              ;   in Loop: Header=BB8_163 Depth=3
	s_clause 0x7
	flat_load_u16 v17, v[10:11] th:TH_LOAD_NT
	flat_load_u16 v18, v[10:11] offset:64 th:TH_LOAD_NT
	flat_load_u16 v19, v[10:11] offset:128 th:TH_LOAD_NT
	;; [unrolled: 1-line block ×7, first 2 shown]
	s_wait_xcnt 0x0
	v_add_nc_u64_e32 v[10:11], 0x200, v[10:11]
	v_mov_b64_e32 v[12:13], v[112:113]
	v_mov_b32_e32 v5, v84
	s_branch .LBB8_162
.LBB8_167:                              ;   in Loop: Header=BB8_57 Depth=2
	s_or_b32 exec_lo, exec_lo, s41
	s_delay_alu instid0(SALU_CYCLE_1)
	s_and_b32 s41, s74, exec_lo
.LBB8_168:                              ;   in Loop: Header=BB8_57 Depth=2
	s_or_b32 exec_lo, exec_lo, s40
	s_and_saveexec_b32 s40, s41
	s_cbranch_execz .LBB8_170
; %bb.169:                              ;   in Loop: Header=BB8_57 Depth=2
	s_clause 0x7
	flat_store_b16 v[8:9], v17 th:TH_STORE_NT
	flat_store_b16 v[8:9], v18 offset:64 th:TH_STORE_NT
	flat_store_b16 v[8:9], v19 offset:128 th:TH_STORE_NT
	;; [unrolled: 1-line block ×7, first 2 shown]
.LBB8_170:                              ;   in Loop: Header=BB8_57 Depth=2
	s_wait_xcnt 0x0
	s_or_b32 exec_lo, exec_lo, s40
	v_lshlrev_b32_e32 v4, 9, v16
	s_delay_alu instid0(VALU_DEP_1)
	v_cmp_ne_u32_e32 vcc_lo, v73, v4
	s_and_b32 exec_lo, exec_lo, vcc_lo
	s_cbranch_execz .LBB8_180
; %bb.171:                              ;   in Loop: Header=BB8_57 Depth=2
	v_lshlrev_b32_e32 v5, 5, v25
	s_delay_alu instid0(VALU_DEP_1) | instskip(NEXT) | instid1(VALU_DEP_1)
	v_sub_nc_u32_e32 v5, v15, v5
	v_ashrrev_i32_e32 v8, 31, v5
	s_delay_alu instid0(VALU_DEP_1) | instskip(NEXT) | instid1(VALU_DEP_1)
	v_lshrrev_b32_e32 v8, 27, v8
	v_add_nc_u32_e32 v8, v5, v8
	s_delay_alu instid0(VALU_DEP_1) | instskip(NEXT) | instid1(VALU_DEP_1)
	v_and_b32_e32 v9, 0x7fffffe0, v8
	v_dual_lshlrev_b32 v8, 1, v8 :: v_dual_sub_nc_u32 v5, v5, v9
	s_delay_alu instid0(VALU_DEP_1) | instskip(NEXT) | instid1(VALU_DEP_2)
	v_and_b32_e32 v8, 0xffffffc0, v8
	v_lshlrev_b32_e32 v5, 1, v5
	s_delay_alu instid0(VALU_DEP_1) | instskip(NEXT) | instid1(VALU_DEP_1)
	v_add3_u32 v4, v8, v5, v4
	v_sub_nc_u32_e32 v5, v73, v4
	s_delay_alu instid0(VALU_DEP_1)
	v_cmp_lt_i32_e32 vcc_lo, 1, v5
	s_and_b32 exec_lo, exec_lo, vcc_lo
	s_cbranch_execz .LBB8_180
; %bb.172:                              ;   in Loop: Header=BB8_57 Depth=2
	v_add_nc_u32_e32 v10, v4, v14
	s_mov_b32 s74, 0
	s_mov_b32 s40, 0
                                        ; implicit-def: $sgpr41
                                        ; implicit-def: $vgpr4
	s_delay_alu instid0(VALU_DEP_1) | instskip(NEXT) | instid1(VALU_DEP_1)
	v_ashrrev_i32_e32 v11, 31, v10
	v_add_nc_u64_e32 v[8:9], v[88:89], v[10:11]
	v_add_nc_u64_e32 v[10:11], v[10:11], v[78:79]
	s_branch .LBB8_174
.LBB8_173:                              ;   in Loop: Header=BB8_174 Depth=3
	s_or_b32 exec_lo, exec_lo, s75
	s_delay_alu instid0(VALU_DEP_1) | instskip(NEXT) | instid1(VALU_DEP_3)
	v_sub_nc_u32_e32 v5, v5, v15
	v_add_nc_u64_e32 v[16:17], v[8:9], v[12:13]
	s_wait_loadcnt_dscnt 0x0
	flat_store_b16 v[8:9], v14 th:TH_STORE_NT
	v_add_nc_u64_e32 v[10:11], v[10:11], v[12:13]
	v_cmp_gt_i32_e32 vcc_lo, 2, v5
	s_wait_xcnt 0x0
	v_add_nc_u64_e32 v[8:9], 64, v[16:17]
	s_or_b32 s40, vcc_lo, s40
	s_and_not1_b32 s41, s41, exec_lo
	s_and_b32 s75, s74, exec_lo
	s_delay_alu instid0(SALU_CYCLE_1)
	s_or_b32 s41, s41, s75
	s_and_not1_b32 exec_lo, exec_lo, s40
	s_cbranch_execz .LBB8_178
.LBB8_174:                              ;   Parent Loop BB8_47 Depth=1
                                        ;     Parent Loop BB8_57 Depth=2
                                        ; =>    This Inner Loop Header: Depth=3
	flat_load_u16 v14, v[10:11] th:TH_LOAD_NT
	s_wait_xcnt 0x0
	s_and_saveexec_b32 s75, s74
	s_cbranch_execz .LBB8_176
; %bb.175:                              ;   in Loop: Header=BB8_174 Depth=3
	v_add_nc_u64_e32 v[12:13], v[8:9], v[44:45]
	flat_store_b16 v[8:9], v4 th:TH_STORE_NT
	s_wait_xcnt 0x0
	v_mov_b64_e32 v[8:9], v[12:13]
.LBB8_176:                              ;   in Loop: Header=BB8_174 Depth=3
	s_or_b32 exec_lo, exec_lo, s75
	v_dual_sub_nc_u32 v5, v5, v123 :: v_dual_mov_b32 v15, 0
	v_add_nc_u64_e32 v[10:11], v[10:11], v[44:45]
	v_mov_b64_e32 v[12:13], 0
	s_delay_alu instid0(VALU_DEP_3)
	v_cmp_lt_i32_e64 s74, 1, v5
	s_and_saveexec_b32 s75, s74
	s_cbranch_execz .LBB8_173
; %bb.177:                              ;   in Loop: Header=BB8_174 Depth=3
	flat_load_u16 v4, v[10:11] th:TH_LOAD_NT
	s_wait_xcnt 0x0
	v_add_nc_u64_e32 v[10:11], 64, v[10:11]
	v_mov_b64_e32 v[12:13], v[114:115]
	v_mov_b32_e32 v15, v123
	s_branch .LBB8_173
.LBB8_178:                              ;   in Loop: Header=BB8_57 Depth=2
	s_or_b32 exec_lo, exec_lo, s40
	s_delay_alu instid0(SALU_CYCLE_1)
	s_and_b32 exec_lo, exec_lo, s41
	s_cbranch_execz .LBB8_180
; %bb.179:                              ;   in Loop: Header=BB8_57 Depth=2
	flat_store_b16 v[8:9], v4 th:TH_STORE_NT
.LBB8_180:                              ;   in Loop: Header=BB8_57 Depth=2
	s_wait_xcnt 0x0
	s_or_b32 exec_lo, exec_lo, s13
	v_cmp_lt_i32_e64 s13, 0, v2
	s_and_saveexec_b32 s40, s2
	s_cbranch_execz .LBB8_199
.LBB8_181:                              ;   in Loop: Header=BB8_57 Depth=2
	s_and_saveexec_b32 s41, s3
	s_delay_alu instid0(SALU_CYCLE_1)
	s_xor_b32 s41, exec_lo, s41
	s_cbranch_execz .LBB8_196
; %bb.182:                              ;   in Loop: Header=BB8_57 Depth=2
	s_and_saveexec_b32 s74, s6
	s_cbranch_execz .LBB8_195
; %bb.183:                              ;   in Loop: Header=BB8_57 Depth=2
	s_mov_b32 s76, exec_lo
	s_mov_b32 s75, exec_lo
	v_mbcnt_lo_u32_b32 v2, s76, 0
	global_wb scope:SCOPE_DEV
	s_wait_storecnt 0x0
	s_wait_loadcnt_dscnt 0x0
	global_inv scope:SCOPE_DEV
	v_cmpx_eq_u32_e32 0, v2
	s_cbranch_execz .LBB8_185
; %bb.184:                              ;   in Loop: Header=BB8_57 Depth=2
	s_bcnt1_i32_b32 s76, s76
	s_delay_alu instid0(SALU_CYCLE_1)
	v_mov_b32_e32 v2, s76
	s_wait_loadcnt 0x0
	ds_add_u64 v0, v[2:3]
	s_trap 2
.LBB8_185:                              ;   in Loop: Header=BB8_57 Depth=2
	s_or_b32 exec_lo, exec_lo, s75
	s_trap 2
	ds_load_b64 v[4:5], v0
	s_wait_dscnt 0x0
	v_add_nc_u64_e32 v[80:81], v[80:81], v[84:85]
	s_mov_b32 s75, exec_lo
	s_delay_alu instid0(VALU_DEP_1)
	v_cmpx_lt_u64_e64 v[4:5], v[80:81]
	s_cbranch_execz .LBB8_194
; %bb.186:                              ;   in Loop: Header=BB8_57 Depth=2
	s_mov_b32 s76, 0
	s_mov_b32 s79, 0
                                        ; implicit-def: $sgpr77
                                        ; implicit-def: $sgpr78
	s_branch .LBB8_188
.LBB8_187:                              ;   in Loop: Header=BB8_188 Depth=3
	s_or_b32 exec_lo, exec_lo, s89
	s_delay_alu instid0(SALU_CYCLE_1) | instskip(NEXT) | instid1(SALU_CYCLE_1)
	s_and_b32 s88, exec_lo, s90
	s_or_b32 s76, s88, s76
	s_and_not1_b32 s77, s77, exec_lo
	s_and_b32 s88, s78, exec_lo
	s_delay_alu instid0(SALU_CYCLE_1)
	s_or_b32 s77, s77, s88
	s_and_not1_b32 exec_lo, exec_lo, s76
	s_cbranch_execz .LBB8_192
.LBB8_188:                              ;   Parent Loop BB8_47 Depth=1
                                        ;     Parent Loop BB8_57 Depth=2
                                        ; =>    This Inner Loop Header: Depth=3
	s_add_co_i32 s79, s79, 1
	s_delay_alu instid0(SALU_CYCLE_1) | instskip(SKIP_1) | instid1(SALU_CYCLE_1)
	s_cmp_lg_u32 s79, 0x2710
	s_cselect_b32 s88, -1, 0
	s_and_b32 vcc_lo, exec_lo, s88
	s_cbranch_vccz .LBB8_190
; %bb.189:                              ;   in Loop: Header=BB8_188 Depth=3
	s_mov_b32 s90, -1
	s_or_b32 s78, s78, exec_lo
	s_and_saveexec_b32 s89, s88
	s_cbranch_execz .LBB8_187
	s_branch .LBB8_191
.LBB8_190:                              ;   in Loop: Header=BB8_188 Depth=3
	s_trap 2
	ds_load_b64 v[4:5], v0
	s_and_not1_b32 s88, s88, exec_lo
	s_mov_b32 s79, 0
	s_wait_loadcnt_dscnt 0x0
	flat_load_b32 v2, v[4:5] scope:SCOPE_SYS
	s_wait_loadcnt_dscnt 0x0
	global_inv scope:SCOPE_SYS
	v_cmp_eq_u32_e32 vcc_lo, 0, v2
	s_and_b32 s89, vcc_lo, exec_lo
	s_delay_alu instid0(SALU_CYCLE_1)
	s_or_b32 s88, s88, s89
	s_mov_b32 s90, -1
	s_or_b32 s78, s78, exec_lo
	s_wait_xcnt 0x0
	s_and_saveexec_b32 s89, s88
	s_cbranch_execz .LBB8_187
.LBB8_191:                              ;   in Loop: Header=BB8_188 Depth=3
	s_sleep 1
	s_trap 2
	ds_load_b64 v[4:5], v0
	s_wait_dscnt 0x0
	s_and_not1_b32 s78, s78, exec_lo
	v_cmp_ge_u64_e32 vcc_lo, v[4:5], v[80:81]
	s_or_not1_b32 s90, vcc_lo, exec_lo
	s_branch .LBB8_187
.LBB8_192:                              ;   in Loop: Header=BB8_57 Depth=2
	s_or_b32 exec_lo, exec_lo, s76
	s_and_saveexec_b32 s76, s77
	s_delay_alu instid0(SALU_CYCLE_1)
	s_xor_b32 s76, exec_lo, s76
	s_cbranch_execz .LBB8_194
; %bb.193:                              ;   in Loop: Header=BB8_57 Depth=2
	ds_store_b32 v0, v111
	s_trap 2
.LBB8_194:                              ;   in Loop: Header=BB8_57 Depth=2
	s_or_b32 exec_lo, exec_lo, s75
	;;#ASMSTART
	s_wakeup
	;;#ASMEND
.LBB8_195:                              ;   in Loop: Header=BB8_57 Depth=2
	s_or_b32 exec_lo, exec_lo, s74
.LBB8_196:                              ;   in Loop: Header=BB8_57 Depth=2
	s_and_not1_saveexec_b32 s41, s41
	s_cbranch_execz .LBB8_198
; %bb.197:                              ;   in Loop: Header=BB8_57 Depth=2
	global_wb scope:SCOPE_DEV
	s_wait_storecnt 0x0
	s_wait_loadcnt_dscnt 0x0
	global_inv scope:SCOPE_DEV
	s_barrier_signal -1
	s_barrier_wait -1
.LBB8_198:                              ;   in Loop: Header=BB8_57 Depth=2
	s_or_b32 exec_lo, exec_lo, s41
.LBB8_199:                              ;   in Loop: Header=BB8_57 Depth=2
	s_delay_alu instid0(SALU_CYCLE_1) | instskip(SKIP_2) | instid1(SALU_CYCLE_1)
	s_or_b32 exec_lo, exec_lo, s40
	v_and_b32_e32 v8, 16, v30
	s_and_saveexec_b32 s40, s10
	s_xor_b32 s40, exec_lo, s40
	s_cbranch_execz .LBB8_203
; %bb.200:                              ;   in Loop: Header=BB8_57 Depth=2
	v_and_b32_e32 v2, 16, v30
	v_and_b32_e32 v8, 16, v30
	s_delay_alu instid0(VALU_DEP_2) | instskip(SKIP_1) | instid1(SALU_CYCLE_1)
	v_cmp_ne_u32_e32 vcc_lo, 0, v2
	s_and_b32 s41, vcc_lo, s13
	s_and_saveexec_b32 s13, s41
	s_cbranch_execz .LBB8_202
; %bb.201:                              ;   in Loop: Header=BB8_57 Depth=2
	v_mov_b32_e32 v8, 1
	global_wb scope:SCOPE_SYS
	s_wait_storecnt 0x0
	s_wait_loadcnt_dscnt 0x0
	global_inv scope:SCOPE_SYS
.LBB8_202:                              ;   in Loop: Header=BB8_57 Depth=2
	s_or_b32 exec_lo, exec_lo, s13
.LBB8_203:                              ;   in Loop: Header=BB8_57 Depth=2
	s_and_not1_saveexec_b32 s13, s40
	s_cbranch_execz .LBB8_222
; %bb.204:                              ;   in Loop: Header=BB8_57 Depth=2
	s_and_saveexec_b32 s40, s3
	s_delay_alu instid0(SALU_CYCLE_1)
	s_xor_b32 s40, exec_lo, s40
	s_cbranch_execz .LBB8_219
; %bb.205:                              ;   in Loop: Header=BB8_57 Depth=2
	s_and_saveexec_b32 s41, s6
	s_cbranch_execz .LBB8_218
; %bb.206:                              ;   in Loop: Header=BB8_57 Depth=2
	s_mov_b32 s75, exec_lo
	s_mov_b32 s74, exec_lo
	v_mbcnt_lo_u32_b32 v2, s75, 0
	;;#ASMSTART
	s_waitcnt lgkmcnt(0) vmcnt(0)
	;;#ASMEND
	s_delay_alu instid0(VALU_DEP_1)
	v_cmpx_eq_u32_e32 0, v2
	s_cbranch_execz .LBB8_208
; %bb.207:                              ;   in Loop: Header=BB8_57 Depth=2
	s_bcnt1_i32_b32 s75, s75
	s_delay_alu instid0(SALU_CYCLE_1)
	v_mov_b32_e32 v2, s75
	s_wait_storecnt 0x0
	s_wait_loadcnt_dscnt 0x0
	ds_add_u64 v0, v[2:3]
	s_trap 2
.LBB8_208:                              ;   in Loop: Header=BB8_57 Depth=2
	s_or_b32 exec_lo, exec_lo, s74
	s_trap 2
	ds_load_b64 v[4:5], v0
	s_wait_dscnt 0x0
	v_add_nc_u64_e32 v[80:81], v[80:81], v[84:85]
	s_mov_b32 s74, exec_lo
	s_delay_alu instid0(VALU_DEP_1)
	v_cmpx_lt_u64_e64 v[4:5], v[80:81]
	s_cbranch_execz .LBB8_217
; %bb.209:                              ;   in Loop: Header=BB8_57 Depth=2
	s_mov_b32 s75, 0
	s_mov_b32 s78, 0
                                        ; implicit-def: $sgpr76
                                        ; implicit-def: $sgpr77
	s_branch .LBB8_211
.LBB8_210:                              ;   in Loop: Header=BB8_211 Depth=3
	s_or_b32 exec_lo, exec_lo, s88
	s_delay_alu instid0(SALU_CYCLE_1) | instskip(NEXT) | instid1(SALU_CYCLE_1)
	s_and_b32 s79, exec_lo, s89
	s_or_b32 s75, s79, s75
	s_and_not1_b32 s76, s76, exec_lo
	s_and_b32 s79, s77, exec_lo
	s_delay_alu instid0(SALU_CYCLE_1)
	s_or_b32 s76, s76, s79
	s_and_not1_b32 exec_lo, exec_lo, s75
	s_cbranch_execz .LBB8_215
.LBB8_211:                              ;   Parent Loop BB8_47 Depth=1
                                        ;     Parent Loop BB8_57 Depth=2
                                        ; =>    This Inner Loop Header: Depth=3
	s_add_co_i32 s78, s78, 1
	s_delay_alu instid0(SALU_CYCLE_1) | instskip(SKIP_1) | instid1(SALU_CYCLE_1)
	s_cmp_lg_u32 s78, 0x2710
	s_cselect_b32 s79, -1, 0
	s_and_b32 vcc_lo, exec_lo, s79
	s_cbranch_vccz .LBB8_213
; %bb.212:                              ;   in Loop: Header=BB8_211 Depth=3
	s_mov_b32 s89, -1
	s_or_b32 s77, s77, exec_lo
	s_and_saveexec_b32 s88, s79
	s_cbranch_execz .LBB8_210
	s_branch .LBB8_214
.LBB8_213:                              ;   in Loop: Header=BB8_211 Depth=3
	s_trap 2
	ds_load_b64 v[4:5], v0
	s_and_not1_b32 s79, s79, exec_lo
	s_mov_b32 s78, 0
	s_wait_storecnt 0x0
	s_wait_loadcnt_dscnt 0x0
	flat_load_b32 v2, v[4:5] scope:SCOPE_SYS
	s_wait_loadcnt_dscnt 0x0
	global_inv scope:SCOPE_SYS
	v_cmp_eq_u32_e32 vcc_lo, 0, v2
	s_and_b32 s88, vcc_lo, exec_lo
	s_delay_alu instid0(SALU_CYCLE_1)
	s_or_b32 s79, s79, s88
	s_mov_b32 s89, -1
	s_or_b32 s77, s77, exec_lo
	s_wait_xcnt 0x0
	s_and_saveexec_b32 s88, s79
	s_cbranch_execz .LBB8_210
.LBB8_214:                              ;   in Loop: Header=BB8_211 Depth=3
	s_sleep 1
	s_trap 2
	ds_load_b64 v[4:5], v0
	s_wait_dscnt 0x0
	s_and_not1_b32 s77, s77, exec_lo
	v_cmp_ge_u64_e32 vcc_lo, v[4:5], v[80:81]
	s_or_not1_b32 s89, vcc_lo, exec_lo
	s_branch .LBB8_210
.LBB8_215:                              ;   in Loop: Header=BB8_57 Depth=2
	s_or_b32 exec_lo, exec_lo, s75
	s_and_saveexec_b32 s75, s76
	s_delay_alu instid0(SALU_CYCLE_1)
	s_xor_b32 s75, exec_lo, s75
	s_cbranch_execz .LBB8_217
; %bb.216:                              ;   in Loop: Header=BB8_57 Depth=2
	ds_store_b32 v0, v111
	s_trap 2
.LBB8_217:                              ;   in Loop: Header=BB8_57 Depth=2
	s_or_b32 exec_lo, exec_lo, s74
	;;#ASMSTART
	s_wakeup
	;;#ASMEND
.LBB8_218:                              ;   in Loop: Header=BB8_57 Depth=2
	s_or_b32 exec_lo, exec_lo, s41
.LBB8_219:                              ;   in Loop: Header=BB8_57 Depth=2
	s_and_not1_saveexec_b32 s40, s40
	s_cbranch_execz .LBB8_221
; %bb.220:                              ;   in Loop: Header=BB8_57 Depth=2
	;;#ASMSTART
	s_waitcnt lgkmcnt(0) vmcnt(0)
	;;#ASMEND
	s_barrier_signal -1
	s_barrier_wait -1
.LBB8_221:                              ;   in Loop: Header=BB8_57 Depth=2
	s_or_b32 exec_lo, exec_lo, s40
.LBB8_222:                              ;   in Loop: Header=BB8_57 Depth=2
	s_delay_alu instid0(SALU_CYCLE_1) | instskip(NEXT) | instid1(SALU_CYCLE_1)
	s_or_b32 exec_lo, exec_lo, s13
	s_mov_b32 s13, exec_lo
	v_cmpx_ne_u32_e32 0, v8
	s_cbranch_execz .LBB8_56
; %bb.223:                              ;   in Loop: Header=BB8_57 Depth=2
	s_and_saveexec_b32 s40, s5
	s_cbranch_execz .LBB8_55
; %bb.224:                              ;   in Loop: Header=BB8_57 Depth=2
	global_wb scope:SCOPE_SYS
	s_wait_storecnt 0x0
	s_wait_loadcnt_dscnt 0x0
	flat_store_b32 v[70:71], v111 scope:SCOPE_SYS
	s_branch .LBB8_55
.LBB8_225:                              ;   in Loop: Header=BB8_47 Depth=1
	s_or_b32 exec_lo, exec_lo, s15
.LBB8_226:                              ;   in Loop: Header=BB8_47 Depth=1
	s_delay_alu instid0(SALU_CYCLE_1) | instskip(NEXT) | instid1(SALU_CYCLE_1)
	s_or_b32 exec_lo, exec_lo, s14
	s_mov_b32 s14, exec_lo
	v_cmpx_gt_i32_e32 2, v2
	s_cbranch_execz .LBB8_300
; %bb.227:                              ;   in Loop: Header=BB8_47 Depth=1
	v_cmp_eq_u32_e64 s18, 0, v2
	s_mov_b32 s15, 0
	s_branch .LBB8_230
.LBB8_228:                              ;   in Loop: Header=BB8_230 Depth=2
	s_wait_xcnt 0x0
	s_or_b32 exec_lo, exec_lo, s18
	v_add_nc_u64_e32 v[58:59], 2, v[58:59]
	global_wb scope:SCOPE_SYS
	s_wait_storecnt 0x0
	s_wait_loadcnt_dscnt 0x0
	flat_store_b64 v[64:65], v[58:59] scope:SCOPE_SYS
.LBB8_229:                              ;   in Loop: Header=BB8_230 Depth=2
	s_wait_xcnt 0x0
	s_or_b32 exec_lo, exec_lo, s13
	v_add_nc_u32_e32 v74, v72, v74
	s_mov_b32 s18, 0
	s_and_not1_b32 exec_lo, exec_lo, s15
	s_cbranch_execz .LBB8_299
.LBB8_230:                              ;   Parent Loop BB8_47 Depth=1
                                        ; =>  This Loop Header: Depth=2
                                        ;       Child Loop BB8_236 Depth 3
                                        ;       Child Loop BB8_260 Depth 3
	;; [unrolled: 1-line block ×3, first 2 shown]
	s_delay_alu instid0(VALU_DEP_1) | instskip(SKIP_2) | instid1(VALU_DEP_2)
	v_sub_nc_u32_e32 v2, v104, v74
	v_and_b32_e32 v4, 8, v30
	s_mov_b32 s27, exec_lo
	v_min_i32_e32 v72, v72, v2
	s_delay_alu instid0(VALU_DEP_2)
	v_cmpx_ne_u32_e32 0, v4
	s_cbranch_execz .LBB8_252
; %bb.231:                              ;   in Loop: Header=BB8_230 Depth=2
	s_wait_loadcnt_dscnt 0x1
	v_add_nc_u64_e32 v[4:5], 8, v[82:83]
	v_add_nc_u64_e32 v[8:9], 2, v[58:59]
	s_mov_b32 s40, exec_lo
	s_delay_alu instid0(VALU_DEP_1)
	v_cmpx_lt_u64_e64 v[4:5], v[8:9]
	s_cbranch_execz .LBB8_243
; %bb.232:                              ;   in Loop: Header=BB8_230 Depth=2
	v_and_b32_e32 v2, 64, v30
	s_mov_b32 s41, 0
	s_mov_b32 s77, 0
                                        ; implicit-def: $sgpr74
                                        ; implicit-def: $sgpr75
                                        ; implicit-def: $sgpr76
	s_delay_alu instid0(VALU_DEP_1)
	v_cmp_eq_u32_e32 vcc_lo, 0, v2
	s_branch .LBB8_236
.LBB8_233:                              ;   in Loop: Header=BB8_236 Depth=3
	s_wait_loadcnt_dscnt 0x0
	v_add_nc_u64_e32 v[4:5], 8, v[82:83]
	s_or_b32 s88, s88, exec_lo
	s_delay_alu instid0(VALU_DEP_1)
	v_cmp_ge_u64_e64 s13, v[4:5], v[8:9]
	s_or_not1_b32 s79, s13, exec_lo
.LBB8_234:                              ;   in Loop: Header=BB8_236 Depth=3
	s_or_b32 exec_lo, exec_lo, s90
	s_delay_alu instid0(SALU_CYCLE_1)
	s_and_not1_b32 s13, s76, exec_lo
	s_and_b32 s76, s88, exec_lo
	s_and_not1_b32 s75, s75, exec_lo
	s_and_b32 s79, s79, exec_lo
	s_or_b32 s76, s13, s76
	s_or_b32 s75, s75, s79
.LBB8_235:                              ;   in Loop: Header=BB8_236 Depth=3
	s_or_b32 exec_lo, exec_lo, s78
	s_delay_alu instid0(SALU_CYCLE_1) | instskip(NEXT) | instid1(SALU_CYCLE_1)
	s_and_b32 s13, exec_lo, s75
	s_or_b32 s41, s13, s41
	s_and_not1_b32 s13, s74, exec_lo
	s_and_b32 s74, s76, exec_lo
	s_delay_alu instid0(SALU_CYCLE_1)
	s_or_b32 s74, s13, s74
	s_and_not1_b32 exec_lo, exec_lo, s41
	s_cbranch_execz .LBB8_240
.LBB8_236:                              ;   Parent Loop BB8_47 Depth=1
                                        ;     Parent Loop BB8_230 Depth=2
                                        ; =>    This Inner Loop Header: Depth=3
	s_sleep 1
	s_wait_loadcnt_dscnt 0x0
	flat_load_b64 v[82:83], v[64:65] scope:SCOPE_SYS
	s_or_b32 s76, s76, exec_lo
	s_or_b32 s75, s75, exec_lo
                                        ; implicit-def: $vgpr2
	s_wait_xcnt 0x0
	s_and_saveexec_b32 s78, vcc_lo
	s_cbranch_execz .LBB8_235
; %bb.237:                              ;   in Loop: Header=BB8_236 Depth=3
	s_cmp_lt_i32 s77, 0x270f
	s_mov_b32 s79, -1
	s_cselect_b32 s89, -1, 0
	s_cmp_gt_i32 s77, 0x270e
	s_cbranch_scc0 .LBB8_239
; %bb.238:                              ;   in Loop: Header=BB8_236 Depth=3
	s_trap 2
	ds_load_b64 v[4:5], v0
	s_and_not1_b32 s77, s89, exec_lo
	s_mov_b32 s88, 0
	s_wait_storecnt 0x0
	s_wait_loadcnt_dscnt 0x0
	flat_load_b32 v2, v[4:5] scope:SCOPE_SYS
	s_wait_loadcnt_dscnt 0x0
	global_inv scope:SCOPE_SYS
	v_cmp_eq_u32_e64 s13, 0, v2
	s_and_b32 s13, s13, exec_lo
	s_delay_alu instid0(SALU_CYCLE_1)
	s_or_b32 s89, s77, s13
	s_mov_b32 s77, 0
	s_wait_xcnt 0x0
	s_and_saveexec_b32 s90, s89
	s_cbranch_execz .LBB8_234
	s_branch .LBB8_233
.LBB8_239:                              ;   in Loop: Header=BB8_236 Depth=3
	s_add_co_i32 s77, s77, 1
	s_mov_b32 s88, -1
                                        ; implicit-def: $vgpr2
	s_and_saveexec_b32 s90, s89
	s_cbranch_execz .LBB8_234
	s_branch .LBB8_233
.LBB8_240:                              ;   in Loop: Header=BB8_230 Depth=2
	s_or_b32 exec_lo, exec_lo, s41
	s_xor_b32 s13, s74, -1
	s_delay_alu instid0(SALU_CYCLE_1) | instskip(NEXT) | instid1(SALU_CYCLE_1)
	s_and_saveexec_b32 s41, s13
	s_xor_b32 s13, exec_lo, s41
	s_cbranch_execz .LBB8_242
; %bb.241:                              ;   in Loop: Header=BB8_230 Depth=2
	v_or_b32_e32 v30, 64, v30
	s_wait_storecnt 0x0
	s_wait_loadcnt_dscnt 0x0
	ds_store_b32 v0, v2
	s_trap 2
.LBB8_242:                              ;   in Loop: Header=BB8_230 Depth=2
	s_or_b32 exec_lo, exec_lo, s13
.LBB8_243:                              ;   in Loop: Header=BB8_230 Depth=2
	s_delay_alu instid0(SALU_CYCLE_1) | instskip(SKIP_3) | instid1(VALU_DEP_1)
	s_or_b32 exec_lo, exec_lo, s40
	v_and_b32_e32 v2, 0x100, v30
	s_mov_b32 s40, 0
	;;#ASMSTART
	s_wakeup
	;;#ASMEND
                                        ; implicit-def: $vgpr10_vgpr11
	v_cmp_ne_u32_e32 vcc_lo, 0, v2
	v_and_b32_e32 v2, 7, v58
	s_and_saveexec_b32 s13, vcc_lo
	s_delay_alu instid0(SALU_CYCLE_1)
	s_xor_b32 s13, exec_lo, s13
	s_cbranch_execz .LBB8_264
; %bb.244:                              ;   in Loop: Header=BB8_230 Depth=2
	s_delay_alu instid0(VALU_DEP_1) | instskip(SKIP_2) | instid1(VALU_DEP_1)
	v_mad_nc_u64_u32 v[12:13], v2, 24, v[6:7]
	v_ashrrev_i32_e32 v73, 31, v72
	s_mov_b32 s40, -1
	v_lshlrev_b64_e32 v[4:5], 1, v[72:73]
	s_clause 0x1
	flat_load_b32 v10, v[12:13]
	flat_store_b64 v[12:13], v[4:5] offset:8
	s_wait_loadcnt_dscnt 0x1
	v_cmp_eq_u32_e32 vcc_lo, 1, v10
                                        ; implicit-def: $vgpr10_vgpr11
	s_wait_xcnt 0x0
	s_and_saveexec_b32 s41, vcc_lo
	s_cbranch_execz .LBB8_246
; %bb.245:                              ;   in Loop: Header=BB8_230 Depth=2
	flat_load_b32 v4, v[12:13] offset:4 scope:SCOPE_SYS
	s_xor_b32 s40, exec_lo, -1
	s_wait_loadcnt_dscnt 0x0
	v_ashrrev_i32_e32 v5, 31, v4
	s_delay_alu instid0(VALU_DEP_1)
	v_lshrrev_b64 v[10:11], 1, v[4:5]
.LBB8_246:                              ;   in Loop: Header=BB8_230 Depth=2
	s_wait_xcnt 0x0
	s_or_b32 exec_lo, exec_lo, s41
	s_delay_alu instid0(SALU_CYCLE_1)
	s_and_b32 s40, s40, exec_lo
	s_and_not1_saveexec_b32 s13, s13
	s_cbranch_execnz .LBB8_265
.LBB8_247:                              ;   in Loop: Header=BB8_230 Depth=2
	s_or_b32 exec_lo, exec_lo, s13
	s_and_saveexec_b32 s13, s40
.LBB8_248:                              ;   in Loop: Header=BB8_230 Depth=2
	v_mul_u64_e32 v[10:11], v[2:3], v[66:67]
.LBB8_249:                              ;   in Loop: Header=BB8_230 Depth=2
	s_or_b32 exec_lo, exec_lo, s13
	v_and_b32_e32 v2, 0x2000, v30
	s_delay_alu instid0(VALU_DEP_2)
	v_lshl_add_u64 v[4:5], v[10:11], 1, v[68:69]
	s_mov_b32 s13, exec_lo
	ds_store_b64 v0, v[4:5] offset:784
	v_cmpx_ne_u32_e32 0, v2
	s_cbranch_execz .LBB8_251
; %bb.250:                              ;   in Loop: Header=BB8_230 Depth=2
	ds_load_b64 v[4:5], v0 offset:872
	s_wait_dscnt 0x0
	v_add_nc_u64_e32 v[4:5], 1, v[4:5]
	ds_store_b64 v0, v[4:5] offset:872
.LBB8_251:                              ;   in Loop: Header=BB8_230 Depth=2
	s_or_b32 exec_lo, exec_lo, s13
	v_mov_b64_e32 v[58:59], v[8:9]
.LBB8_252:                              ;   in Loop: Header=BB8_230 Depth=2
	s_or_b32 exec_lo, exec_lo, s27
	s_xor_b32 s13, s18, -1
	s_delay_alu instid0(SALU_CYCLE_1) | instskip(NEXT) | instid1(SALU_CYCLE_1)
	s_and_b32 s13, exec_lo, s13
	s_or_b32 s15, s13, s15
	s_and_saveexec_b32 s13, s2
	s_cbranch_execz .LBB8_273
; %bb.253:                              ;   in Loop: Header=BB8_230 Depth=2
	s_and_saveexec_b32 s18, s3
	s_delay_alu instid0(SALU_CYCLE_1)
	s_xor_b32 s18, exec_lo, s18
	s_cbranch_execz .LBB8_270
; %bb.254:                              ;   in Loop: Header=BB8_230 Depth=2
	s_and_saveexec_b32 s27, s6
	s_cbranch_execz .LBB8_269
; %bb.255:                              ;   in Loop: Header=BB8_230 Depth=2
	s_mov_b32 s41, exec_lo
	s_mov_b32 s40, exec_lo
	v_mbcnt_lo_u32_b32 v2, s41, 0
	global_wb scope:SCOPE_DEV
	s_wait_storecnt 0x0
	s_wait_loadcnt_dscnt 0x0
	global_inv scope:SCOPE_DEV
	v_cmpx_eq_u32_e32 0, v2
	s_cbranch_execz .LBB8_257
; %bb.256:                              ;   in Loop: Header=BB8_230 Depth=2
	s_bcnt1_i32_b32 s41, s41
	s_delay_alu instid0(SALU_CYCLE_1)
	v_mov_b32_e32 v2, s41
	s_wait_loadcnt 0x0
	ds_add_u64 v0, v[2:3]
	s_trap 2
.LBB8_257:                              ;   in Loop: Header=BB8_230 Depth=2
	s_or_b32 exec_lo, exec_lo, s40
	s_trap 2
	ds_load_b64 v[4:5], v0
	s_wait_dscnt 0x0
	v_add_nc_u64_e32 v[80:81], v[80:81], v[84:85]
	s_mov_b32 s40, exec_lo
	s_delay_alu instid0(VALU_DEP_1)
	v_cmpx_lt_u64_e64 v[4:5], v[80:81]
	s_cbranch_execz .LBB8_268
; %bb.258:                              ;   in Loop: Header=BB8_230 Depth=2
	s_mov_b32 s41, 0
	s_mov_b32 s76, 0
                                        ; implicit-def: $sgpr74
                                        ; implicit-def: $sgpr75
	s_branch .LBB8_260
.LBB8_259:                              ;   in Loop: Header=BB8_260 Depth=3
	s_or_b32 exec_lo, exec_lo, s78
	s_delay_alu instid0(SALU_CYCLE_1) | instskip(NEXT) | instid1(SALU_CYCLE_1)
	s_and_b32 s77, exec_lo, s79
	s_or_b32 s41, s77, s41
	s_and_not1_b32 s74, s74, exec_lo
	s_and_b32 s77, s75, exec_lo
	s_delay_alu instid0(SALU_CYCLE_1)
	s_or_b32 s74, s74, s77
	s_and_not1_b32 exec_lo, exec_lo, s41
	s_cbranch_execz .LBB8_266
.LBB8_260:                              ;   Parent Loop BB8_47 Depth=1
                                        ;     Parent Loop BB8_230 Depth=2
                                        ; =>    This Inner Loop Header: Depth=3
	s_add_co_i32 s76, s76, 1
	s_delay_alu instid0(SALU_CYCLE_1) | instskip(SKIP_1) | instid1(SALU_CYCLE_1)
	s_cmp_lg_u32 s76, 0x2710
	s_cselect_b32 s77, -1, 0
	s_and_b32 vcc_lo, exec_lo, s77
	s_cbranch_vccz .LBB8_262
; %bb.261:                              ;   in Loop: Header=BB8_260 Depth=3
	s_mov_b32 s79, -1
	s_or_b32 s75, s75, exec_lo
	s_and_saveexec_b32 s78, s77
	s_cbranch_execz .LBB8_259
	s_branch .LBB8_263
.LBB8_262:                              ;   in Loop: Header=BB8_260 Depth=3
	s_trap 2
	ds_load_b64 v[4:5], v0
	s_and_not1_b32 s77, s77, exec_lo
	s_mov_b32 s76, 0
	s_wait_loadcnt_dscnt 0x0
	flat_load_b32 v2, v[4:5] scope:SCOPE_SYS
	s_wait_loadcnt_dscnt 0x0
	global_inv scope:SCOPE_SYS
	v_cmp_eq_u32_e32 vcc_lo, 0, v2
	s_and_b32 s78, vcc_lo, exec_lo
	s_delay_alu instid0(SALU_CYCLE_1)
	s_or_b32 s77, s77, s78
	s_mov_b32 s79, -1
	s_or_b32 s75, s75, exec_lo
	s_wait_xcnt 0x0
	s_and_saveexec_b32 s78, s77
	s_cbranch_execz .LBB8_259
.LBB8_263:                              ;   in Loop: Header=BB8_260 Depth=3
	s_sleep 1
	s_trap 2
	ds_load_b64 v[4:5], v0
	s_wait_dscnt 0x0
	s_and_not1_b32 s75, s75, exec_lo
	v_cmp_ge_u64_e32 vcc_lo, v[4:5], v[80:81]
	s_or_not1_b32 s79, vcc_lo, exec_lo
	s_branch .LBB8_259
.LBB8_264:                              ;   in Loop: Header=BB8_230 Depth=2
	s_and_not1_saveexec_b32 s13, s13
	s_cbranch_execz .LBB8_247
.LBB8_265:                              ;   in Loop: Header=BB8_230 Depth=2
	s_or_b32 s40, s40, exec_lo
	s_or_b32 exec_lo, exec_lo, s13
	s_and_saveexec_b32 s13, s40
	s_cbranch_execnz .LBB8_248
	s_branch .LBB8_249
.LBB8_266:                              ;   in Loop: Header=BB8_230 Depth=2
	s_or_b32 exec_lo, exec_lo, s41
	s_and_saveexec_b32 s41, s74
	s_delay_alu instid0(SALU_CYCLE_1)
	s_xor_b32 s41, exec_lo, s41
	s_cbranch_execz .LBB8_268
; %bb.267:                              ;   in Loop: Header=BB8_230 Depth=2
	ds_store_b32 v0, v111
	s_trap 2
.LBB8_268:                              ;   in Loop: Header=BB8_230 Depth=2
	s_or_b32 exec_lo, exec_lo, s40
	;;#ASMSTART
	s_wakeup
	;;#ASMEND
.LBB8_269:                              ;   in Loop: Header=BB8_230 Depth=2
	s_or_b32 exec_lo, exec_lo, s27
.LBB8_270:                              ;   in Loop: Header=BB8_230 Depth=2
	s_and_not1_saveexec_b32 s18, s18
	s_cbranch_execz .LBB8_272
; %bb.271:                              ;   in Loop: Header=BB8_230 Depth=2
	global_wb scope:SCOPE_DEV
	s_wait_storecnt 0x0
	s_wait_loadcnt_dscnt 0x0
	global_inv scope:SCOPE_DEV
	s_barrier_signal -1
	s_barrier_wait -1
.LBB8_272:                              ;   in Loop: Header=BB8_230 Depth=2
	s_or_b32 exec_lo, exec_lo, s18
.LBB8_273:                              ;   in Loop: Header=BB8_230 Depth=2
	s_delay_alu instid0(SALU_CYCLE_1) | instskip(SKIP_2) | instid1(SALU_CYCLE_1)
	s_or_b32 exec_lo, exec_lo, s13
	v_and_b32_e32 v8, 16, v30
	s_and_saveexec_b32 s13, s10
	s_xor_b32 s18, exec_lo, s13
	s_cbranch_execz .LBB8_277
; %bb.274:                              ;   in Loop: Header=BB8_230 Depth=2
	s_trap 2
	ds_load_b32 v2, v0
	v_cmp_lt_i32_e32 vcc_lo, 0, v72
	v_and_b32_e32 v8, 16, v30
	s_wait_dscnt 0x0
	v_readfirstlane_b32 s13, v2
	v_and_b32_e32 v2, 16, v30
	s_cmp_eq_u32 s13, 0
	s_delay_alu instid0(VALU_DEP_1) | instskip(SKIP_1) | instid1(SALU_CYCLE_1)
	v_cmp_ne_u32_e64 s13, 0, v2
	s_cselect_b32 s27, -1, 0
	s_and_b32 s27, vcc_lo, s27
	s_delay_alu instid0(SALU_CYCLE_1) | instskip(NEXT) | instid1(SALU_CYCLE_1)
	s_and_b32 s27, s13, s27
	s_and_saveexec_b32 s13, s27
	s_cbranch_execz .LBB8_276
; %bb.275:                              ;   in Loop: Header=BB8_230 Depth=2
	v_mov_b32_e32 v8, 1
	global_wb scope:SCOPE_SYS
	s_wait_loadcnt 0x0
	s_wait_storecnt 0x0
	global_inv scope:SCOPE_SYS
.LBB8_276:                              ;   in Loop: Header=BB8_230 Depth=2
	s_or_b32 exec_lo, exec_lo, s13
.LBB8_277:                              ;   in Loop: Header=BB8_230 Depth=2
	s_and_not1_saveexec_b32 s13, s18
	s_cbranch_execz .LBB8_296
; %bb.278:                              ;   in Loop: Header=BB8_230 Depth=2
	s_and_saveexec_b32 s18, s3
	s_delay_alu instid0(SALU_CYCLE_1)
	s_xor_b32 s18, exec_lo, s18
	s_cbranch_execz .LBB8_293
; %bb.279:                              ;   in Loop: Header=BB8_230 Depth=2
	s_and_saveexec_b32 s27, s6
	s_cbranch_execz .LBB8_292
; %bb.280:                              ;   in Loop: Header=BB8_230 Depth=2
	s_mov_b32 s41, exec_lo
	s_mov_b32 s40, exec_lo
	v_mbcnt_lo_u32_b32 v2, s41, 0
	;;#ASMSTART
	s_waitcnt lgkmcnt(0) vmcnt(0)
	;;#ASMEND
	s_delay_alu instid0(VALU_DEP_1)
	v_cmpx_eq_u32_e32 0, v2
	s_cbranch_execz .LBB8_282
; %bb.281:                              ;   in Loop: Header=BB8_230 Depth=2
	s_bcnt1_i32_b32 s41, s41
	s_delay_alu instid0(SALU_CYCLE_1)
	v_mov_b32_e32 v2, s41
	s_wait_storecnt 0x0
	s_wait_loadcnt_dscnt 0x0
	ds_add_u64 v0, v[2:3]
	s_trap 2
.LBB8_282:                              ;   in Loop: Header=BB8_230 Depth=2
	s_or_b32 exec_lo, exec_lo, s40
	s_trap 2
	ds_load_b64 v[4:5], v0
	s_wait_dscnt 0x0
	v_add_nc_u64_e32 v[80:81], v[80:81], v[84:85]
	s_mov_b32 s40, exec_lo
	s_delay_alu instid0(VALU_DEP_1)
	v_cmpx_lt_u64_e64 v[4:5], v[80:81]
	s_cbranch_execz .LBB8_291
; %bb.283:                              ;   in Loop: Header=BB8_230 Depth=2
	s_mov_b32 s41, 0
	s_mov_b32 s76, 0
                                        ; implicit-def: $sgpr74
                                        ; implicit-def: $sgpr75
	s_branch .LBB8_285
.LBB8_284:                              ;   in Loop: Header=BB8_285 Depth=3
	s_or_b32 exec_lo, exec_lo, s78
	s_delay_alu instid0(SALU_CYCLE_1) | instskip(NEXT) | instid1(SALU_CYCLE_1)
	s_and_b32 s77, exec_lo, s79
	s_or_b32 s41, s77, s41
	s_and_not1_b32 s74, s74, exec_lo
	s_and_b32 s77, s75, exec_lo
	s_delay_alu instid0(SALU_CYCLE_1)
	s_or_b32 s74, s74, s77
	s_and_not1_b32 exec_lo, exec_lo, s41
	s_cbranch_execz .LBB8_289
.LBB8_285:                              ;   Parent Loop BB8_47 Depth=1
                                        ;     Parent Loop BB8_230 Depth=2
                                        ; =>    This Inner Loop Header: Depth=3
	s_add_co_i32 s76, s76, 1
	s_delay_alu instid0(SALU_CYCLE_1) | instskip(SKIP_1) | instid1(SALU_CYCLE_1)
	s_cmp_lg_u32 s76, 0x2710
	s_cselect_b32 s77, -1, 0
	s_and_b32 vcc_lo, exec_lo, s77
	s_cbranch_vccz .LBB8_287
; %bb.286:                              ;   in Loop: Header=BB8_285 Depth=3
	s_mov_b32 s79, -1
	s_or_b32 s75, s75, exec_lo
	s_and_saveexec_b32 s78, s77
	s_cbranch_execz .LBB8_284
	s_branch .LBB8_288
.LBB8_287:                              ;   in Loop: Header=BB8_285 Depth=3
	s_trap 2
	ds_load_b64 v[4:5], v0
	s_and_not1_b32 s77, s77, exec_lo
	s_mov_b32 s76, 0
	s_wait_storecnt 0x0
	s_wait_loadcnt_dscnt 0x0
	flat_load_b32 v2, v[4:5] scope:SCOPE_SYS
	s_wait_loadcnt_dscnt 0x0
	global_inv scope:SCOPE_SYS
	v_cmp_eq_u32_e32 vcc_lo, 0, v2
	s_and_b32 s78, vcc_lo, exec_lo
	s_delay_alu instid0(SALU_CYCLE_1)
	s_or_b32 s77, s77, s78
	s_mov_b32 s79, -1
	s_or_b32 s75, s75, exec_lo
	s_wait_xcnt 0x0
	s_and_saveexec_b32 s78, s77
	s_cbranch_execz .LBB8_284
.LBB8_288:                              ;   in Loop: Header=BB8_285 Depth=3
	s_sleep 1
	s_trap 2
	ds_load_b64 v[4:5], v0
	s_wait_dscnt 0x0
	s_and_not1_b32 s75, s75, exec_lo
	v_cmp_ge_u64_e32 vcc_lo, v[4:5], v[80:81]
	s_or_not1_b32 s79, vcc_lo, exec_lo
	s_branch .LBB8_284
.LBB8_289:                              ;   in Loop: Header=BB8_230 Depth=2
	s_or_b32 exec_lo, exec_lo, s41
	s_and_saveexec_b32 s41, s74
	s_delay_alu instid0(SALU_CYCLE_1)
	s_xor_b32 s41, exec_lo, s41
	s_cbranch_execz .LBB8_291
; %bb.290:                              ;   in Loop: Header=BB8_230 Depth=2
	ds_store_b32 v0, v111
	s_trap 2
.LBB8_291:                              ;   in Loop: Header=BB8_230 Depth=2
	s_or_b32 exec_lo, exec_lo, s40
	;;#ASMSTART
	s_wakeup
	;;#ASMEND
.LBB8_292:                              ;   in Loop: Header=BB8_230 Depth=2
	s_or_b32 exec_lo, exec_lo, s27
.LBB8_293:                              ;   in Loop: Header=BB8_230 Depth=2
	s_and_not1_saveexec_b32 s18, s18
	s_cbranch_execz .LBB8_295
; %bb.294:                              ;   in Loop: Header=BB8_230 Depth=2
	;;#ASMSTART
	s_waitcnt lgkmcnt(0) vmcnt(0)
	;;#ASMEND
	s_barrier_signal -1
	s_barrier_wait -1
.LBB8_295:                              ;   in Loop: Header=BB8_230 Depth=2
	s_or_b32 exec_lo, exec_lo, s18
.LBB8_296:                              ;   in Loop: Header=BB8_230 Depth=2
	s_delay_alu instid0(SALU_CYCLE_1) | instskip(NEXT) | instid1(SALU_CYCLE_1)
	s_or_b32 exec_lo, exec_lo, s13
	s_mov_b32 s13, exec_lo
	v_cmpx_ne_u32_e32 0, v8
	s_cbranch_execz .LBB8_229
; %bb.297:                              ;   in Loop: Header=BB8_230 Depth=2
	s_and_saveexec_b32 s18, s5
	s_cbranch_execz .LBB8_228
; %bb.298:                              ;   in Loop: Header=BB8_230 Depth=2
	global_wb scope:SCOPE_SYS
	s_wait_storecnt 0x0
	s_wait_loadcnt_dscnt 0x0
	flat_store_b32 v[70:71], v111 scope:SCOPE_SYS
	s_branch .LBB8_228
.LBB8_299:                              ;   in Loop: Header=BB8_47 Depth=1
	s_or_b32 exec_lo, exec_lo, s15
.LBB8_300:                              ;   in Loop: Header=BB8_47 Depth=1
	s_delay_alu instid0(SALU_CYCLE_1) | instskip(NEXT) | instid1(SALU_CYCLE_1)
	s_or_b32 exec_lo, exec_lo, s14
	s_and_not1_b32 vcc_lo, exec_lo, s46
	s_cbranch_vccnz .LBB8_956
; %bb.301:                              ;   in Loop: Header=BB8_47 Depth=1
	s_mov_b32 s18, 2
	s_branch .LBB8_304
.LBB8_302:                              ;   in Loop: Header=BB8_304 Depth=2
	s_or_b32 exec_lo, exec_lo, s15
.LBB8_303:                              ;   in Loop: Header=BB8_304 Depth=2
	s_delay_alu instid0(SALU_CYCLE_1) | instskip(SKIP_1) | instid1(SALU_CYCLE_1)
	s_or_b32 exec_lo, exec_lo, s14
	s_add_co_i32 s18, s18, 1
	s_cmp_eq_u32 s18, s16
	s_cbranch_scc1 .LBB8_956
.LBB8_304:                              ;   Parent Loop BB8_47 Depth=1
                                        ; =>  This Loop Header: Depth=2
                                        ;       Child Loop BB8_307 Depth 3
                                        ;         Child Loop BB8_315 Depth 4
                                        ;         Child Loop BB8_343 Depth 4
	;; [unrolled: 1-line block ×5, first 2 shown]
                                        ;           Child Loop BB8_596 Depth 5
                                        ;           Child Loop BB8_633 Depth 5
                                        ;         Child Loop BB8_710 Depth 4
                                        ;         Child Loop BB8_817 Depth 4
                                        ;           Child Loop BB8_818 Depth 5
                                        ;           Child Loop BB8_827 Depth 5
                                        ;         Child Loop BB8_846 Depth 4
                                        ;         Child Loop BB8_865 Depth 4
                                        ;       Child Loop BB8_884 Depth 3
                                        ;         Child Loop BB8_890 Depth 4
                                        ;         Child Loop BB8_918 Depth 4
	;; [unrolled: 1-line block ×3, first 2 shown]
	s_sub_co_i32 s13, s44, s18
	s_mov_b32 s74, 0
	s_cmp_ge_i32 s13, s16
	v_mov_b32_e32 v74, 0
	s_cselect_b32 s14, s16, 0
	s_delay_alu instid0(SALU_CYCLE_1) | instskip(NEXT) | instid1(SALU_CYCLE_1)
	s_sub_co_i32 s14, s13, s14
	s_ashr_i32 s15, s14, 31
	s_delay_alu instid0(SALU_CYCLE_1) | instskip(NEXT) | instid1(VALU_DEP_1)
	v_mul_u64_e32 v[76:77], s[14:15], v[56:57]
	v_sub_nc_u64_e32 v[4:5], v[60:61], v[76:77]
	s_delay_alu instid0(VALU_DEP_1) | instskip(NEXT) | instid1(VALU_DEP_1)
	v_min_i64 v[4:5], v[56:57], v[4:5]
	v_max_i32_e32 v106, 0, v4
	v_cmp_lt_i32_e32 vcc_lo, 0, v4
	s_delay_alu instid0(VALU_DEP_2) | instskip(SKIP_1) | instid1(VALU_DEP_1)
	v_add_nc_u32_e32 v2, 31, v106
	s_and_b32 s13, s63, vcc_lo
	v_lshrrev_b32_e32 v2, 1, v2
	s_delay_alu instid0(VALU_DEP_1) | instskip(NEXT) | instid1(VALU_DEP_1)
	v_and_b32_e32 v5, 0x3ffffff0, v2
	v_dual_mov_b32 v2, 0 :: v_dual_max_i32 v72, s45, v5
	s_and_saveexec_b32 s27, s13
	s_cbranch_execz .LBB8_881
; %bb.305:                              ;   in Loop: Header=BB8_304 Depth=2
	v_mov_b32_e32 v74, 0
	s_mov_b32 s76, 1
	s_mov_b32 s75, -1
	s_branch .LBB8_307
.LBB8_306:                              ;   in Loop: Header=BB8_307 Depth=3
	s_wait_xcnt 0x0
	s_or_b32 exec_lo, exec_lo, s13
	v_dual_add_nc_u32 v74, v72, v74 :: v_dual_mov_b32 v2, s76
	s_xor_b32 s13, s75, -1
	s_mov_b32 s75, 0
	s_mov_b32 s76, 2
	s_delay_alu instid0(VALU_DEP_1) | instskip(SKIP_1) | instid1(SALU_CYCLE_1)
	v_cmp_ge_i32_e32 vcc_lo, v74, v106
	s_or_b32 s13, s13, vcc_lo
	s_and_b32 s13, exec_lo, s13
	s_delay_alu instid0(SALU_CYCLE_1) | instskip(NEXT) | instid1(SALU_CYCLE_1)
	s_or_b32 s74, s13, s74
	s_and_not1_b32 exec_lo, exec_lo, s74
	s_cbranch_execz .LBB8_880
.LBB8_307:                              ;   Parent Loop BB8_47 Depth=1
                                        ;     Parent Loop BB8_304 Depth=2
                                        ; =>    This Loop Header: Depth=3
                                        ;         Child Loop BB8_315 Depth 4
                                        ;         Child Loop BB8_343 Depth 4
	;; [unrolled: 1-line block ×5, first 2 shown]
                                        ;           Child Loop BB8_596 Depth 5
                                        ;           Child Loop BB8_633 Depth 5
                                        ;         Child Loop BB8_710 Depth 4
                                        ;         Child Loop BB8_817 Depth 4
                                        ;           Child Loop BB8_818 Depth 5
                                        ;           Child Loop BB8_827 Depth 5
                                        ;         Child Loop BB8_846 Depth 4
                                        ;         Child Loop BB8_865 Depth 4
	s_and_saveexec_b32 s13, s0
	s_cbranch_execz .LBB8_309
; %bb.308:                              ;   in Loop: Header=BB8_307 Depth=3
	s_trap 2
	ds_load_b64 v[4:5], v0
	v_ashrrev_i32_e32 v75, 31, v74
	s_wait_dscnt 0x0
	v_lshl_add_u64 v[4:5], v[62:63], 1, v[4:5]
	s_delay_alu instid0(VALU_DEP_1) | instskip(NEXT) | instid1(VALU_DEP_1)
	v_lshl_add_u64 v[4:5], v[76:77], 1, v[4:5]
	v_lshl_add_u64 v[4:5], v[74:75], 1, v[4:5]
	ds_store_b64 v0, v[4:5]
	ds_store_b64 v0, v[86:87]
.LBB8_309:                              ;   in Loop: Header=BB8_307 Depth=3
	s_or_b32 exec_lo, exec_lo, s13
	v_sub_nc_u32_e32 v2, v106, v74
	v_and_b32_e32 v4, 12, v30
	s_mov_b32 s14, exec_lo
	s_delay_alu instid0(VALU_DEP_2) | instskip(NEXT) | instid1(VALU_DEP_2)
	v_min_i32_e32 v72, v72, v2
	v_cmpx_ne_u32_e32 0, v4
	s_cbranch_execz .LBB8_335
; %bb.310:                              ;   in Loop: Header=BB8_307 Depth=3
	v_and_b32_e32 v2, 8, v30
	v_add_nc_u64_e32 v[8:9], 2, v[58:59]
	s_mov_b32 s15, exec_lo
	s_wait_loadcnt_dscnt 0x1
	s_delay_alu instid0(VALU_DEP_2) | instskip(NEXT) | instid1(VALU_DEP_1)
	v_add_nc_u64_e32 v[4:5], v[82:83], v[2:3]
	v_cmpx_lt_u64_e64 v[4:5], v[8:9]
	s_cbranch_execz .LBB8_322
; %bb.311:                              ;   in Loop: Header=BB8_307 Depth=3
	v_and_b32_e32 v4, 64, v30
	s_mov_b32 s40, 0
	s_mov_b32 s79, 0
                                        ; implicit-def: $sgpr41
                                        ; implicit-def: $sgpr77
                                        ; implicit-def: $sgpr78
	s_delay_alu instid0(VALU_DEP_1)
	v_cmp_eq_u32_e32 vcc_lo, 0, v4
	s_branch .LBB8_315
.LBB8_312:                              ;   in Loop: Header=BB8_315 Depth=4
	s_wait_loadcnt_dscnt 0x0
	v_add_nc_u64_e32 v[4:5], v[82:83], v[2:3]
	s_or_b32 s90, s90, exec_lo
	s_delay_alu instid0(VALU_DEP_1)
	v_cmp_ge_u64_e64 s13, v[4:5], v[8:9]
	s_or_not1_b32 s89, s13, exec_lo
.LBB8_313:                              ;   in Loop: Header=BB8_315 Depth=4
	s_or_b32 exec_lo, exec_lo, s92
	s_delay_alu instid0(SALU_CYCLE_1)
	s_and_not1_b32 s13, s78, exec_lo
	s_and_b32 s78, s90, exec_lo
	s_and_not1_b32 s77, s77, exec_lo
	s_and_b32 s89, s89, exec_lo
	s_or_b32 s78, s13, s78
	s_or_b32 s77, s77, s89
.LBB8_314:                              ;   in Loop: Header=BB8_315 Depth=4
	s_or_b32 exec_lo, exec_lo, s88
	s_delay_alu instid0(SALU_CYCLE_1) | instskip(NEXT) | instid1(SALU_CYCLE_1)
	s_and_b32 s13, exec_lo, s77
	s_or_b32 s40, s13, s40
	s_and_not1_b32 s13, s41, exec_lo
	s_and_b32 s41, s78, exec_lo
	s_delay_alu instid0(SALU_CYCLE_1)
	s_or_b32 s41, s13, s41
	s_and_not1_b32 exec_lo, exec_lo, s40
	s_cbranch_execz .LBB8_319
.LBB8_315:                              ;   Parent Loop BB8_47 Depth=1
                                        ;     Parent Loop BB8_304 Depth=2
                                        ;       Parent Loop BB8_307 Depth=3
                                        ; =>      This Inner Loop Header: Depth=4
	s_sleep 1
	s_wait_loadcnt_dscnt 0x0
	flat_load_b64 v[82:83], v[64:65] scope:SCOPE_SYS
	s_or_b32 s78, s78, exec_lo
	s_or_b32 s77, s77, exec_lo
                                        ; implicit-def: $vgpr10
	s_wait_xcnt 0x0
	s_and_saveexec_b32 s88, vcc_lo
	s_cbranch_execz .LBB8_314
; %bb.316:                              ;   in Loop: Header=BB8_315 Depth=4
	s_cmp_lt_i32 s79, 0x270f
	s_mov_b32 s89, -1
	s_cselect_b32 s91, -1, 0
	s_cmp_gt_i32 s79, 0x270e
	s_cbranch_scc0 .LBB8_318
; %bb.317:                              ;   in Loop: Header=BB8_315 Depth=4
	s_trap 2
	ds_load_b64 v[4:5], v0
	s_and_not1_b32 s79, s91, exec_lo
	s_mov_b32 s90, 0
	s_wait_storecnt 0x0
	s_wait_loadcnt_dscnt 0x0
	flat_load_b32 v10, v[4:5] scope:SCOPE_SYS
	s_wait_loadcnt_dscnt 0x0
	global_inv scope:SCOPE_SYS
	v_cmp_eq_u32_e64 s13, 0, v10
	s_and_b32 s13, s13, exec_lo
	s_delay_alu instid0(SALU_CYCLE_1)
	s_or_b32 s91, s79, s13
	s_mov_b32 s79, 0
	s_wait_xcnt 0x0
	s_and_saveexec_b32 s92, s91
	s_cbranch_execz .LBB8_313
	s_branch .LBB8_312
.LBB8_318:                              ;   in Loop: Header=BB8_315 Depth=4
	s_add_co_i32 s79, s79, 1
	s_mov_b32 s90, -1
                                        ; implicit-def: $vgpr10
	s_and_saveexec_b32 s92, s91
	s_cbranch_execz .LBB8_313
	s_branch .LBB8_312
.LBB8_319:                              ;   in Loop: Header=BB8_307 Depth=3
	s_or_b32 exec_lo, exec_lo, s40
	s_xor_b32 s13, s41, -1
	s_delay_alu instid0(SALU_CYCLE_1) | instskip(NEXT) | instid1(SALU_CYCLE_1)
	s_and_saveexec_b32 s40, s13
	s_xor_b32 s13, exec_lo, s40
	s_cbranch_execz .LBB8_321
; %bb.320:                              ;   in Loop: Header=BB8_307 Depth=3
	v_or_b32_e32 v30, 64, v30
	s_wait_storecnt 0x0
	s_wait_loadcnt_dscnt 0x0
	ds_store_b32 v0, v10
	s_trap 2
.LBB8_321:                              ;   in Loop: Header=BB8_307 Depth=3
	s_or_b32 exec_lo, exec_lo, s13
.LBB8_322:                              ;   in Loop: Header=BB8_307 Depth=3
	s_delay_alu instid0(SALU_CYCLE_1) | instskip(SKIP_3) | instid1(VALU_DEP_1)
	s_or_b32 exec_lo, exec_lo, s15
	v_and_b32_e32 v4, 0x108, v30
	s_mov_b32 s13, exec_lo
	;;#ASMSTART
	s_wakeup
	;;#ASMEND
                                        ; implicit-def: $vgpr10_vgpr11
	v_cmpx_ne_u32_e32 0x108, v4
	s_xor_b32 s13, exec_lo, s13
; %bb.323:                              ;   in Loop: Header=BB8_307 Depth=3
	v_dual_mov_b32 v11, v3 :: v_dual_bitop2_b32 v10, 7, v58 bitop3:0x40
                                        ; implicit-def: $vgpr58_vgpr59
; %bb.324:                              ;   in Loop: Header=BB8_307 Depth=3
	s_and_not1_saveexec_b32 s13, s13
	s_cbranch_execz .LBB8_326
; %bb.325:                              ;   in Loop: Header=BB8_307 Depth=3
	v_dual_ashrrev_i32 v73, 31, v72 :: v_dual_bitop2_b32 v10, 7, v58 bitop3:0x40
	v_mov_b32_e32 v11, v3
	s_delay_alu instid0(VALU_DEP_2) | instskip(NEXT) | instid1(VALU_DEP_3)
	v_mad_nc_u64_u32 v[4:5], v10, 24, v[6:7]
	v_lshlrev_b64_e32 v[12:13], 1, v[72:73]
	flat_store_b64 v[4:5], v[12:13] offset:8
.LBB8_326:                              ;   in Loop: Header=BB8_307 Depth=3
	s_wait_xcnt 0x0
	s_or_b32 exec_lo, exec_lo, s13
	v_and_b32_e32 v4, 0x100, v30
	s_mov_b32 s13, -1
	s_mov_b32 s15, exec_lo
                                        ; implicit-def: $vgpr12_vgpr13
	s_delay_alu instid0(VALU_DEP_1)
	v_cmpx_ne_u32_e32 0, v4
	s_cbranch_execz .LBB8_330
; %bb.327:                              ;   in Loop: Header=BB8_307 Depth=3
	v_mad_nc_u64_u32 v[14:15], v10, 24, v[6:7]
	s_mov_b32 s40, exec_lo
                                        ; implicit-def: $vgpr12_vgpr13
	s_delay_alu instid0(VALU_DEP_1)
	v_mad_u32 v15, v11, 24, v15
	flat_load_b32 v4, v[14:15]
	s_wait_loadcnt_dscnt 0x0
	v_cmp_ne_u32_e32 vcc_lo, 1, v4
	s_wait_xcnt 0x0
	v_cmpx_eq_u32_e32 1, v4
	s_cbranch_execz .LBB8_329
; %bb.328:                              ;   in Loop: Header=BB8_307 Depth=3
	flat_load_b32 v4, v[14:15] offset:4 scope:SCOPE_SYS
	s_wait_loadcnt_dscnt 0x0
	v_ashrrev_i32_e32 v5, 31, v4
	s_delay_alu instid0(VALU_DEP_1)
	v_lshrrev_b64 v[12:13], 1, v[4:5]
.LBB8_329:                              ;   in Loop: Header=BB8_307 Depth=3
	s_wait_xcnt 0x0
	s_or_b32 exec_lo, exec_lo, s40
	s_delay_alu instid0(SALU_CYCLE_1)
	s_or_not1_b32 s13, vcc_lo, exec_lo
.LBB8_330:                              ;   in Loop: Header=BB8_307 Depth=3
	s_or_b32 exec_lo, exec_lo, s15
	s_and_saveexec_b32 s15, s13
; %bb.331:                              ;   in Loop: Header=BB8_307 Depth=3
	v_mul_u64_e32 v[12:13], v[10:11], v[66:67]
; %bb.332:                              ;   in Loop: Header=BB8_307 Depth=3
	s_or_b32 exec_lo, exec_lo, s15
	v_cmp_eq_u32_e32 vcc_lo, 0, v2
	v_and_b32_e32 v10, 0x2000, v30
	s_delay_alu instid0(VALU_DEP_3) | instskip(SKIP_2) | instid1(VALU_DEP_1)
	v_lshl_add_u64 v[4:5], v[12:13], 1, v[68:69]
	s_mov_b32 s13, exec_lo
	v_cndmask_b32_e32 v2, 0xc8, v120, vcc_lo
	v_add_nc_u32_e32 v2, v0, v2
	ds_store_b64 v2, v[4:5] offset:584
	v_cmpx_ne_u32_e32 0, v10
	s_cbranch_execz .LBB8_334
; %bb.333:                              ;   in Loop: Header=BB8_307 Depth=3
	ds_load_b64 v[4:5], v0 offset:872
	s_wait_dscnt 0x0
	v_add_nc_u64_e32 v[4:5], 1, v[4:5]
	ds_store_b64 v0, v[4:5] offset:872
.LBB8_334:                              ;   in Loop: Header=BB8_307 Depth=3
	s_or_b32 exec_lo, exec_lo, s13
	v_mov_b64_e32 v[58:59], v[8:9]
.LBB8_335:                              ;   in Loop: Header=BB8_307 Depth=3
	s_or_b32 exec_lo, exec_lo, s14
	s_and_saveexec_b32 s13, s2
	s_cbranch_execz .LBB8_354
; %bb.336:                              ;   in Loop: Header=BB8_307 Depth=3
	s_and_saveexec_b32 s14, s3
	s_delay_alu instid0(SALU_CYCLE_1)
	s_xor_b32 s14, exec_lo, s14
	s_cbranch_execz .LBB8_351
; %bb.337:                              ;   in Loop: Header=BB8_307 Depth=3
	s_and_saveexec_b32 s15, s6
	s_cbranch_execz .LBB8_350
; %bb.338:                              ;   in Loop: Header=BB8_307 Depth=3
	s_mov_b32 s41, exec_lo
	s_mov_b32 s40, exec_lo
	v_mbcnt_lo_u32_b32 v2, s41, 0
	global_wb scope:SCOPE_DEV
	s_wait_storecnt 0x0
	s_wait_loadcnt_dscnt 0x0
	global_inv scope:SCOPE_DEV
	v_cmpx_eq_u32_e32 0, v2
	s_cbranch_execz .LBB8_340
; %bb.339:                              ;   in Loop: Header=BB8_307 Depth=3
	s_bcnt1_i32_b32 s41, s41
	s_delay_alu instid0(SALU_CYCLE_1)
	v_mov_b32_e32 v2, s41
	s_wait_loadcnt 0x0
	ds_add_u64 v0, v[2:3]
	s_trap 2
.LBB8_340:                              ;   in Loop: Header=BB8_307 Depth=3
	s_or_b32 exec_lo, exec_lo, s40
	s_trap 2
	ds_load_b64 v[4:5], v0
	s_wait_dscnt 0x0
	v_add_nc_u64_e32 v[80:81], v[80:81], v[84:85]
	s_mov_b32 s40, exec_lo
	s_delay_alu instid0(VALU_DEP_1)
	v_cmpx_lt_u64_e64 v[4:5], v[80:81]
	s_cbranch_execz .LBB8_349
; %bb.341:                              ;   in Loop: Header=BB8_307 Depth=3
	s_mov_b32 s41, 0
	s_mov_b32 s79, 0
                                        ; implicit-def: $sgpr77
                                        ; implicit-def: $sgpr78
	s_branch .LBB8_343
.LBB8_342:                              ;   in Loop: Header=BB8_343 Depth=4
	s_or_b32 exec_lo, exec_lo, s89
	s_delay_alu instid0(SALU_CYCLE_1) | instskip(NEXT) | instid1(SALU_CYCLE_1)
	s_and_b32 s88, exec_lo, s90
	s_or_b32 s41, s88, s41
	s_and_not1_b32 s77, s77, exec_lo
	s_and_b32 s88, s78, exec_lo
	s_delay_alu instid0(SALU_CYCLE_1)
	s_or_b32 s77, s77, s88
	s_and_not1_b32 exec_lo, exec_lo, s41
	s_cbranch_execz .LBB8_347
.LBB8_343:                              ;   Parent Loop BB8_47 Depth=1
                                        ;     Parent Loop BB8_304 Depth=2
                                        ;       Parent Loop BB8_307 Depth=3
                                        ; =>      This Inner Loop Header: Depth=4
	s_add_co_i32 s79, s79, 1
	s_delay_alu instid0(SALU_CYCLE_1) | instskip(SKIP_1) | instid1(SALU_CYCLE_1)
	s_cmp_lg_u32 s79, 0x2710
	s_cselect_b32 s88, -1, 0
	s_and_b32 vcc_lo, exec_lo, s88
	s_cbranch_vccz .LBB8_345
; %bb.344:                              ;   in Loop: Header=BB8_343 Depth=4
	s_mov_b32 s90, -1
	s_or_b32 s78, s78, exec_lo
	s_and_saveexec_b32 s89, s88
	s_cbranch_execz .LBB8_342
	s_branch .LBB8_346
.LBB8_345:                              ;   in Loop: Header=BB8_343 Depth=4
	s_trap 2
	ds_load_b64 v[4:5], v0
	s_and_not1_b32 s88, s88, exec_lo
	s_mov_b32 s79, 0
	s_wait_loadcnt_dscnt 0x0
	flat_load_b32 v2, v[4:5] scope:SCOPE_SYS
	s_wait_loadcnt_dscnt 0x0
	global_inv scope:SCOPE_SYS
	v_cmp_eq_u32_e32 vcc_lo, 0, v2
	s_and_b32 s89, vcc_lo, exec_lo
	s_delay_alu instid0(SALU_CYCLE_1)
	s_or_b32 s88, s88, s89
	s_mov_b32 s90, -1
	s_or_b32 s78, s78, exec_lo
	s_wait_xcnt 0x0
	s_and_saveexec_b32 s89, s88
	s_cbranch_execz .LBB8_342
.LBB8_346:                              ;   in Loop: Header=BB8_343 Depth=4
	s_sleep 1
	s_trap 2
	ds_load_b64 v[4:5], v0
	s_wait_dscnt 0x0
	s_and_not1_b32 s78, s78, exec_lo
	v_cmp_ge_u64_e32 vcc_lo, v[4:5], v[80:81]
	s_or_not1_b32 s90, vcc_lo, exec_lo
	s_branch .LBB8_342
.LBB8_347:                              ;   in Loop: Header=BB8_307 Depth=3
	s_or_b32 exec_lo, exec_lo, s41
	s_and_saveexec_b32 s41, s77
	s_delay_alu instid0(SALU_CYCLE_1)
	s_xor_b32 s41, exec_lo, s41
	s_cbranch_execz .LBB8_349
; %bb.348:                              ;   in Loop: Header=BB8_307 Depth=3
	ds_store_b32 v0, v111
	s_trap 2
.LBB8_349:                              ;   in Loop: Header=BB8_307 Depth=3
	s_or_b32 exec_lo, exec_lo, s40
	;;#ASMSTART
	s_wakeup
	;;#ASMEND
.LBB8_350:                              ;   in Loop: Header=BB8_307 Depth=3
	s_or_b32 exec_lo, exec_lo, s15
.LBB8_351:                              ;   in Loop: Header=BB8_307 Depth=3
	s_and_not1_saveexec_b32 s14, s14
	s_cbranch_execz .LBB8_353
; %bb.352:                              ;   in Loop: Header=BB8_307 Depth=3
	global_wb scope:SCOPE_DEV
	s_wait_storecnt 0x0
	s_wait_loadcnt_dscnt 0x0
	global_inv scope:SCOPE_DEV
	s_barrier_signal -1
	s_barrier_wait -1
.LBB8_353:                              ;   in Loop: Header=BB8_307 Depth=3
	s_or_b32 exec_lo, exec_lo, s14
.LBB8_354:                              ;   in Loop: Header=BB8_307 Depth=3
	s_delay_alu instid0(SALU_CYCLE_1) | instskip(SKIP_4) | instid1(VALU_DEP_1)
	s_or_b32 exec_lo, exec_lo, s13
	s_trap 2
	ds_load_b32 v8, v0
	v_and_b32_e32 v2, 0x4000, v30
	s_xor_b32 s13, s1, -1
	v_cmp_ne_u32_e32 vcc_lo, 0, v2
	s_and_b32 s14, s13, vcc_lo
	s_delay_alu instid0(SALU_CYCLE_1)
	s_and_saveexec_b32 s13, s14
	s_cbranch_execz .LBB8_373
; %bb.355:                              ;   in Loop: Header=BB8_307 Depth=3
	s_and_saveexec_b32 s14, s3
	s_delay_alu instid0(SALU_CYCLE_1)
	s_xor_b32 s14, exec_lo, s14
	s_cbranch_execz .LBB8_370
; %bb.356:                              ;   in Loop: Header=BB8_307 Depth=3
	s_and_saveexec_b32 s15, s6
	s_cbranch_execz .LBB8_369
; %bb.357:                              ;   in Loop: Header=BB8_307 Depth=3
	s_mov_b32 s41, exec_lo
	s_mov_b32 s40, exec_lo
	v_mbcnt_lo_u32_b32 v2, s41, 0
	global_wb scope:SCOPE_DEV
	s_wait_storecnt 0x0
	s_wait_loadcnt_dscnt 0x0
	global_inv scope:SCOPE_DEV
	v_cmpx_eq_u32_e32 0, v2
	s_cbranch_execz .LBB8_359
; %bb.358:                              ;   in Loop: Header=BB8_307 Depth=3
	s_bcnt1_i32_b32 s41, s41
	s_delay_alu instid0(SALU_CYCLE_1)
	v_mov_b32_e32 v2, s41
	s_wait_loadcnt 0x0
	ds_add_u64 v0, v[2:3]
	s_trap 2
.LBB8_359:                              ;   in Loop: Header=BB8_307 Depth=3
	s_or_b32 exec_lo, exec_lo, s40
	s_trap 2
	ds_load_b64 v[4:5], v0
	s_wait_dscnt 0x0
	v_add_nc_u64_e32 v[80:81], v[80:81], v[84:85]
	s_mov_b32 s40, exec_lo
	s_delay_alu instid0(VALU_DEP_1)
	v_cmpx_lt_u64_e64 v[4:5], v[80:81]
	s_cbranch_execz .LBB8_368
; %bb.360:                              ;   in Loop: Header=BB8_307 Depth=3
	s_mov_b32 s41, 0
	s_mov_b32 s79, 0
                                        ; implicit-def: $sgpr77
                                        ; implicit-def: $sgpr78
	s_branch .LBB8_362
.LBB8_361:                              ;   in Loop: Header=BB8_362 Depth=4
	s_or_b32 exec_lo, exec_lo, s89
	s_delay_alu instid0(SALU_CYCLE_1) | instskip(NEXT) | instid1(SALU_CYCLE_1)
	s_and_b32 s88, exec_lo, s90
	s_or_b32 s41, s88, s41
	s_and_not1_b32 s77, s77, exec_lo
	s_and_b32 s88, s78, exec_lo
	s_delay_alu instid0(SALU_CYCLE_1)
	s_or_b32 s77, s77, s88
	s_and_not1_b32 exec_lo, exec_lo, s41
	s_cbranch_execz .LBB8_366
.LBB8_362:                              ;   Parent Loop BB8_47 Depth=1
                                        ;     Parent Loop BB8_304 Depth=2
                                        ;       Parent Loop BB8_307 Depth=3
                                        ; =>      This Inner Loop Header: Depth=4
	s_add_co_i32 s79, s79, 1
	s_delay_alu instid0(SALU_CYCLE_1) | instskip(SKIP_1) | instid1(SALU_CYCLE_1)
	s_cmp_lg_u32 s79, 0x2710
	s_cselect_b32 s88, -1, 0
	s_and_b32 vcc_lo, exec_lo, s88
	s_cbranch_vccz .LBB8_364
; %bb.363:                              ;   in Loop: Header=BB8_362 Depth=4
	s_mov_b32 s90, -1
	s_or_b32 s78, s78, exec_lo
	s_and_saveexec_b32 s89, s88
	s_cbranch_execz .LBB8_361
	s_branch .LBB8_365
.LBB8_364:                              ;   in Loop: Header=BB8_362 Depth=4
	s_trap 2
	ds_load_b64 v[4:5], v0
	s_and_not1_b32 s88, s88, exec_lo
	s_mov_b32 s79, 0
	s_wait_loadcnt_dscnt 0x0
	flat_load_b32 v2, v[4:5] scope:SCOPE_SYS
	s_wait_loadcnt_dscnt 0x0
	global_inv scope:SCOPE_SYS
	v_cmp_eq_u32_e32 vcc_lo, 0, v2
	s_and_b32 s89, vcc_lo, exec_lo
	s_delay_alu instid0(SALU_CYCLE_1)
	s_or_b32 s88, s88, s89
	s_mov_b32 s90, -1
	s_or_b32 s78, s78, exec_lo
	s_wait_xcnt 0x0
	s_and_saveexec_b32 s89, s88
	s_cbranch_execz .LBB8_361
.LBB8_365:                              ;   in Loop: Header=BB8_362 Depth=4
	s_sleep 1
	s_trap 2
	ds_load_b64 v[4:5], v0
	s_wait_dscnt 0x0
	s_and_not1_b32 s78, s78, exec_lo
	v_cmp_ge_u64_e32 vcc_lo, v[4:5], v[80:81]
	s_or_not1_b32 s90, vcc_lo, exec_lo
	s_branch .LBB8_361
.LBB8_366:                              ;   in Loop: Header=BB8_307 Depth=3
	s_or_b32 exec_lo, exec_lo, s41
	s_and_saveexec_b32 s41, s77
	s_delay_alu instid0(SALU_CYCLE_1)
	s_xor_b32 s41, exec_lo, s41
	s_cbranch_execz .LBB8_368
; %bb.367:                              ;   in Loop: Header=BB8_307 Depth=3
	ds_store_b32 v0, v111
	s_trap 2
.LBB8_368:                              ;   in Loop: Header=BB8_307 Depth=3
	s_or_b32 exec_lo, exec_lo, s40
	;;#ASMSTART
	s_wakeup
	;;#ASMEND
.LBB8_369:                              ;   in Loop: Header=BB8_307 Depth=3
	s_or_b32 exec_lo, exec_lo, s15
.LBB8_370:                              ;   in Loop: Header=BB8_307 Depth=3
	s_and_not1_saveexec_b32 s14, s14
	s_cbranch_execz .LBB8_372
; %bb.371:                              ;   in Loop: Header=BB8_307 Depth=3
	global_wb scope:SCOPE_DEV
	s_wait_storecnt 0x0
	s_wait_loadcnt_dscnt 0x0
	global_inv scope:SCOPE_DEV
	s_barrier_signal -1
	s_barrier_wait -1
.LBB8_372:                              ;   in Loop: Header=BB8_307 Depth=3
	s_or_b32 exec_lo, exec_lo, s14
.LBB8_373:                              ;   in Loop: Header=BB8_307 Depth=3
	s_delay_alu instid0(SALU_CYCLE_1)
	s_or_b32 exec_lo, exec_lo, s13
	s_trap 2
	ds_load_b64 v[78:79], v0
	s_wait_dscnt 0x0
	v_cmp_eq_u64_e32 vcc_lo, 0, v[78:79]
	s_cbranch_vccnz .LBB8_381
; %bb.374:                              ;   in Loop: Header=BB8_307 Depth=3
	s_trap 2
	ds_load_b64 v[88:89], v0
	s_wait_dscnt 0x0
	v_cmp_eq_u64_e32 vcc_lo, 0, v[88:89]
	s_cbranch_vccnz .LBB8_381
; %bb.375:                              ;   in Loop: Header=BB8_307 Depth=3
	s_mov_b32 s13, -1
	s_and_saveexec_b32 s14, s12
	s_cbranch_execz .LBB8_377
; %bb.376:                              ;   in Loop: Header=BB8_307 Depth=3
	ds_load_b32 v2, v0 offset:720
	s_wait_dscnt 0x0
	v_and_b32_e32 v2, 15, v2
	s_delay_alu instid0(VALU_DEP_1)
	v_cmp_eq_u32_e32 vcc_lo, 0, v2
	s_or_not1_b32 s13, vcc_lo, exec_lo
.LBB8_377:                              ;   in Loop: Header=BB8_307 Depth=3
	s_or_b32 exec_lo, exec_lo, s14
	s_and_saveexec_b32 s14, s11
	s_cbranch_execz .LBB8_379
; %bb.378:                              ;   in Loop: Header=BB8_307 Depth=3
	ds_load_b32 v2, v0 offset:784
	s_wait_dscnt 0x0
	v_and_b32_e32 v2, 15, v2
	s_delay_alu instid0(VALU_DEP_1) | instskip(SKIP_3) | instid1(SALU_CYCLE_1)
	v_cmp_eq_u32_e32 vcc_lo, 0, v2
	s_and_b32 s15, s13, vcc_lo
	s_and_not1_b32 s13, s13, exec_lo
	s_and_b32 s15, s15, exec_lo
	s_or_b32 s13, s13, s15
.LBB8_379:                              ;   in Loop: Header=BB8_307 Depth=3
	s_or_b32 exec_lo, exec_lo, s14
	s_xor_b32 s13, s13, -1
	s_mov_b32 s14, -1
	v_cndmask_b32_e64 v2, 0, 1, s13
	v_cmp_eq_u32_e64 s13, 0, v8
	s_delay_alu instid0(VALU_DEP_2)
	v_cmp_ne_u32_e32 vcc_lo, 0, v2
	s_cbranch_vccz .LBB8_386
; %bb.380:                              ;   in Loop: Header=BB8_307 Depth=3
	s_mov_b32 s14, 0
	s_mov_b32 s77, -1
	s_branch .LBB8_387
.LBB8_381:                              ;   in Loop: Header=BB8_307 Depth=3
	s_mov_b32 s13, 0
	s_and_saveexec_b32 s14, s2
	s_cbranch_execnz .LBB8_839
.LBB8_382:                              ;   in Loop: Header=BB8_307 Depth=3
	s_or_b32 exec_lo, exec_lo, s14
                                        ; implicit-def: $vgpr2
	s_and_saveexec_b32 s14, s10
	s_delay_alu instid0(SALU_CYCLE_1)
	s_xor_b32 s14, exec_lo, s14
	s_cbranch_execz .LBB8_857
.LBB8_383:                              ;   in Loop: Header=BB8_307 Depth=3
	v_and_b32_e32 v2, 16, v30
	s_delay_alu instid0(VALU_DEP_1) | instskip(SKIP_2) | instid1(SALU_CYCLE_1)
	v_cmp_ne_u32_e32 vcc_lo, 0, v2
	v_and_b32_e32 v2, 16, v30
	s_and_b32 s15, vcc_lo, s13
	s_and_saveexec_b32 s13, s15
	s_cbranch_execz .LBB8_385
; %bb.384:                              ;   in Loop: Header=BB8_307 Depth=3
	v_mov_b32_e32 v2, 1
	global_wb scope:SCOPE_SYS
	s_wait_storecnt 0x0
	s_wait_loadcnt_dscnt 0x0
	global_inv scope:SCOPE_SYS
.LBB8_385:                              ;   in Loop: Header=BB8_307 Depth=3
	s_or_b32 exec_lo, exec_lo, s13
	s_and_not1_saveexec_b32 s13, s14
	s_cbranch_execz .LBB8_876
	s_branch .LBB8_858
.LBB8_386:                              ;   in Loop: Header=BB8_307 Depth=3
	s_mov_b32 s77, 0
.LBB8_387:                              ;   in Loop: Header=BB8_307 Depth=3
	v_dual_cndmask_b32 v2, 0, v72, s13 :: v_dual_mov_b32 v14, 0
	s_and_not1_b32 vcc_lo, exec_lo, s14
	s_delay_alu instid0(VALU_DEP_1)
	v_lshlrev_b32_e32 v73, 1, v2
	s_cbranch_vccnz .LBB8_523
; %bb.388:                              ;   in Loop: Header=BB8_307 Depth=3
	s_delay_alu instid0(VALU_DEP_1) | instskip(SKIP_3) | instid1(VALU_DEP_2)
	v_ashrrev_i32_e32 v4, 31, v73
	v_add_nc_u64_e32 v[90:91], v[88:89], v[46:47]
	s_mov_b32 s14, 0
	s_mov_b32 s13, exec_lo
                                        ; implicit-def: $vgpr20_vgpr21
                                        ; implicit-def: $vgpr16_vgpr17
                                        ; implicit-def: $vgpr12_vgpr13
                                        ; implicit-def: $vgpr8_vgpr9
	v_lshrrev_b32_e32 v4, 22, v4
	s_delay_alu instid0(VALU_DEP_1) | instskip(NEXT) | instid1(VALU_DEP_1)
	v_add_nc_u32_e32 v4, v73, v4
	v_ashrrev_i32_e32 v75, 10, v4
	s_delay_alu instid0(VALU_DEP_1) | instskip(NEXT) | instid1(VALU_DEP_1)
	v_sub_nc_u32_e32 v107, v75, v124
	v_cmpx_lt_i32_e32 0, v107
	s_cbranch_execz .LBB8_525
; %bb.389:                              ;   in Loop: Header=BB8_307 Depth=3
	s_trap 2
	ds_load_b64 v[4:5], v0
	v_add_nc_u64_e32 v[92:93], v[78:79], v[46:47]
	s_mov_b32 s40, 0
                                        ; implicit-def: $sgpr15
                                        ; implicit-def: $vgpr10_vgpr11
                                        ; implicit-def: $vgpr14_vgpr15
                                        ; implicit-def: $vgpr18_vgpr19
                                        ; implicit-def: $vgpr22_vgpr23
	s_wait_dscnt 0x0
	v_add_nc_u64_e32 v[94:95], v[4:5], v[46:47]
	s_branch .LBB8_391
.LBB8_390:                              ;   in Loop: Header=BB8_391 Depth=4
	s_or_b32 exec_lo, exec_lo, s41
	v_dual_lshrrev_b32 v24, 16, v53 :: v_dual_lshrrev_b32 v25, 16, v52
	v_dual_lshrrev_b32 v27, 16, v104 :: v_dual_lshrrev_b32 v37, 16, v50
	v_lshrrev_b32_e32 v4, 16, v4
	s_delay_alu instid0(VALU_DEP_3) | instskip(SKIP_1) | instid1(VALU_DEP_4)
	v_and_or_b32 v35, 0xffff0000, v49, v24
	v_lshrrev_b32_e32 v24, 16, v29
	v_and_or_b32 v36, 0xffff0000, v38, v27
	v_dual_lshrrev_b32 v27, 16, v51 :: v_dual_lshrrev_b32 v29, 16, v33
	v_and_or_b32 v34, 0xffff0000, v48, v25
	s_delay_alu instid0(VALU_DEP_4) | instskip(SKIP_1) | instid1(VALU_DEP_4)
	v_and_or_b32 v25, 0xffff0000, v32, v24
	v_cndmask_b32_e64 v32, 0, v84, s40
	v_and_or_b32 v24, 0xffff0000, v28, v27
	v_and_or_b32 v27, 0xffff0000, v5, v4
	v_add_nc_u64_e32 v[4:5], v[92:93], v[102:103]
	v_and_or_b32 v26, 0xffff0000, v26, v29
	v_dual_cndmask_b32 v29, 0, v119, s40 :: v_dual_sub_nc_u32 v107, v107, v32
	v_and_or_b32 v37, 0xffff0000, v39, v37
	v_cndmask_b32_e64 v28, 0x400, v118, s40
	v_add_nc_u64_e32 v[32:33], v[94:95], v[102:103]
	v_cndmask_b32_e64 v93, v93, v5, s40
	v_cmp_gt_i32_e32 vcc_lo, 1, v107
	s_clause 0x1
	global_store_b128 v[90:91], v[34:37], off th:TH_STORE_NT
	global_store_b128 v[90:91], v[24:27], off offset:512 th:TH_STORE_NT
	s_wait_xcnt 0x0
	v_add_nc_u64_e32 v[90:91], v[90:91], v[28:29]
	v_dual_cndmask_b32 v92, v92, v4, s40 :: v_dual_cndmask_b32 v95, v95, v33, s40
	v_cndmask_b32_e64 v94, v94, v32, s40
	s_or_b32 s14, vcc_lo, s14
	s_and_not1_b32 s15, s15, exec_lo
	s_and_b32 s41, s40, exec_lo
	s_delay_alu instid0(SALU_CYCLE_1)
	s_or_b32 s15, s15, s41
	s_and_not1_b32 exec_lo, exec_lo, s14
	s_cbranch_execz .LBB8_524
.LBB8_391:                              ;   Parent Loop BB8_47 Depth=1
                                        ;     Parent Loop BB8_304 Depth=2
                                        ;       Parent Loop BB8_307 Depth=3
                                        ; =>      This Inner Loop Header: Depth=4
	s_clause 0x1
	global_load_b128 v[36:39], v[92:93], off th:TH_LOAD_NT
	global_load_b128 v[24:27], v[92:93], off offset:512 th:TH_LOAD_NT
	s_clause 0x1
	global_load_b128 v[48:51], v[94:95], off th:TH_LOAD_NT
	global_load_b128 v[32:35], v[94:95], off offset:512 th:TH_LOAD_NT
	s_wait_xcnt 0x0
	s_and_saveexec_b32 s41, s40
	s_cbranch_execz .LBB8_457
; %bb.392:                              ;   in Loop: Header=BB8_391 Depth=4
	v_lshlrev_b32_e32 v4, 16, v20
	v_lshlrev_b32_e32 v5, 16, v16
	s_mov_b32 s40, exec_lo
                                        ; implicit-def: $vgpr52
	s_delay_alu instid0(VALU_DEP_1) | instskip(NEXT) | instid1(VALU_DEP_1)
	v_mul_f32_e32 v4, v4, v5
	v_and_b32_e32 v5, 0x7f800000, v4
	s_delay_alu instid0(VALU_DEP_1)
	v_cmpx_ne_u32_e32 0x7f800000, v5
	s_xor_b32 s40, exec_lo, s40
; %bb.393:                              ;   in Loop: Header=BB8_391 Depth=4
	v_bfe_u32 v5, v4, 16, 1
	s_delay_alu instid0(VALU_DEP_1)
	v_add3_u32 v52, v4, v5, 0x7fff
                                        ; implicit-def: $vgpr4
; %bb.394:                              ;   in Loop: Header=BB8_391 Depth=4
	s_and_not1_saveexec_b32 s40, s40
; %bb.395:                              ;   in Loop: Header=BB8_391 Depth=4
	v_and_b32_e32 v5, 0xffff, v4
	v_or_b32_e32 v28, 0x10000, v4
	s_delay_alu instid0(VALU_DEP_2) | instskip(NEXT) | instid1(VALU_DEP_2)
	v_cmp_eq_u32_e32 vcc_lo, 0, v5
	v_cndmask_b32_e32 v52, v28, v4, vcc_lo
; %bb.396:                              ;   in Loop: Header=BB8_391 Depth=4
	s_or_b32 exec_lo, exec_lo, s40
	v_and_b32_e32 v5, 0xffff0000, v20
	v_and_b32_e32 v4, 0xffff0000, v16
	s_mov_b32 s40, exec_lo
                                        ; implicit-def: $vgpr53
	s_delay_alu instid0(VALU_DEP_2) | instskip(NEXT) | instid1(VALU_DEP_1)
	v_mov_b32_e32 v20, v5
	v_pk_mul_f32 v[104:105], v[20:21], v[4:5]
	s_delay_alu instid0(VALU_DEP_1) | instskip(NEXT) | instid1(VALU_DEP_1)
	v_and_b32_e32 v4, 0x7f800000, v104
	v_cmpx_ne_u32_e32 0x7f800000, v4
	s_xor_b32 s40, exec_lo, s40
; %bb.397:                              ;   in Loop: Header=BB8_391 Depth=4
	v_bfe_u32 v4, v104, 16, 1
	s_delay_alu instid0(VALU_DEP_1)
	v_add3_u32 v53, v104, v4, 0x7fff
                                        ; implicit-def: $vgpr104_vgpr105
; %bb.398:                              ;   in Loop: Header=BB8_391 Depth=4
	s_and_not1_saveexec_b32 s40, s40
; %bb.399:                              ;   in Loop: Header=BB8_391 Depth=4
	v_and_b32_e32 v4, 0xffff, v104
	v_or_b32_e32 v5, 0x10000, v104
	s_delay_alu instid0(VALU_DEP_2) | instskip(NEXT) | instid1(VALU_DEP_2)
	v_cmp_eq_u32_e32 vcc_lo, 0, v4
	v_cndmask_b32_e32 v53, v5, v104, vcc_lo
; %bb.400:                              ;   in Loop: Header=BB8_391 Depth=4
	s_or_b32 exec_lo, exec_lo, s40
	v_lshlrev_b32_e32 v4, 16, v17
	v_lshlrev_b32_e32 v5, 16, v21
	s_mov_b32 s40, exec_lo
                                        ; implicit-def: $vgpr104
	s_delay_alu instid0(VALU_DEP_1) | instskip(NEXT) | instid1(VALU_DEP_1)
	v_mul_f32_e32 v4, v5, v4
	v_and_b32_e32 v5, 0x7f800000, v4
	s_delay_alu instid0(VALU_DEP_1)
	v_cmpx_ne_u32_e32 0x7f800000, v5
	s_xor_b32 s40, exec_lo, s40
; %bb.401:                              ;   in Loop: Header=BB8_391 Depth=4
	v_bfe_u32 v5, v4, 16, 1
	s_delay_alu instid0(VALU_DEP_1)
	v_add3_u32 v104, v4, v5, 0x7fff
                                        ; implicit-def: $vgpr4
; %bb.402:                              ;   in Loop: Header=BB8_391 Depth=4
	s_and_not1_saveexec_b32 s40, s40
; %bb.403:                              ;   in Loop: Header=BB8_391 Depth=4
	v_and_b32_e32 v5, 0xffff, v4
	v_or_b32_e32 v20, 0x10000, v4
	s_delay_alu instid0(VALU_DEP_2) | instskip(NEXT) | instid1(VALU_DEP_2)
	v_cmp_eq_u32_e32 vcc_lo, 0, v5
	v_cndmask_b32_e32 v104, v20, v4, vcc_lo
; %bb.404:                              ;   in Loop: Header=BB8_391 Depth=4
	s_or_b32 exec_lo, exec_lo, s40
	v_and_b32_e32 v5, 0xffff0000, v21
	v_and_b32_e32 v4, 0xffff0000, v17
	s_mov_b32 s40, exec_lo
                                        ; implicit-def: $vgpr105
	s_delay_alu instid0(VALU_DEP_2) | instskip(NEXT) | instid1(VALU_DEP_1)
	v_mov_b32_e32 v20, v5
	v_pk_mul_f32 v[20:21], v[20:21], v[4:5]
	s_delay_alu instid0(VALU_DEP_1) | instskip(NEXT) | instid1(VALU_DEP_1)
	v_and_b32_e32 v4, 0x7f800000, v20
	v_cmpx_ne_u32_e32 0x7f800000, v4
	s_xor_b32 s40, exec_lo, s40
; %bb.405:                              ;   in Loop: Header=BB8_391 Depth=4
	v_bfe_u32 v4, v20, 16, 1
	s_delay_alu instid0(VALU_DEP_1)
	v_add3_u32 v105, v20, v4, 0x7fff
                                        ; implicit-def: $vgpr20_vgpr21
; %bb.406:                              ;   in Loop: Header=BB8_391 Depth=4
	s_and_not1_saveexec_b32 s40, s40
; %bb.407:                              ;   in Loop: Header=BB8_391 Depth=4
	v_and_b32_e32 v4, 0xffff, v20
	v_or_b32_e32 v5, 0x10000, v20
	s_delay_alu instid0(VALU_DEP_2) | instskip(NEXT) | instid1(VALU_DEP_2)
	v_cmp_eq_u32_e32 vcc_lo, 0, v4
	v_cndmask_b32_e32 v105, v5, v20, vcc_lo
; %bb.408:                              ;   in Loop: Header=BB8_391 Depth=4
	s_or_b32 exec_lo, exec_lo, s40
	v_lshlrev_b32_e32 v4, 16, v22
	v_lshlrev_b32_e32 v5, 16, v18
	s_mov_b32 s40, exec_lo
                                        ; implicit-def: $vgpr108
	s_delay_alu instid0(VALU_DEP_1) | instskip(NEXT) | instid1(VALU_DEP_1)
	v_mul_f32_e32 v4, v4, v5
	v_and_b32_e32 v5, 0x7f800000, v4
	s_delay_alu instid0(VALU_DEP_1)
	v_cmpx_ne_u32_e32 0x7f800000, v5
	s_xor_b32 s40, exec_lo, s40
; %bb.409:                              ;   in Loop: Header=BB8_391 Depth=4
	v_bfe_u32 v5, v4, 16, 1
	s_delay_alu instid0(VALU_DEP_1)
	v_add3_u32 v108, v4, v5, 0x7fff
                                        ; implicit-def: $vgpr4
; %bb.410:                              ;   in Loop: Header=BB8_391 Depth=4
	s_and_not1_saveexec_b32 s40, s40
; %bb.411:                              ;   in Loop: Header=BB8_391 Depth=4
	v_and_b32_e32 v5, 0xffff, v4
	v_or_b32_e32 v20, 0x10000, v4
	s_delay_alu instid0(VALU_DEP_2) | instskip(NEXT) | instid1(VALU_DEP_2)
	v_cmp_eq_u32_e32 vcc_lo, 0, v5
	v_cndmask_b32_e32 v108, v20, v4, vcc_lo
; %bb.412:                              ;   in Loop: Header=BB8_391 Depth=4
	s_or_b32 exec_lo, exec_lo, s40
	v_and_b32_e32 v5, 0xffff0000, v22
	v_and_b32_e32 v4, 0xffff0000, v18
	s_mov_b32 s40, exec_lo
                                        ; implicit-def: $vgpr22
	s_delay_alu instid0(VALU_DEP_2) | instskip(NEXT) | instid1(VALU_DEP_1)
	v_mov_b32_e32 v20, v5
	v_pk_mul_f32 v[20:21], v[20:21], v[4:5]
	s_delay_alu instid0(VALU_DEP_1) | instskip(NEXT) | instid1(VALU_DEP_1)
	v_and_b32_e32 v4, 0x7f800000, v20
	v_cmpx_ne_u32_e32 0x7f800000, v4
	s_xor_b32 s40, exec_lo, s40
; %bb.413:                              ;   in Loop: Header=BB8_391 Depth=4
	v_bfe_u32 v4, v20, 16, 1
	s_delay_alu instid0(VALU_DEP_1)
	v_add3_u32 v22, v20, v4, 0x7fff
                                        ; implicit-def: $vgpr20_vgpr21
; %bb.414:                              ;   in Loop: Header=BB8_391 Depth=4
	s_and_not1_saveexec_b32 s40, s40
; %bb.415:                              ;   in Loop: Header=BB8_391 Depth=4
	v_and_b32_e32 v4, 0xffff, v20
	v_or_b32_e32 v5, 0x10000, v20
	s_delay_alu instid0(VALU_DEP_2) | instskip(NEXT) | instid1(VALU_DEP_2)
	v_cmp_eq_u32_e32 vcc_lo, 0, v4
	v_cndmask_b32_e32 v22, v5, v20, vcc_lo
; %bb.416:                              ;   in Loop: Header=BB8_391 Depth=4
	s_or_b32 exec_lo, exec_lo, s40
	v_lshlrev_b32_e32 v4, 16, v19
	v_lshlrev_b32_e32 v5, 16, v23
	s_mov_b32 s40, exec_lo
                                        ; implicit-def: $vgpr54
	s_delay_alu instid0(VALU_DEP_1) | instskip(NEXT) | instid1(VALU_DEP_1)
	v_mul_f32_e32 v4, v5, v4
	v_and_b32_e32 v5, 0x7f800000, v4
	s_delay_alu instid0(VALU_DEP_1)
	v_cmpx_ne_u32_e32 0x7f800000, v5
	s_xor_b32 s40, exec_lo, s40
; %bb.417:                              ;   in Loop: Header=BB8_391 Depth=4
	v_bfe_u32 v5, v4, 16, 1
	s_delay_alu instid0(VALU_DEP_1)
	v_add3_u32 v54, v4, v5, 0x7fff
                                        ; implicit-def: $vgpr4
; %bb.418:                              ;   in Loop: Header=BB8_391 Depth=4
	s_and_not1_saveexec_b32 s40, s40
; %bb.419:                              ;   in Loop: Header=BB8_391 Depth=4
	v_and_b32_e32 v5, 0xffff, v4
	v_or_b32_e32 v20, 0x10000, v4
	s_delay_alu instid0(VALU_DEP_2) | instskip(NEXT) | instid1(VALU_DEP_2)
	v_cmp_eq_u32_e32 vcc_lo, 0, v5
	v_cndmask_b32_e32 v54, v20, v4, vcc_lo
; %bb.420:                              ;   in Loop: Header=BB8_391 Depth=4
	s_or_b32 exec_lo, exec_lo, s40
	v_and_b32_e32 v5, 0xffff0000, v23
	v_and_b32_e32 v4, 0xffff0000, v19
	s_mov_b32 s40, exec_lo
                                        ; implicit-def: $vgpr23
	s_delay_alu instid0(VALU_DEP_2) | instskip(NEXT) | instid1(VALU_DEP_1)
	v_mov_b32_e32 v20, v5
	v_pk_mul_f32 v[20:21], v[20:21], v[4:5]
	s_delay_alu instid0(VALU_DEP_1) | instskip(NEXT) | instid1(VALU_DEP_1)
	v_and_b32_e32 v4, 0x7f800000, v20
	v_cmpx_ne_u32_e32 0x7f800000, v4
	s_xor_b32 s40, exec_lo, s40
; %bb.421:                              ;   in Loop: Header=BB8_391 Depth=4
	v_bfe_u32 v4, v20, 16, 1
	s_delay_alu instid0(VALU_DEP_1)
	v_add3_u32 v23, v20, v4, 0x7fff
                                        ; implicit-def: $vgpr20_vgpr21
; %bb.422:                              ;   in Loop: Header=BB8_391 Depth=4
	s_and_not1_saveexec_b32 s40, s40
; %bb.423:                              ;   in Loop: Header=BB8_391 Depth=4
	v_and_b32_e32 v4, 0xffff, v20
	v_or_b32_e32 v5, 0x10000, v20
	s_delay_alu instid0(VALU_DEP_2) | instskip(NEXT) | instid1(VALU_DEP_2)
	v_cmp_eq_u32_e32 vcc_lo, 0, v4
	v_cndmask_b32_e32 v23, v5, v20, vcc_lo
; %bb.424:                              ;   in Loop: Header=BB8_391 Depth=4
	s_or_b32 exec_lo, exec_lo, s40
	v_lshlrev_b32_e32 v4, 16, v12
	v_lshlrev_b32_e32 v5, 16, v8
	s_mov_b32 s40, exec_lo
                                        ; implicit-def: $vgpr55
	s_delay_alu instid0(VALU_DEP_1) | instskip(NEXT) | instid1(VALU_DEP_1)
	v_mul_f32_e32 v4, v4, v5
	v_and_b32_e32 v5, 0x7f800000, v4
	s_delay_alu instid0(VALU_DEP_1)
	v_cmpx_ne_u32_e32 0x7f800000, v5
	s_xor_b32 s40, exec_lo, s40
; %bb.425:                              ;   in Loop: Header=BB8_391 Depth=4
	v_bfe_u32 v5, v4, 16, 1
	s_delay_alu instid0(VALU_DEP_1)
	v_add3_u32 v55, v4, v5, 0x7fff
                                        ; implicit-def: $vgpr4
; %bb.426:                              ;   in Loop: Header=BB8_391 Depth=4
	s_and_not1_saveexec_b32 s40, s40
; %bb.427:                              ;   in Loop: Header=BB8_391 Depth=4
	v_and_b32_e32 v5, 0xffff, v4
	v_or_b32_e32 v20, 0x10000, v4
	s_delay_alu instid0(VALU_DEP_2) | instskip(NEXT) | instid1(VALU_DEP_2)
	v_cmp_eq_u32_e32 vcc_lo, 0, v5
	v_cndmask_b32_e32 v55, v20, v4, vcc_lo
; %bb.428:                              ;   in Loop: Header=BB8_391 Depth=4
	s_or_b32 exec_lo, exec_lo, s40
	v_and_b32_e32 v5, 0xffff0000, v12
	v_and_b32_e32 v4, 0xffff0000, v8
	s_mov_b32 s40, exec_lo
                                        ; implicit-def: $vgpr28
	s_delay_alu instid0(VALU_DEP_2) | instskip(NEXT) | instid1(VALU_DEP_1)
	v_mov_b32_e32 v12, v5
	v_pk_mul_f32 v[20:21], v[12:13], v[4:5]
	s_delay_alu instid0(VALU_DEP_1) | instskip(NEXT) | instid1(VALU_DEP_1)
	v_and_b32_e32 v4, 0x7f800000, v20
	v_cmpx_ne_u32_e32 0x7f800000, v4
	s_xor_b32 s40, exec_lo, s40
; %bb.429:                              ;   in Loop: Header=BB8_391 Depth=4
	v_bfe_u32 v4, v20, 16, 1
	s_delay_alu instid0(VALU_DEP_1)
	v_add3_u32 v28, v20, v4, 0x7fff
                                        ; implicit-def: $vgpr20_vgpr21
; %bb.430:                              ;   in Loop: Header=BB8_391 Depth=4
	s_and_not1_saveexec_b32 s40, s40
; %bb.431:                              ;   in Loop: Header=BB8_391 Depth=4
	v_and_b32_e32 v4, 0xffff, v20
	v_or_b32_e32 v5, 0x10000, v20
	s_delay_alu instid0(VALU_DEP_2) | instskip(NEXT) | instid1(VALU_DEP_2)
	v_cmp_eq_u32_e32 vcc_lo, 0, v4
	v_cndmask_b32_e32 v28, v5, v20, vcc_lo
; %bb.432:                              ;   in Loop: Header=BB8_391 Depth=4
	s_or_b32 exec_lo, exec_lo, s40
	v_lshlrev_b32_e32 v4, 16, v9
	v_lshlrev_b32_e32 v5, 16, v13
	s_mov_b32 s40, exec_lo
                                        ; implicit-def: $vgpr29
	s_delay_alu instid0(VALU_DEP_1) | instskip(NEXT) | instid1(VALU_DEP_1)
	v_mul_f32_e32 v4, v5, v4
	v_and_b32_e32 v5, 0x7f800000, v4
	s_delay_alu instid0(VALU_DEP_1)
	v_cmpx_ne_u32_e32 0x7f800000, v5
	s_xor_b32 s40, exec_lo, s40
; %bb.433:                              ;   in Loop: Header=BB8_391 Depth=4
	v_bfe_u32 v5, v4, 16, 1
	s_delay_alu instid0(VALU_DEP_1)
	v_add3_u32 v29, v4, v5, 0x7fff
                                        ; implicit-def: $vgpr4
; %bb.434:                              ;   in Loop: Header=BB8_391 Depth=4
	s_and_not1_saveexec_b32 s40, s40
; %bb.435:                              ;   in Loop: Header=BB8_391 Depth=4
	v_and_b32_e32 v5, 0xffff, v4
	v_or_b32_e32 v12, 0x10000, v4
	s_delay_alu instid0(VALU_DEP_2) | instskip(NEXT) | instid1(VALU_DEP_2)
	v_cmp_eq_u32_e32 vcc_lo, 0, v5
	v_cndmask_b32_e32 v29, v12, v4, vcc_lo
; %bb.436:                              ;   in Loop: Header=BB8_391 Depth=4
	s_or_b32 exec_lo, exec_lo, s40
	v_and_b32_e32 v5, 0xffff0000, v13
	v_and_b32_e32 v4, 0xffff0000, v9
	s_mov_b32 s40, exec_lo
                                        ; implicit-def: $vgpr98
	s_delay_alu instid0(VALU_DEP_2) | instskip(NEXT) | instid1(VALU_DEP_1)
	v_mov_b32_e32 v12, v5
	v_pk_mul_f32 v[12:13], v[12:13], v[4:5]
	s_delay_alu instid0(VALU_DEP_1) | instskip(NEXT) | instid1(VALU_DEP_1)
	v_and_b32_e32 v4, 0x7f800000, v12
	v_cmpx_ne_u32_e32 0x7f800000, v4
	s_xor_b32 s40, exec_lo, s40
; %bb.437:                              ;   in Loop: Header=BB8_391 Depth=4
	v_bfe_u32 v4, v12, 16, 1
	s_delay_alu instid0(VALU_DEP_1)
	v_add3_u32 v98, v12, v4, 0x7fff
                                        ; implicit-def: $vgpr12_vgpr13
; %bb.438:                              ;   in Loop: Header=BB8_391 Depth=4
	s_and_not1_saveexec_b32 s40, s40
; %bb.439:                              ;   in Loop: Header=BB8_391 Depth=4
	v_and_b32_e32 v4, 0xffff, v12
	v_or_b32_e32 v5, 0x10000, v12
	s_delay_alu instid0(VALU_DEP_2) | instskip(NEXT) | instid1(VALU_DEP_2)
	v_cmp_eq_u32_e32 vcc_lo, 0, v4
	v_cndmask_b32_e32 v98, v5, v12, vcc_lo
; %bb.440:                              ;   in Loop: Header=BB8_391 Depth=4
	s_or_b32 exec_lo, exec_lo, s40
	v_lshlrev_b32_e32 v4, 16, v14
	v_lshlrev_b32_e32 v5, 16, v10
	s_mov_b32 s40, exec_lo
                                        ; implicit-def: $vgpr99
	s_delay_alu instid0(VALU_DEP_1) | instskip(NEXT) | instid1(VALU_DEP_1)
	v_mul_f32_e32 v4, v4, v5
	v_and_b32_e32 v5, 0x7f800000, v4
	s_delay_alu instid0(VALU_DEP_1)
	v_cmpx_ne_u32_e32 0x7f800000, v5
	s_xor_b32 s40, exec_lo, s40
; %bb.441:                              ;   in Loop: Header=BB8_391 Depth=4
	v_bfe_u32 v5, v4, 16, 1
	s_delay_alu instid0(VALU_DEP_1)
	v_add3_u32 v99, v4, v5, 0x7fff
                                        ; implicit-def: $vgpr4
; %bb.442:                              ;   in Loop: Header=BB8_391 Depth=4
	s_and_not1_saveexec_b32 s40, s40
; %bb.443:                              ;   in Loop: Header=BB8_391 Depth=4
	v_and_b32_e32 v5, 0xffff, v4
	v_or_b32_e32 v12, 0x10000, v4
	s_delay_alu instid0(VALU_DEP_2) | instskip(NEXT) | instid1(VALU_DEP_2)
	v_cmp_eq_u32_e32 vcc_lo, 0, v5
	v_cndmask_b32_e32 v99, v12, v4, vcc_lo
; %bb.444:                              ;   in Loop: Header=BB8_391 Depth=4
	s_or_b32 exec_lo, exec_lo, s40
	v_and_b32_e32 v5, 0xffff0000, v14
	v_and_b32_e32 v4, 0xffff0000, v10
	s_mov_b32 s40, exec_lo
                                        ; implicit-def: $vgpr14
	s_delay_alu instid0(VALU_DEP_2) | instskip(NEXT) | instid1(VALU_DEP_1)
	v_mov_b32_e32 v12, v5
	v_pk_mul_f32 v[12:13], v[12:13], v[4:5]
	s_delay_alu instid0(VALU_DEP_1) | instskip(NEXT) | instid1(VALU_DEP_1)
	v_and_b32_e32 v4, 0x7f800000, v12
	v_cmpx_ne_u32_e32 0x7f800000, v4
	s_xor_b32 s40, exec_lo, s40
; %bb.445:                              ;   in Loop: Header=BB8_391 Depth=4
	v_bfe_u32 v4, v12, 16, 1
	s_delay_alu instid0(VALU_DEP_1)
	v_add3_u32 v14, v12, v4, 0x7fff
                                        ; implicit-def: $vgpr12_vgpr13
; %bb.446:                              ;   in Loop: Header=BB8_391 Depth=4
	s_and_not1_saveexec_b32 s40, s40
; %bb.447:                              ;   in Loop: Header=BB8_391 Depth=4
	v_and_b32_e32 v4, 0xffff, v12
	v_or_b32_e32 v5, 0x10000, v12
	s_delay_alu instid0(VALU_DEP_2) | instskip(NEXT) | instid1(VALU_DEP_2)
	v_cmp_eq_u32_e32 vcc_lo, 0, v4
	v_cndmask_b32_e32 v14, v5, v12, vcc_lo
; %bb.448:                              ;   in Loop: Header=BB8_391 Depth=4
	s_or_b32 exec_lo, exec_lo, s40
	v_lshlrev_b32_e32 v4, 16, v11
	v_lshlrev_b32_e32 v5, 16, v15
	s_delay_alu instid0(VALU_DEP_1) | instskip(NEXT) | instid1(VALU_DEP_1)
	v_mul_f32_e32 v5, v5, v4
	v_and_b32_e32 v4, 0x7f800000, v5
	s_delay_alu instid0(VALU_DEP_1) | instskip(SKIP_1) | instid1(SALU_CYCLE_1)
	v_cmp_ne_u32_e32 vcc_lo, 0x7f800000, v4
                                        ; implicit-def: $vgpr4
	s_and_saveexec_b32 s40, vcc_lo
	s_xor_b32 s40, exec_lo, s40
; %bb.449:                              ;   in Loop: Header=BB8_391 Depth=4
	v_bfe_u32 v4, v5, 16, 1
	s_delay_alu instid0(VALU_DEP_1)
	v_add3_u32 v4, v5, v4, 0x7fff
                                        ; implicit-def: $vgpr5
; %bb.450:                              ;   in Loop: Header=BB8_391 Depth=4
	s_and_not1_saveexec_b32 s40, s40
; %bb.451:                              ;   in Loop: Header=BB8_391 Depth=4
	v_and_b32_e32 v4, 0xffff, v5
	v_or_b32_e32 v12, 0x10000, v5
	s_delay_alu instid0(VALU_DEP_2) | instskip(NEXT) | instid1(VALU_DEP_2)
	v_cmp_eq_u32_e32 vcc_lo, 0, v4
	v_cndmask_b32_e32 v4, v12, v5, vcc_lo
; %bb.452:                              ;   in Loop: Header=BB8_391 Depth=4
	s_or_b32 exec_lo, exec_lo, s40
	v_and_b32_e32 v13, 0xffff0000, v15
	v_and_b32_e32 v12, 0xffff0000, v11
	s_delay_alu instid0(VALU_DEP_2) | instskip(NEXT) | instid1(VALU_DEP_1)
	v_mov_b32_e32 v20, v13
	v_pk_mul_f32 v[12:13], v[20:21], v[12:13]
	s_delay_alu instid0(VALU_DEP_1) | instskip(NEXT) | instid1(VALU_DEP_1)
	v_and_b32_e32 v5, 0x7f800000, v12
	v_cmp_ne_u32_e32 vcc_lo, 0x7f800000, v5
                                        ; implicit-def: $vgpr5
	s_and_saveexec_b32 s40, vcc_lo
	s_delay_alu instid0(SALU_CYCLE_1)
	s_xor_b32 s40, exec_lo, s40
; %bb.453:                              ;   in Loop: Header=BB8_391 Depth=4
	v_bfe_u32 v5, v12, 16, 1
	s_delay_alu instid0(VALU_DEP_1)
	v_add3_u32 v5, v12, v5, 0x7fff
                                        ; implicit-def: $vgpr12_vgpr13
; %bb.454:                              ;   in Loop: Header=BB8_391 Depth=4
	s_and_not1_saveexec_b32 s40, s40
; %bb.455:                              ;   in Loop: Header=BB8_391 Depth=4
	v_and_b32_e32 v5, 0xffff, v12
	v_or_b32_e32 v13, 0x10000, v12
	s_delay_alu instid0(VALU_DEP_2) | instskip(NEXT) | instid1(VALU_DEP_2)
	v_cmp_eq_u32_e32 vcc_lo, 0, v5
	v_cndmask_b32_e32 v5, v13, v12, vcc_lo
; %bb.456:                              ;   in Loop: Header=BB8_391 Depth=4
	s_or_b32 exec_lo, exec_lo, s40
	v_lshrrev_b32_e32 v12, 16, v104
	v_lshrrev_b32_e32 v13, 16, v52
	;; [unrolled: 1-line block ×4, first 2 shown]
	s_delay_alu instid0(VALU_DEP_3)
	v_and_or_b32 v20, 0xffff0000, v53, v13
	v_lshrrev_b32_e32 v13, 16, v29
	v_and_or_b32 v21, 0xffff0000, v105, v12
	v_dual_lshrrev_b32 v12, 16, v54 :: v_dual_lshrrev_b32 v29, 16, v99
	v_and_or_b32 v22, 0xffff0000, v22, v15
	v_lshrrev_b32_e32 v15, 16, v55
	v_and_or_b32 v13, 0xffff0000, v98, v13
	s_delay_alu instid0(VALU_DEP_4) | instskip(SKIP_1) | instid1(VALU_DEP_4)
	v_and_or_b32 v23, 0xffff0000, v23, v12
	v_and_or_b32 v14, 0xffff0000, v14, v29
	;; [unrolled: 1-line block ×4, first 2 shown]
	s_clause 0x1
	global_store_b128 v[90:91], v[20:23], off th:TH_STORE_NT
	global_store_b128 v[90:91], v[12:15], off offset:512 th:TH_STORE_NT
	s_wait_xcnt 0x0
	v_add_nc_u64_e32 v[90:91], v[90:91], v[118:119]
.LBB8_457:                              ;   in Loop: Header=BB8_391 Depth=4
	s_or_b32 exec_lo, exec_lo, s41
	v_sub_nc_u32_e32 v107, v107, v84
	v_add_nc_u64_e32 v[92:93], v[92:93], v[118:119]
	v_add_nc_u64_e32 v[94:95], v[94:95], v[118:119]
	s_delay_alu instid0(VALU_DEP_3)
	v_cmp_lt_i32_e64 s40, 0, v107
	s_and_saveexec_b32 s41, s40
	s_cbranch_execz .LBB8_459
; %bb.458:                              ;   in Loop: Header=BB8_391 Depth=4
	s_clause 0x1
	global_load_b128 v[20:23], v[92:93], off th:TH_LOAD_NT
	global_load_b128 v[12:15], v[92:93], off offset:512 th:TH_LOAD_NT
	s_clause 0x1
	global_load_b128 v[16:19], v[94:95], off th:TH_LOAD_NT
	global_load_b128 v[8:11], v[94:95], off offset:512 th:TH_LOAD_NT
	s_wait_xcnt 0x2
	v_add_nc_u64_e32 v[92:93], 0x400, v[92:93]
	s_wait_xcnt 0x0
	v_add_nc_u64_e32 v[94:95], 0x400, v[94:95]
.LBB8_459:                              ;   in Loop: Header=BB8_391 Depth=4
	s_or_b32 exec_lo, exec_lo, s41
	s_wait_loadcnt 0x3
	v_lshlrev_b32_e32 v4, 16, v36
	s_wait_loadcnt 0x1
	v_lshlrev_b32_e32 v5, 16, v48
	s_mov_b32 s41, exec_lo
                                        ; implicit-def: $vgpr52
	s_delay_alu instid0(VALU_DEP_1) | instskip(NEXT) | instid1(VALU_DEP_1)
	v_mul_f32_e32 v4, v5, v4
	v_and_b32_e32 v5, 0x7f800000, v4
	s_delay_alu instid0(VALU_DEP_1)
	v_cmpx_ne_u32_e32 0x7f800000, v5
	s_xor_b32 s41, exec_lo, s41
; %bb.460:                              ;   in Loop: Header=BB8_391 Depth=4
	v_bfe_u32 v5, v4, 16, 1
	s_delay_alu instid0(VALU_DEP_1)
	v_add3_u32 v52, v4, v5, 0x7fff
                                        ; implicit-def: $vgpr4
; %bb.461:                              ;   in Loop: Header=BB8_391 Depth=4
	s_and_not1_saveexec_b32 s41, s41
; %bb.462:                              ;   in Loop: Header=BB8_391 Depth=4
	v_and_b32_e32 v5, 0xffff, v4
	v_or_b32_e32 v28, 0x10000, v4
	s_delay_alu instid0(VALU_DEP_2) | instskip(NEXT) | instid1(VALU_DEP_2)
	v_cmp_eq_u32_e32 vcc_lo, 0, v5
	v_cndmask_b32_e32 v52, v28, v4, vcc_lo
; %bb.463:                              ;   in Loop: Header=BB8_391 Depth=4
	s_or_b32 exec_lo, exec_lo, s41
	v_and_b32_e32 v5, 0xffff0000, v48
	v_and_b32_e32 v4, 0xffff0000, v36
	s_mov_b32 s41, exec_lo
                                        ; implicit-def: $vgpr48
	s_delay_alu instid0(VALU_DEP_2) | instskip(NEXT) | instid1(VALU_DEP_1)
	v_mov_b32_e32 v28, v5
	v_pk_mul_f32 v[104:105], v[28:29], v[4:5]
	s_delay_alu instid0(VALU_DEP_1) | instskip(NEXT) | instid1(VALU_DEP_1)
	v_and_b32_e32 v4, 0x7f800000, v104
	v_cmpx_ne_u32_e32 0x7f800000, v4
	s_xor_b32 s41, exec_lo, s41
; %bb.464:                              ;   in Loop: Header=BB8_391 Depth=4
	v_bfe_u32 v4, v104, 16, 1
	s_delay_alu instid0(VALU_DEP_1)
	v_add3_u32 v48, v104, v4, 0x7fff
                                        ; implicit-def: $vgpr104_vgpr105
; %bb.465:                              ;   in Loop: Header=BB8_391 Depth=4
	s_and_not1_saveexec_b32 s41, s41
; %bb.466:                              ;   in Loop: Header=BB8_391 Depth=4
	v_and_b32_e32 v4, 0xffff, v104
	v_or_b32_e32 v5, 0x10000, v104
	s_delay_alu instid0(VALU_DEP_2) | instskip(NEXT) | instid1(VALU_DEP_2)
	v_cmp_eq_u32_e32 vcc_lo, 0, v4
	v_cndmask_b32_e32 v48, v5, v104, vcc_lo
; %bb.467:                              ;   in Loop: Header=BB8_391 Depth=4
	s_or_b32 exec_lo, exec_lo, s41
	v_lshlrev_b32_e32 v4, 16, v37
	v_lshlrev_b32_e32 v5, 16, v49
	s_mov_b32 s41, exec_lo
                                        ; implicit-def: $vgpr53
	s_delay_alu instid0(VALU_DEP_1) | instskip(NEXT) | instid1(VALU_DEP_1)
	v_mul_f32_e32 v4, v5, v4
	v_and_b32_e32 v5, 0x7f800000, v4
	s_delay_alu instid0(VALU_DEP_1)
	v_cmpx_ne_u32_e32 0x7f800000, v5
	s_xor_b32 s41, exec_lo, s41
; %bb.468:                              ;   in Loop: Header=BB8_391 Depth=4
	v_bfe_u32 v5, v4, 16, 1
	s_delay_alu instid0(VALU_DEP_1)
	v_add3_u32 v53, v4, v5, 0x7fff
                                        ; implicit-def: $vgpr4
; %bb.469:                              ;   in Loop: Header=BB8_391 Depth=4
	s_and_not1_saveexec_b32 s41, s41
; %bb.470:                              ;   in Loop: Header=BB8_391 Depth=4
	v_and_b32_e32 v5, 0xffff, v4
	v_or_b32_e32 v28, 0x10000, v4
	s_delay_alu instid0(VALU_DEP_2) | instskip(NEXT) | instid1(VALU_DEP_2)
	v_cmp_eq_u32_e32 vcc_lo, 0, v5
	v_cndmask_b32_e32 v53, v28, v4, vcc_lo
; %bb.471:                              ;   in Loop: Header=BB8_391 Depth=4
	s_or_b32 exec_lo, exec_lo, s41
	v_and_b32_e32 v5, 0xffff0000, v49
	v_and_b32_e32 v4, 0xffff0000, v37
	s_mov_b32 s41, exec_lo
                                        ; implicit-def: $vgpr49
	s_delay_alu instid0(VALU_DEP_2) | instskip(NEXT) | instid1(VALU_DEP_1)
	v_mov_b32_e32 v28, v5
	v_pk_mul_f32 v[36:37], v[28:29], v[4:5]
	s_delay_alu instid0(VALU_DEP_1) | instskip(NEXT) | instid1(VALU_DEP_1)
	v_and_b32_e32 v4, 0x7f800000, v36
	v_cmpx_ne_u32_e32 0x7f800000, v4
	s_xor_b32 s41, exec_lo, s41
; %bb.472:                              ;   in Loop: Header=BB8_391 Depth=4
	v_bfe_u32 v4, v36, 16, 1
	s_delay_alu instid0(VALU_DEP_1)
	v_add3_u32 v49, v36, v4, 0x7fff
                                        ; implicit-def: $vgpr36_vgpr37
; %bb.473:                              ;   in Loop: Header=BB8_391 Depth=4
	s_and_not1_saveexec_b32 s41, s41
; %bb.474:                              ;   in Loop: Header=BB8_391 Depth=4
	v_and_b32_e32 v4, 0xffff, v36
	v_or_b32_e32 v5, 0x10000, v36
	s_delay_alu instid0(VALU_DEP_2) | instskip(NEXT) | instid1(VALU_DEP_2)
	v_cmp_eq_u32_e32 vcc_lo, 0, v4
	v_cndmask_b32_e32 v49, v5, v36, vcc_lo
; %bb.475:                              ;   in Loop: Header=BB8_391 Depth=4
	s_or_b32 exec_lo, exec_lo, s41
	v_lshlrev_b32_e32 v4, 16, v38
	v_lshlrev_b32_e32 v5, 16, v50
	s_mov_b32 s41, exec_lo
                                        ; implicit-def: $vgpr104
	s_delay_alu instid0(VALU_DEP_1) | instskip(NEXT) | instid1(VALU_DEP_1)
	v_mul_f32_e32 v4, v5, v4
	v_and_b32_e32 v5, 0x7f800000, v4
	s_delay_alu instid0(VALU_DEP_1)
	v_cmpx_ne_u32_e32 0x7f800000, v5
	s_xor_b32 s41, exec_lo, s41
; %bb.476:                              ;   in Loop: Header=BB8_391 Depth=4
	v_bfe_u32 v5, v4, 16, 1
	s_delay_alu instid0(VALU_DEP_1)
	v_add3_u32 v104, v4, v5, 0x7fff
                                        ; implicit-def: $vgpr4
; %bb.477:                              ;   in Loop: Header=BB8_391 Depth=4
	s_and_not1_saveexec_b32 s41, s41
; %bb.478:                              ;   in Loop: Header=BB8_391 Depth=4
	v_and_b32_e32 v5, 0xffff, v4
	v_or_b32_e32 v28, 0x10000, v4
	s_delay_alu instid0(VALU_DEP_2) | instskip(NEXT) | instid1(VALU_DEP_2)
	v_cmp_eq_u32_e32 vcc_lo, 0, v5
	v_cndmask_b32_e32 v104, v28, v4, vcc_lo
; %bb.479:                              ;   in Loop: Header=BB8_391 Depth=4
	s_or_b32 exec_lo, exec_lo, s41
	v_and_b32_e32 v5, 0xffff0000, v50
	v_and_b32_e32 v4, 0xffff0000, v38
	s_mov_b32 s41, exec_lo
                                        ; implicit-def: $vgpr38
	s_delay_alu instid0(VALU_DEP_2) | instskip(NEXT) | instid1(VALU_DEP_1)
	v_mov_b32_e32 v28, v5
	v_pk_mul_f32 v[36:37], v[28:29], v[4:5]
	s_delay_alu instid0(VALU_DEP_1) | instskip(NEXT) | instid1(VALU_DEP_1)
	v_and_b32_e32 v4, 0x7f800000, v36
	v_cmpx_ne_u32_e32 0x7f800000, v4
	s_xor_b32 s41, exec_lo, s41
; %bb.480:                              ;   in Loop: Header=BB8_391 Depth=4
	v_bfe_u32 v4, v36, 16, 1
	s_delay_alu instid0(VALU_DEP_1)
	v_add3_u32 v38, v36, v4, 0x7fff
                                        ; implicit-def: $vgpr36_vgpr37
; %bb.481:                              ;   in Loop: Header=BB8_391 Depth=4
	s_and_not1_saveexec_b32 s41, s41
; %bb.482:                              ;   in Loop: Header=BB8_391 Depth=4
	v_and_b32_e32 v4, 0xffff, v36
	v_or_b32_e32 v5, 0x10000, v36
	s_delay_alu instid0(VALU_DEP_2) | instskip(NEXT) | instid1(VALU_DEP_2)
	v_cmp_eq_u32_e32 vcc_lo, 0, v4
	v_cndmask_b32_e32 v38, v5, v36, vcc_lo
; %bb.483:                              ;   in Loop: Header=BB8_391 Depth=4
	s_or_b32 exec_lo, exec_lo, s41
	v_lshlrev_b32_e32 v4, 16, v39
	v_lshlrev_b32_e32 v5, 16, v51
	s_mov_b32 s41, exec_lo
                                        ; implicit-def: $vgpr50
	s_delay_alu instid0(VALU_DEP_1) | instskip(NEXT) | instid1(VALU_DEP_1)
	v_mul_f32_e32 v4, v5, v4
	v_and_b32_e32 v5, 0x7f800000, v4
	s_delay_alu instid0(VALU_DEP_1)
	v_cmpx_ne_u32_e32 0x7f800000, v5
	s_xor_b32 s41, exec_lo, s41
; %bb.484:                              ;   in Loop: Header=BB8_391 Depth=4
	v_bfe_u32 v5, v4, 16, 1
	s_delay_alu instid0(VALU_DEP_1)
	v_add3_u32 v50, v4, v5, 0x7fff
                                        ; implicit-def: $vgpr4
; %bb.485:                              ;   in Loop: Header=BB8_391 Depth=4
	s_and_not1_saveexec_b32 s41, s41
; %bb.486:                              ;   in Loop: Header=BB8_391 Depth=4
	v_and_b32_e32 v5, 0xffff, v4
	v_or_b32_e32 v28, 0x10000, v4
	s_delay_alu instid0(VALU_DEP_2) | instskip(NEXT) | instid1(VALU_DEP_2)
	v_cmp_eq_u32_e32 vcc_lo, 0, v5
	v_cndmask_b32_e32 v50, v28, v4, vcc_lo
; %bb.487:                              ;   in Loop: Header=BB8_391 Depth=4
	s_or_b32 exec_lo, exec_lo, s41
	v_and_b32_e32 v5, 0xffff0000, v51
	v_and_b32_e32 v4, 0xffff0000, v39
	s_mov_b32 s41, exec_lo
                                        ; implicit-def: $vgpr39
	s_delay_alu instid0(VALU_DEP_2) | instskip(NEXT) | instid1(VALU_DEP_1)
	v_mov_b32_e32 v28, v5
	v_pk_mul_f32 v[36:37], v[28:29], v[4:5]
	s_delay_alu instid0(VALU_DEP_1) | instskip(NEXT) | instid1(VALU_DEP_1)
	v_and_b32_e32 v4, 0x7f800000, v36
	v_cmpx_ne_u32_e32 0x7f800000, v4
	s_xor_b32 s41, exec_lo, s41
; %bb.488:                              ;   in Loop: Header=BB8_391 Depth=4
	v_bfe_u32 v4, v36, 16, 1
	s_delay_alu instid0(VALU_DEP_1)
	v_add3_u32 v39, v36, v4, 0x7fff
                                        ; implicit-def: $vgpr36_vgpr37
; %bb.489:                              ;   in Loop: Header=BB8_391 Depth=4
	s_and_not1_saveexec_b32 s41, s41
; %bb.490:                              ;   in Loop: Header=BB8_391 Depth=4
	v_and_b32_e32 v4, 0xffff, v36
	v_or_b32_e32 v5, 0x10000, v36
	s_delay_alu instid0(VALU_DEP_2) | instskip(NEXT) | instid1(VALU_DEP_2)
	v_cmp_eq_u32_e32 vcc_lo, 0, v4
	v_cndmask_b32_e32 v39, v5, v36, vcc_lo
; %bb.491:                              ;   in Loop: Header=BB8_391 Depth=4
	s_or_b32 exec_lo, exec_lo, s41
	v_lshlrev_b32_e32 v4, 16, v24
	s_wait_loadcnt 0x0
	v_lshlrev_b32_e32 v5, 16, v32
	s_mov_b32 s41, exec_lo
                                        ; implicit-def: $vgpr51
	s_delay_alu instid0(VALU_DEP_1) | instskip(NEXT) | instid1(VALU_DEP_1)
	v_mul_f32_e32 v4, v5, v4
	v_and_b32_e32 v5, 0x7f800000, v4
	s_delay_alu instid0(VALU_DEP_1)
	v_cmpx_ne_u32_e32 0x7f800000, v5
	s_xor_b32 s41, exec_lo, s41
; %bb.492:                              ;   in Loop: Header=BB8_391 Depth=4
	v_bfe_u32 v5, v4, 16, 1
	s_delay_alu instid0(VALU_DEP_1)
	v_add3_u32 v51, v4, v5, 0x7fff
                                        ; implicit-def: $vgpr4
; %bb.493:                              ;   in Loop: Header=BB8_391 Depth=4
	s_and_not1_saveexec_b32 s41, s41
; %bb.494:                              ;   in Loop: Header=BB8_391 Depth=4
	v_and_b32_e32 v5, 0xffff, v4
	v_or_b32_e32 v28, 0x10000, v4
	s_delay_alu instid0(VALU_DEP_2) | instskip(NEXT) | instid1(VALU_DEP_2)
	v_cmp_eq_u32_e32 vcc_lo, 0, v5
	v_cndmask_b32_e32 v51, v28, v4, vcc_lo
; %bb.495:                              ;   in Loop: Header=BB8_391 Depth=4
	s_or_b32 exec_lo, exec_lo, s41
	v_and_b32_e32 v5, 0xffff0000, v32
	v_and_b32_e32 v4, 0xffff0000, v24
	s_mov_b32 s41, exec_lo
                                        ; implicit-def: $vgpr28
	s_delay_alu instid0(VALU_DEP_2) | instskip(NEXT) | instid1(VALU_DEP_1)
	v_mov_b32_e32 v24, v5
	v_pk_mul_f32 v[36:37], v[24:25], v[4:5]
	s_delay_alu instid0(VALU_DEP_1) | instskip(NEXT) | instid1(VALU_DEP_1)
	v_and_b32_e32 v4, 0x7f800000, v36
	v_cmpx_ne_u32_e32 0x7f800000, v4
	s_xor_b32 s41, exec_lo, s41
; %bb.496:                              ;   in Loop: Header=BB8_391 Depth=4
	v_bfe_u32 v4, v36, 16, 1
	s_delay_alu instid0(VALU_DEP_1)
	v_add3_u32 v28, v36, v4, 0x7fff
                                        ; implicit-def: $vgpr36_vgpr37
; %bb.497:                              ;   in Loop: Header=BB8_391 Depth=4
	s_and_not1_saveexec_b32 s41, s41
; %bb.498:                              ;   in Loop: Header=BB8_391 Depth=4
	v_and_b32_e32 v4, 0xffff, v36
	v_or_b32_e32 v5, 0x10000, v36
	s_delay_alu instid0(VALU_DEP_2) | instskip(NEXT) | instid1(VALU_DEP_2)
	v_cmp_eq_u32_e32 vcc_lo, 0, v4
	v_cndmask_b32_e32 v28, v5, v36, vcc_lo
; %bb.499:                              ;   in Loop: Header=BB8_391 Depth=4
	s_or_b32 exec_lo, exec_lo, s41
	v_lshlrev_b32_e32 v4, 16, v25
	v_lshlrev_b32_e32 v5, 16, v33
	s_mov_b32 s41, exec_lo
                                        ; implicit-def: $vgpr29
	s_delay_alu instid0(VALU_DEP_1) | instskip(NEXT) | instid1(VALU_DEP_1)
	v_mul_f32_e32 v4, v5, v4
	v_and_b32_e32 v5, 0x7f800000, v4
	s_delay_alu instid0(VALU_DEP_1)
	v_cmpx_ne_u32_e32 0x7f800000, v5
	s_xor_b32 s41, exec_lo, s41
; %bb.500:                              ;   in Loop: Header=BB8_391 Depth=4
	v_bfe_u32 v5, v4, 16, 1
	s_delay_alu instid0(VALU_DEP_1)
	v_add3_u32 v29, v4, v5, 0x7fff
                                        ; implicit-def: $vgpr4
; %bb.501:                              ;   in Loop: Header=BB8_391 Depth=4
	s_and_not1_saveexec_b32 s41, s41
; %bb.502:                              ;   in Loop: Header=BB8_391 Depth=4
	v_and_b32_e32 v5, 0xffff, v4
	v_or_b32_e32 v24, 0x10000, v4
	s_delay_alu instid0(VALU_DEP_2) | instskip(NEXT) | instid1(VALU_DEP_2)
	v_cmp_eq_u32_e32 vcc_lo, 0, v5
	v_cndmask_b32_e32 v29, v24, v4, vcc_lo
; %bb.503:                              ;   in Loop: Header=BB8_391 Depth=4
	s_or_b32 exec_lo, exec_lo, s41
	v_and_b32_e32 v5, 0xffff0000, v33
	v_and_b32_e32 v4, 0xffff0000, v25
	s_mov_b32 s41, exec_lo
                                        ; implicit-def: $vgpr32
	s_delay_alu instid0(VALU_DEP_2) | instskip(NEXT) | instid1(VALU_DEP_1)
	v_mov_b32_e32 v24, v5
	v_pk_mul_f32 v[24:25], v[24:25], v[4:5]
	s_delay_alu instid0(VALU_DEP_1) | instskip(NEXT) | instid1(VALU_DEP_1)
	v_and_b32_e32 v4, 0x7f800000, v24
	v_cmpx_ne_u32_e32 0x7f800000, v4
	s_xor_b32 s41, exec_lo, s41
; %bb.504:                              ;   in Loop: Header=BB8_391 Depth=4
	v_bfe_u32 v4, v24, 16, 1
	s_delay_alu instid0(VALU_DEP_1)
	v_add3_u32 v32, v24, v4, 0x7fff
                                        ; implicit-def: $vgpr24_vgpr25
; %bb.505:                              ;   in Loop: Header=BB8_391 Depth=4
	s_and_not1_saveexec_b32 s41, s41
; %bb.506:                              ;   in Loop: Header=BB8_391 Depth=4
	v_and_b32_e32 v4, 0xffff, v24
	v_or_b32_e32 v5, 0x10000, v24
	s_delay_alu instid0(VALU_DEP_2) | instskip(NEXT) | instid1(VALU_DEP_2)
	v_cmp_eq_u32_e32 vcc_lo, 0, v4
	v_cndmask_b32_e32 v32, v5, v24, vcc_lo
; %bb.507:                              ;   in Loop: Header=BB8_391 Depth=4
	s_or_b32 exec_lo, exec_lo, s41
	v_lshlrev_b32_e32 v4, 16, v26
	v_lshlrev_b32_e32 v5, 16, v34
	s_mov_b32 s41, exec_lo
                                        ; implicit-def: $vgpr33
	s_delay_alu instid0(VALU_DEP_1) | instskip(NEXT) | instid1(VALU_DEP_1)
	v_mul_f32_e32 v4, v5, v4
	v_and_b32_e32 v5, 0x7f800000, v4
	s_delay_alu instid0(VALU_DEP_1)
	v_cmpx_ne_u32_e32 0x7f800000, v5
	s_xor_b32 s41, exec_lo, s41
; %bb.508:                              ;   in Loop: Header=BB8_391 Depth=4
	v_bfe_u32 v5, v4, 16, 1
	s_delay_alu instid0(VALU_DEP_1)
	v_add3_u32 v33, v4, v5, 0x7fff
                                        ; implicit-def: $vgpr4
; %bb.509:                              ;   in Loop: Header=BB8_391 Depth=4
	s_and_not1_saveexec_b32 s41, s41
; %bb.510:                              ;   in Loop: Header=BB8_391 Depth=4
	v_and_b32_e32 v5, 0xffff, v4
	v_or_b32_e32 v24, 0x10000, v4
	s_delay_alu instid0(VALU_DEP_2) | instskip(NEXT) | instid1(VALU_DEP_2)
	v_cmp_eq_u32_e32 vcc_lo, 0, v5
	v_cndmask_b32_e32 v33, v24, v4, vcc_lo
; %bb.511:                              ;   in Loop: Header=BB8_391 Depth=4
	s_or_b32 exec_lo, exec_lo, s41
	v_and_b32_e32 v5, 0xffff0000, v34
	v_and_b32_e32 v4, 0xffff0000, v26
	s_mov_b32 s41, exec_lo
                                        ; implicit-def: $vgpr26
	s_delay_alu instid0(VALU_DEP_2) | instskip(NEXT) | instid1(VALU_DEP_1)
	v_mov_b32_e32 v24, v5
	v_pk_mul_f32 v[24:25], v[24:25], v[4:5]
	s_delay_alu instid0(VALU_DEP_1) | instskip(NEXT) | instid1(VALU_DEP_1)
	v_and_b32_e32 v4, 0x7f800000, v24
	v_cmpx_ne_u32_e32 0x7f800000, v4
	s_xor_b32 s41, exec_lo, s41
; %bb.512:                              ;   in Loop: Header=BB8_391 Depth=4
	v_bfe_u32 v4, v24, 16, 1
	s_delay_alu instid0(VALU_DEP_1)
	v_add3_u32 v26, v24, v4, 0x7fff
                                        ; implicit-def: $vgpr24_vgpr25
; %bb.513:                              ;   in Loop: Header=BB8_391 Depth=4
	s_and_not1_saveexec_b32 s41, s41
; %bb.514:                              ;   in Loop: Header=BB8_391 Depth=4
	v_and_b32_e32 v4, 0xffff, v24
	v_or_b32_e32 v5, 0x10000, v24
	s_delay_alu instid0(VALU_DEP_2) | instskip(NEXT) | instid1(VALU_DEP_2)
	v_cmp_eq_u32_e32 vcc_lo, 0, v4
	v_cndmask_b32_e32 v26, v5, v24, vcc_lo
; %bb.515:                              ;   in Loop: Header=BB8_391 Depth=4
	s_or_b32 exec_lo, exec_lo, s41
	v_lshlrev_b32_e32 v4, 16, v27
	v_lshlrev_b32_e32 v5, 16, v35
	s_delay_alu instid0(VALU_DEP_1) | instskip(NEXT) | instid1(VALU_DEP_1)
	v_mul_f32_e32 v5, v5, v4
	v_and_b32_e32 v4, 0x7f800000, v5
	s_delay_alu instid0(VALU_DEP_1) | instskip(SKIP_1) | instid1(SALU_CYCLE_1)
	v_cmp_ne_u32_e32 vcc_lo, 0x7f800000, v4
                                        ; implicit-def: $vgpr4
	s_and_saveexec_b32 s41, vcc_lo
	s_xor_b32 s41, exec_lo, s41
; %bb.516:                              ;   in Loop: Header=BB8_391 Depth=4
	v_bfe_u32 v4, v5, 16, 1
	s_delay_alu instid0(VALU_DEP_1)
	v_add3_u32 v4, v5, v4, 0x7fff
                                        ; implicit-def: $vgpr5
; %bb.517:                              ;   in Loop: Header=BB8_391 Depth=4
	s_and_not1_saveexec_b32 s41, s41
; %bb.518:                              ;   in Loop: Header=BB8_391 Depth=4
	v_and_b32_e32 v4, 0xffff, v5
	v_or_b32_e32 v24, 0x10000, v5
	s_delay_alu instid0(VALU_DEP_2) | instskip(NEXT) | instid1(VALU_DEP_2)
	v_cmp_eq_u32_e32 vcc_lo, 0, v4
	v_cndmask_b32_e32 v4, v24, v5, vcc_lo
; %bb.519:                              ;   in Loop: Header=BB8_391 Depth=4
	s_or_b32 exec_lo, exec_lo, s41
	v_and_b32_e32 v25, 0xffff0000, v35
	v_and_b32_e32 v24, 0xffff0000, v27
	s_delay_alu instid0(VALU_DEP_2) | instskip(NEXT) | instid1(VALU_DEP_1)
	v_mov_b32_e32 v34, v25
	v_pk_mul_f32 v[24:25], v[34:35], v[24:25]
	s_delay_alu instid0(VALU_DEP_1) | instskip(NEXT) | instid1(VALU_DEP_1)
	v_and_b32_e32 v5, 0x7f800000, v24
	v_cmp_ne_u32_e32 vcc_lo, 0x7f800000, v5
                                        ; implicit-def: $vgpr5
	s_and_saveexec_b32 s41, vcc_lo
	s_delay_alu instid0(SALU_CYCLE_1)
	s_xor_b32 s41, exec_lo, s41
; %bb.520:                              ;   in Loop: Header=BB8_391 Depth=4
	v_bfe_u32 v5, v24, 16, 1
	s_delay_alu instid0(VALU_DEP_1)
	v_add3_u32 v5, v24, v5, 0x7fff
                                        ; implicit-def: $vgpr24_vgpr25
; %bb.521:                              ;   in Loop: Header=BB8_391 Depth=4
	s_and_not1_saveexec_b32 s41, s41
	s_cbranch_execz .LBB8_390
; %bb.522:                              ;   in Loop: Header=BB8_391 Depth=4
	v_and_b32_e32 v5, 0xffff, v24
	v_or_b32_e32 v25, 0x10000, v24
	s_delay_alu instid0(VALU_DEP_2) | instskip(NEXT) | instid1(VALU_DEP_2)
	v_cmp_eq_u32_e32 vcc_lo, 0, v5
	v_cndmask_b32_e32 v5, v25, v24, vcc_lo
	s_branch .LBB8_390
.LBB8_523:                              ;   in Loop: Header=BB8_307 Depth=3
	v_dual_mov_b32 v15, v0 :: v_dual_mov_b32 v8, v124
	s_and_saveexec_b32 s15, s77
	s_cbranch_execnz .LBB8_707
	s_branch .LBB8_838
.LBB8_524:                              ;   in Loop: Header=BB8_307 Depth=3
	s_or_b32 exec_lo, exec_lo, s14
	s_delay_alu instid0(SALU_CYCLE_1)
	s_and_b32 s14, s15, exec_lo
.LBB8_525:                              ;   in Loop: Header=BB8_307 Depth=3
	s_or_b32 exec_lo, exec_lo, s13
	s_and_saveexec_b32 s13, s14
	s_cbranch_execz .LBB8_591
; %bb.526:                              ;   in Loop: Header=BB8_307 Depth=3
	v_lshlrev_b32_e32 v4, 16, v20
	v_lshlrev_b32_e32 v5, 16, v16
	s_mov_b32 s14, exec_lo
                                        ; implicit-def: $vgpr26
	s_delay_alu instid0(VALU_DEP_1) | instskip(NEXT) | instid1(VALU_DEP_1)
	v_mul_f32_e32 v4, v5, v4
	v_and_b32_e32 v5, 0x7f800000, v4
	s_delay_alu instid0(VALU_DEP_1)
	v_cmpx_ne_u32_e32 0x7f800000, v5
	s_xor_b32 s14, exec_lo, s14
; %bb.527:                              ;   in Loop: Header=BB8_307 Depth=3
	v_bfe_u32 v5, v4, 16, 1
	s_delay_alu instid0(VALU_DEP_1)
	v_add3_u32 v26, v4, v5, 0x7fff
                                        ; implicit-def: $vgpr4
; %bb.528:                              ;   in Loop: Header=BB8_307 Depth=3
	s_and_not1_saveexec_b32 s14, s14
; %bb.529:                              ;   in Loop: Header=BB8_307 Depth=3
	v_and_b32_e32 v5, 0xffff, v4
	v_or_b32_e32 v24, 0x10000, v4
	s_delay_alu instid0(VALU_DEP_2) | instskip(NEXT) | instid1(VALU_DEP_2)
	v_cmp_eq_u32_e32 vcc_lo, 0, v5
	v_cndmask_b32_e32 v26, v24, v4, vcc_lo
; %bb.530:                              ;   in Loop: Header=BB8_307 Depth=3
	s_or_b32 exec_lo, exec_lo, s14
	v_and_b32_e32 v5, 0xffff0000, v20
	v_and_b32_e32 v4, 0xffff0000, v16
	s_mov_b32 s14, exec_lo
                                        ; implicit-def: $vgpr20
	s_delay_alu instid0(VALU_DEP_2) | instskip(NEXT) | instid1(VALU_DEP_1)
	v_mov_b32_e32 v16, v5
	v_pk_mul_f32 v[24:25], v[16:17], v[4:5]
	s_delay_alu instid0(VALU_DEP_1) | instskip(NEXT) | instid1(VALU_DEP_1)
	v_and_b32_e32 v4, 0x7f800000, v24
	v_cmpx_ne_u32_e32 0x7f800000, v4
	s_xor_b32 s14, exec_lo, s14
; %bb.531:                              ;   in Loop: Header=BB8_307 Depth=3
	v_bfe_u32 v4, v24, 16, 1
	s_delay_alu instid0(VALU_DEP_1)
	v_add3_u32 v20, v24, v4, 0x7fff
                                        ; implicit-def: $vgpr24_vgpr25
; %bb.532:                              ;   in Loop: Header=BB8_307 Depth=3
	s_and_not1_saveexec_b32 s14, s14
; %bb.533:                              ;   in Loop: Header=BB8_307 Depth=3
	v_and_b32_e32 v4, 0xffff, v24
	v_or_b32_e32 v5, 0x10000, v24
	s_delay_alu instid0(VALU_DEP_2) | instskip(NEXT) | instid1(VALU_DEP_2)
	v_cmp_eq_u32_e32 vcc_lo, 0, v4
	v_cndmask_b32_e32 v20, v5, v24, vcc_lo
; %bb.534:                              ;   in Loop: Header=BB8_307 Depth=3
	s_or_b32 exec_lo, exec_lo, s14
	v_lshlrev_b32_e32 v4, 16, v17
	v_lshlrev_b32_e32 v5, 16, v21
	s_mov_b32 s14, exec_lo
                                        ; implicit-def: $vgpr24
	s_delay_alu instid0(VALU_DEP_1) | instskip(NEXT) | instid1(VALU_DEP_1)
	v_mul_f32_e32 v4, v5, v4
	v_and_b32_e32 v5, 0x7f800000, v4
	s_delay_alu instid0(VALU_DEP_1)
	v_cmpx_ne_u32_e32 0x7f800000, v5
	s_xor_b32 s14, exec_lo, s14
; %bb.535:                              ;   in Loop: Header=BB8_307 Depth=3
	v_bfe_u32 v5, v4, 16, 1
	s_delay_alu instid0(VALU_DEP_1)
	v_add3_u32 v24, v4, v5, 0x7fff
                                        ; implicit-def: $vgpr4
; %bb.536:                              ;   in Loop: Header=BB8_307 Depth=3
	s_and_not1_saveexec_b32 s14, s14
; %bb.537:                              ;   in Loop: Header=BB8_307 Depth=3
	v_and_b32_e32 v5, 0xffff, v4
	v_or_b32_e32 v16, 0x10000, v4
	s_delay_alu instid0(VALU_DEP_2) | instskip(NEXT) | instid1(VALU_DEP_2)
	v_cmp_eq_u32_e32 vcc_lo, 0, v5
	v_cndmask_b32_e32 v24, v16, v4, vcc_lo
; %bb.538:                              ;   in Loop: Header=BB8_307 Depth=3
	s_or_b32 exec_lo, exec_lo, s14
	v_and_b32_e32 v5, 0xffff0000, v21
	v_and_b32_e32 v4, 0xffff0000, v17
	s_mov_b32 s14, exec_lo
                                        ; implicit-def: $vgpr21
	s_delay_alu instid0(VALU_DEP_2) | instskip(NEXT) | instid1(VALU_DEP_1)
	v_mov_b32_e32 v16, v5
	v_pk_mul_f32 v[16:17], v[16:17], v[4:5]
	s_delay_alu instid0(VALU_DEP_1) | instskip(NEXT) | instid1(VALU_DEP_1)
	v_and_b32_e32 v4, 0x7f800000, v16
	v_cmpx_ne_u32_e32 0x7f800000, v4
	s_xor_b32 s14, exec_lo, s14
; %bb.539:                              ;   in Loop: Header=BB8_307 Depth=3
	v_bfe_u32 v4, v16, 16, 1
	s_delay_alu instid0(VALU_DEP_1)
	v_add3_u32 v21, v16, v4, 0x7fff
                                        ; implicit-def: $vgpr16_vgpr17
; %bb.540:                              ;   in Loop: Header=BB8_307 Depth=3
	s_and_not1_saveexec_b32 s14, s14
; %bb.541:                              ;   in Loop: Header=BB8_307 Depth=3
	v_and_b32_e32 v4, 0xffff, v16
	v_or_b32_e32 v5, 0x10000, v16
	s_delay_alu instid0(VALU_DEP_2) | instskip(NEXT) | instid1(VALU_DEP_2)
	v_cmp_eq_u32_e32 vcc_lo, 0, v4
	v_cndmask_b32_e32 v21, v5, v16, vcc_lo
; %bb.542:                              ;   in Loop: Header=BB8_307 Depth=3
	s_or_b32 exec_lo, exec_lo, s14
	v_lshlrev_b32_e32 v4, 16, v22
	v_lshlrev_b32_e32 v5, 16, v18
	s_mov_b32 s14, exec_lo
                                        ; implicit-def: $vgpr25
	s_delay_alu instid0(VALU_DEP_1) | instskip(NEXT) | instid1(VALU_DEP_1)
	v_mul_f32_e32 v4, v5, v4
	v_and_b32_e32 v5, 0x7f800000, v4
	s_delay_alu instid0(VALU_DEP_1)
	v_cmpx_ne_u32_e32 0x7f800000, v5
	s_xor_b32 s14, exec_lo, s14
; %bb.543:                              ;   in Loop: Header=BB8_307 Depth=3
	v_bfe_u32 v5, v4, 16, 1
	s_delay_alu instid0(VALU_DEP_1)
	v_add3_u32 v25, v4, v5, 0x7fff
                                        ; implicit-def: $vgpr4
; %bb.544:                              ;   in Loop: Header=BB8_307 Depth=3
	s_and_not1_saveexec_b32 s14, s14
; %bb.545:                              ;   in Loop: Header=BB8_307 Depth=3
	v_and_b32_e32 v5, 0xffff, v4
	v_or_b32_e32 v16, 0x10000, v4
	s_delay_alu instid0(VALU_DEP_2) | instskip(NEXT) | instid1(VALU_DEP_2)
	v_cmp_eq_u32_e32 vcc_lo, 0, v5
	v_cndmask_b32_e32 v25, v16, v4, vcc_lo
; %bb.546:                              ;   in Loop: Header=BB8_307 Depth=3
	s_or_b32 exec_lo, exec_lo, s14
	v_and_b32_e32 v5, 0xffff0000, v22
	v_and_b32_e32 v4, 0xffff0000, v18
	s_mov_b32 s14, exec_lo
                                        ; implicit-def: $vgpr18
	s_delay_alu instid0(VALU_DEP_2) | instskip(NEXT) | instid1(VALU_DEP_1)
	v_mov_b32_e32 v16, v5
	v_pk_mul_f32 v[16:17], v[16:17], v[4:5]
	s_delay_alu instid0(VALU_DEP_1) | instskip(NEXT) | instid1(VALU_DEP_1)
	v_and_b32_e32 v4, 0x7f800000, v16
	v_cmpx_ne_u32_e32 0x7f800000, v4
	s_xor_b32 s14, exec_lo, s14
; %bb.547:                              ;   in Loop: Header=BB8_307 Depth=3
	v_bfe_u32 v4, v16, 16, 1
	s_delay_alu instid0(VALU_DEP_1)
	v_add3_u32 v18, v16, v4, 0x7fff
                                        ; implicit-def: $vgpr16_vgpr17
; %bb.548:                              ;   in Loop: Header=BB8_307 Depth=3
	s_and_not1_saveexec_b32 s14, s14
; %bb.549:                              ;   in Loop: Header=BB8_307 Depth=3
	v_and_b32_e32 v4, 0xffff, v16
	v_or_b32_e32 v5, 0x10000, v16
	s_delay_alu instid0(VALU_DEP_2) | instskip(NEXT) | instid1(VALU_DEP_2)
	v_cmp_eq_u32_e32 vcc_lo, 0, v4
	v_cndmask_b32_e32 v18, v5, v16, vcc_lo
; %bb.550:                              ;   in Loop: Header=BB8_307 Depth=3
	s_or_b32 exec_lo, exec_lo, s14
	v_lshlrev_b32_e32 v4, 16, v19
	v_lshlrev_b32_e32 v5, 16, v23
	s_mov_b32 s14, exec_lo
                                        ; implicit-def: $vgpr22
	s_delay_alu instid0(VALU_DEP_1) | instskip(NEXT) | instid1(VALU_DEP_1)
	v_mul_f32_e32 v4, v5, v4
	v_and_b32_e32 v5, 0x7f800000, v4
	s_delay_alu instid0(VALU_DEP_1)
	v_cmpx_ne_u32_e32 0x7f800000, v5
	s_xor_b32 s14, exec_lo, s14
; %bb.551:                              ;   in Loop: Header=BB8_307 Depth=3
	v_bfe_u32 v5, v4, 16, 1
	s_delay_alu instid0(VALU_DEP_1)
	v_add3_u32 v22, v4, v5, 0x7fff
                                        ; implicit-def: $vgpr4
; %bb.552:                              ;   in Loop: Header=BB8_307 Depth=3
	s_and_not1_saveexec_b32 s14, s14
; %bb.553:                              ;   in Loop: Header=BB8_307 Depth=3
	v_and_b32_e32 v5, 0xffff, v4
	v_or_b32_e32 v16, 0x10000, v4
	s_delay_alu instid0(VALU_DEP_2) | instskip(NEXT) | instid1(VALU_DEP_2)
	v_cmp_eq_u32_e32 vcc_lo, 0, v5
	v_cndmask_b32_e32 v22, v16, v4, vcc_lo
; %bb.554:                              ;   in Loop: Header=BB8_307 Depth=3
	s_or_b32 exec_lo, exec_lo, s14
	v_and_b32_e32 v5, 0xffff0000, v23
	v_and_b32_e32 v4, 0xffff0000, v19
	s_mov_b32 s14, exec_lo
                                        ; implicit-def: $vgpr19
	s_delay_alu instid0(VALU_DEP_2) | instskip(NEXT) | instid1(VALU_DEP_1)
	v_mov_b32_e32 v16, v5
	v_pk_mul_f32 v[16:17], v[16:17], v[4:5]
	s_delay_alu instid0(VALU_DEP_1) | instskip(NEXT) | instid1(VALU_DEP_1)
	v_and_b32_e32 v4, 0x7f800000, v16
	v_cmpx_ne_u32_e32 0x7f800000, v4
	s_xor_b32 s14, exec_lo, s14
; %bb.555:                              ;   in Loop: Header=BB8_307 Depth=3
	v_bfe_u32 v4, v16, 16, 1
	s_delay_alu instid0(VALU_DEP_1)
	v_add3_u32 v19, v16, v4, 0x7fff
                                        ; implicit-def: $vgpr16_vgpr17
; %bb.556:                              ;   in Loop: Header=BB8_307 Depth=3
	s_and_not1_saveexec_b32 s14, s14
; %bb.557:                              ;   in Loop: Header=BB8_307 Depth=3
	v_and_b32_e32 v4, 0xffff, v16
	v_or_b32_e32 v5, 0x10000, v16
	s_delay_alu instid0(VALU_DEP_2) | instskip(NEXT) | instid1(VALU_DEP_2)
	v_cmp_eq_u32_e32 vcc_lo, 0, v4
	v_cndmask_b32_e32 v19, v5, v16, vcc_lo
; %bb.558:                              ;   in Loop: Header=BB8_307 Depth=3
	s_or_b32 exec_lo, exec_lo, s14
	v_lshlrev_b32_e32 v4, 16, v12
	v_lshlrev_b32_e32 v5, 16, v8
	s_mov_b32 s14, exec_lo
                                        ; implicit-def: $vgpr23
	s_delay_alu instid0(VALU_DEP_1) | instskip(NEXT) | instid1(VALU_DEP_1)
	v_mul_f32_e32 v4, v5, v4
	v_and_b32_e32 v5, 0x7f800000, v4
	s_delay_alu instid0(VALU_DEP_1)
	v_cmpx_ne_u32_e32 0x7f800000, v5
	s_xor_b32 s14, exec_lo, s14
; %bb.559:                              ;   in Loop: Header=BB8_307 Depth=3
	v_bfe_u32 v5, v4, 16, 1
	s_delay_alu instid0(VALU_DEP_1)
	v_add3_u32 v23, v4, v5, 0x7fff
                                        ; implicit-def: $vgpr4
; %bb.560:                              ;   in Loop: Header=BB8_307 Depth=3
	s_and_not1_saveexec_b32 s14, s14
; %bb.561:                              ;   in Loop: Header=BB8_307 Depth=3
	v_and_b32_e32 v5, 0xffff, v4
	v_or_b32_e32 v16, 0x10000, v4
	s_delay_alu instid0(VALU_DEP_2) | instskip(NEXT) | instid1(VALU_DEP_2)
	v_cmp_eq_u32_e32 vcc_lo, 0, v5
	v_cndmask_b32_e32 v23, v16, v4, vcc_lo
; %bb.562:                              ;   in Loop: Header=BB8_307 Depth=3
	s_or_b32 exec_lo, exec_lo, s14
	v_and_b32_e32 v5, 0xffff0000, v12
	v_and_b32_e32 v4, 0xffff0000, v8
	s_mov_b32 s14, exec_lo
                                        ; implicit-def: $vgpr12
	s_delay_alu instid0(VALU_DEP_2) | instskip(NEXT) | instid1(VALU_DEP_1)
	v_mov_b32_e32 v8, v5
	v_pk_mul_f32 v[16:17], v[8:9], v[4:5]
	s_delay_alu instid0(VALU_DEP_1) | instskip(NEXT) | instid1(VALU_DEP_1)
	v_and_b32_e32 v4, 0x7f800000, v16
	v_cmpx_ne_u32_e32 0x7f800000, v4
	s_xor_b32 s14, exec_lo, s14
; %bb.563:                              ;   in Loop: Header=BB8_307 Depth=3
	v_bfe_u32 v4, v16, 16, 1
	s_delay_alu instid0(VALU_DEP_1)
	v_add3_u32 v12, v16, v4, 0x7fff
                                        ; implicit-def: $vgpr16_vgpr17
; %bb.564:                              ;   in Loop: Header=BB8_307 Depth=3
	s_and_not1_saveexec_b32 s14, s14
; %bb.565:                              ;   in Loop: Header=BB8_307 Depth=3
	v_and_b32_e32 v4, 0xffff, v16
	v_or_b32_e32 v5, 0x10000, v16
	s_delay_alu instid0(VALU_DEP_2) | instskip(NEXT) | instid1(VALU_DEP_2)
	v_cmp_eq_u32_e32 vcc_lo, 0, v4
	v_cndmask_b32_e32 v12, v5, v16, vcc_lo
; %bb.566:                              ;   in Loop: Header=BB8_307 Depth=3
	s_or_b32 exec_lo, exec_lo, s14
	v_lshlrev_b32_e32 v4, 16, v9
	v_lshlrev_b32_e32 v5, 16, v13
	s_mov_b32 s14, exec_lo
                                        ; implicit-def: $vgpr16
	s_delay_alu instid0(VALU_DEP_1) | instskip(NEXT) | instid1(VALU_DEP_1)
	v_mul_f32_e32 v4, v5, v4
	v_and_b32_e32 v5, 0x7f800000, v4
	s_delay_alu instid0(VALU_DEP_1)
	v_cmpx_ne_u32_e32 0x7f800000, v5
	s_xor_b32 s14, exec_lo, s14
; %bb.567:                              ;   in Loop: Header=BB8_307 Depth=3
	v_bfe_u32 v5, v4, 16, 1
	s_delay_alu instid0(VALU_DEP_1)
	v_add3_u32 v16, v4, v5, 0x7fff
                                        ; implicit-def: $vgpr4
; %bb.568:                              ;   in Loop: Header=BB8_307 Depth=3
	s_and_not1_saveexec_b32 s14, s14
; %bb.569:                              ;   in Loop: Header=BB8_307 Depth=3
	v_and_b32_e32 v5, 0xffff, v4
	v_or_b32_e32 v8, 0x10000, v4
	s_delay_alu instid0(VALU_DEP_2) | instskip(NEXT) | instid1(VALU_DEP_2)
	v_cmp_eq_u32_e32 vcc_lo, 0, v5
	v_cndmask_b32_e32 v16, v8, v4, vcc_lo
; %bb.570:                              ;   in Loop: Header=BB8_307 Depth=3
	s_or_b32 exec_lo, exec_lo, s14
	v_and_b32_e32 v5, 0xffff0000, v13
	v_and_b32_e32 v4, 0xffff0000, v9
	s_mov_b32 s14, exec_lo
                                        ; implicit-def: $vgpr13
	s_delay_alu instid0(VALU_DEP_2) | instskip(NEXT) | instid1(VALU_DEP_1)
	v_mov_b32_e32 v8, v5
	v_pk_mul_f32 v[8:9], v[8:9], v[4:5]
	s_delay_alu instid0(VALU_DEP_1) | instskip(NEXT) | instid1(VALU_DEP_1)
	v_and_b32_e32 v4, 0x7f800000, v8
	v_cmpx_ne_u32_e32 0x7f800000, v4
	s_xor_b32 s14, exec_lo, s14
; %bb.571:                              ;   in Loop: Header=BB8_307 Depth=3
	v_bfe_u32 v4, v8, 16, 1
	s_delay_alu instid0(VALU_DEP_1)
	v_add3_u32 v13, v8, v4, 0x7fff
                                        ; implicit-def: $vgpr8_vgpr9
; %bb.572:                              ;   in Loop: Header=BB8_307 Depth=3
	s_and_not1_saveexec_b32 s14, s14
; %bb.573:                              ;   in Loop: Header=BB8_307 Depth=3
	v_and_b32_e32 v4, 0xffff, v8
	v_or_b32_e32 v5, 0x10000, v8
	s_delay_alu instid0(VALU_DEP_2) | instskip(NEXT) | instid1(VALU_DEP_2)
	v_cmp_eq_u32_e32 vcc_lo, 0, v4
	v_cndmask_b32_e32 v13, v5, v8, vcc_lo
; %bb.574:                              ;   in Loop: Header=BB8_307 Depth=3
	s_or_b32 exec_lo, exec_lo, s14
	v_lshlrev_b32_e32 v4, 16, v14
	v_lshlrev_b32_e32 v5, 16, v10
	s_mov_b32 s14, exec_lo
                                        ; implicit-def: $vgpr17
	s_delay_alu instid0(VALU_DEP_1) | instskip(NEXT) | instid1(VALU_DEP_1)
	v_mul_f32_e32 v4, v5, v4
	v_and_b32_e32 v5, 0x7f800000, v4
	s_delay_alu instid0(VALU_DEP_1)
	v_cmpx_ne_u32_e32 0x7f800000, v5
	s_xor_b32 s14, exec_lo, s14
; %bb.575:                              ;   in Loop: Header=BB8_307 Depth=3
	v_bfe_u32 v5, v4, 16, 1
	s_delay_alu instid0(VALU_DEP_1)
	v_add3_u32 v17, v4, v5, 0x7fff
                                        ; implicit-def: $vgpr4
; %bb.576:                              ;   in Loop: Header=BB8_307 Depth=3
	s_and_not1_saveexec_b32 s14, s14
; %bb.577:                              ;   in Loop: Header=BB8_307 Depth=3
	v_and_b32_e32 v5, 0xffff, v4
	v_or_b32_e32 v8, 0x10000, v4
	s_delay_alu instid0(VALU_DEP_2) | instskip(NEXT) | instid1(VALU_DEP_2)
	v_cmp_eq_u32_e32 vcc_lo, 0, v5
	v_cndmask_b32_e32 v17, v8, v4, vcc_lo
; %bb.578:                              ;   in Loop: Header=BB8_307 Depth=3
	s_or_b32 exec_lo, exec_lo, s14
	v_and_b32_e32 v5, 0xffff0000, v14
	v_and_b32_e32 v4, 0xffff0000, v10
	s_mov_b32 s14, exec_lo
                                        ; implicit-def: $vgpr10
	s_delay_alu instid0(VALU_DEP_2) | instskip(NEXT) | instid1(VALU_DEP_1)
	v_mov_b32_e32 v8, v5
	v_pk_mul_f32 v[8:9], v[8:9], v[4:5]
	s_delay_alu instid0(VALU_DEP_1) | instskip(NEXT) | instid1(VALU_DEP_1)
	v_and_b32_e32 v4, 0x7f800000, v8
	v_cmpx_ne_u32_e32 0x7f800000, v4
	s_xor_b32 s14, exec_lo, s14
; %bb.579:                              ;   in Loop: Header=BB8_307 Depth=3
	v_bfe_u32 v4, v8, 16, 1
	s_delay_alu instid0(VALU_DEP_1)
	v_add3_u32 v10, v8, v4, 0x7fff
                                        ; implicit-def: $vgpr8_vgpr9
; %bb.580:                              ;   in Loop: Header=BB8_307 Depth=3
	s_and_not1_saveexec_b32 s14, s14
; %bb.581:                              ;   in Loop: Header=BB8_307 Depth=3
	v_and_b32_e32 v4, 0xffff, v8
	v_or_b32_e32 v5, 0x10000, v8
	s_delay_alu instid0(VALU_DEP_2) | instskip(NEXT) | instid1(VALU_DEP_2)
	v_cmp_eq_u32_e32 vcc_lo, 0, v4
	v_cndmask_b32_e32 v10, v5, v8, vcc_lo
; %bb.582:                              ;   in Loop: Header=BB8_307 Depth=3
	s_or_b32 exec_lo, exec_lo, s14
	v_lshlrev_b32_e32 v4, 16, v11
	v_lshlrev_b32_e32 v5, 16, v15
	s_delay_alu instid0(VALU_DEP_1) | instskip(NEXT) | instid1(VALU_DEP_1)
	v_mul_f32_e32 v5, v5, v4
	v_and_b32_e32 v4, 0x7f800000, v5
	s_delay_alu instid0(VALU_DEP_1) | instskip(SKIP_1) | instid1(SALU_CYCLE_1)
	v_cmp_ne_u32_e32 vcc_lo, 0x7f800000, v4
                                        ; implicit-def: $vgpr4
	s_and_saveexec_b32 s14, vcc_lo
	s_xor_b32 s14, exec_lo, s14
; %bb.583:                              ;   in Loop: Header=BB8_307 Depth=3
	v_bfe_u32 v4, v5, 16, 1
	s_delay_alu instid0(VALU_DEP_1)
	v_add3_u32 v4, v5, v4, 0x7fff
                                        ; implicit-def: $vgpr5
; %bb.584:                              ;   in Loop: Header=BB8_307 Depth=3
	s_and_not1_saveexec_b32 s14, s14
; %bb.585:                              ;   in Loop: Header=BB8_307 Depth=3
	v_and_b32_e32 v4, 0xffff, v5
	v_or_b32_e32 v8, 0x10000, v5
	s_delay_alu instid0(VALU_DEP_2) | instskip(NEXT) | instid1(VALU_DEP_2)
	v_cmp_eq_u32_e32 vcc_lo, 0, v4
	v_cndmask_b32_e32 v4, v8, v5, vcc_lo
; %bb.586:                              ;   in Loop: Header=BB8_307 Depth=3
	s_or_b32 exec_lo, exec_lo, s14
	v_and_b32_e32 v9, 0xffff0000, v15
	v_and_b32_e32 v8, 0xffff0000, v11
	s_delay_alu instid0(VALU_DEP_2) | instskip(NEXT) | instid1(VALU_DEP_1)
	v_mov_b32_e32 v14, v9
	v_pk_mul_f32 v[8:9], v[14:15], v[8:9]
	s_delay_alu instid0(VALU_DEP_1) | instskip(NEXT) | instid1(VALU_DEP_1)
	v_and_b32_e32 v5, 0x7f800000, v8
	v_cmp_ne_u32_e32 vcc_lo, 0x7f800000, v5
                                        ; implicit-def: $vgpr5
	s_and_saveexec_b32 s14, vcc_lo
	s_delay_alu instid0(SALU_CYCLE_1)
	s_xor_b32 s14, exec_lo, s14
; %bb.587:                              ;   in Loop: Header=BB8_307 Depth=3
	v_bfe_u32 v5, v8, 16, 1
	s_delay_alu instid0(VALU_DEP_1)
	v_add3_u32 v5, v8, v5, 0x7fff
                                        ; implicit-def: $vgpr8_vgpr9
; %bb.588:                              ;   in Loop: Header=BB8_307 Depth=3
	s_and_not1_saveexec_b32 s14, s14
; %bb.589:                              ;   in Loop: Header=BB8_307 Depth=3
	v_and_b32_e32 v5, 0xffff, v8
	v_or_b32_e32 v9, 0x10000, v8
	s_delay_alu instid0(VALU_DEP_2) | instskip(NEXT) | instid1(VALU_DEP_2)
	v_cmp_eq_u32_e32 vcc_lo, 0, v5
	v_cndmask_b32_e32 v5, v9, v8, vcc_lo
; %bb.590:                              ;   in Loop: Header=BB8_307 Depth=3
	s_or_b32 exec_lo, exec_lo, s14
	v_dual_lshrrev_b32 v8, 16, v24 :: v_dual_lshrrev_b32 v9, 16, v26
	v_lshrrev_b32_e32 v11, 16, v25
	v_dual_lshrrev_b32 v14, 16, v17 :: v_dual_lshrrev_b32 v4, 16, v4
	s_delay_alu instid0(VALU_DEP_3) | instskip(SKIP_4) | instid1(VALU_DEP_4)
	v_and_or_b32 v25, 0xffff0000, v21, v8
	v_lshrrev_b32_e32 v8, 16, v22
	v_and_or_b32 v24, 0xffff0000, v20, v9
	v_and_or_b32 v26, 0xffff0000, v18, v11
	v_dual_lshrrev_b32 v9, 16, v16 :: v_dual_lshrrev_b32 v11, 16, v23
	v_and_or_b32 v27, 0xffff0000, v19, v8
	v_and_or_b32 v10, 0xffff0000, v10, v14
	s_delay_alu instid0(VALU_DEP_3) | instskip(NEXT) | instid1(VALU_DEP_4)
	v_and_or_b32 v9, 0xffff0000, v13, v9
	v_and_or_b32 v8, 0xffff0000, v12, v11
	;; [unrolled: 1-line block ×3, first 2 shown]
	s_clause 0x1
	global_store_b128 v[90:91], v[24:27], off th:TH_STORE_NT
	global_store_b128 v[90:91], v[8:11], off offset:512 th:TH_STORE_NT
.LBB8_591:                              ;   in Loop: Header=BB8_307 Depth=3
	s_wait_xcnt 0x0
	s_or_b32 exec_lo, exec_lo, s13
	v_lshlrev_b32_e32 v24, 10, v75
	s_mov_b32 s78, exec_lo
                                        ; implicit-def: $vgpr14
                                        ; implicit-def: $vgpr15
                                        ; implicit-def: $vgpr8
	s_delay_alu instid0(VALU_DEP_1)
	v_cmpx_ne_u32_e64 v73, v24
	s_cbranch_execz .LBB8_706
; %bb.592:                              ;   in Loop: Header=BB8_307 Depth=3
	v_dual_lshlrev_b32 v4, 5, v107 :: v_dual_sub_nc_u32 v10, v73, v24
	s_mov_b32 s15, 0
	s_mov_b32 s79, exec_lo
	s_delay_alu instid0(VALU_DEP_1) | instskip(NEXT) | instid1(VALU_DEP_1)
	v_dual_sub_nc_u32 v4, v0, v4 :: v_dual_ashrrev_i32 v9, 31, v10
	v_ashrrev_i32_e32 v5, 31, v4
	s_delay_alu instid0(VALU_DEP_1) | instskip(NEXT) | instid1(VALU_DEP_1)
	v_lshrrev_b32_e32 v5, 27, v5
	v_add_nc_u32_e32 v5, v4, v5
	s_delay_alu instid0(VALU_DEP_1) | instskip(NEXT) | instid1(VALU_DEP_1)
	v_and_b32_e32 v8, 0xffffffe0, v5
	v_dual_sub_nc_u32 v26, v4, v8 :: v_dual_lshrrev_b32 v4, 23, v9
	s_delay_alu instid0(VALU_DEP_1) | instskip(NEXT) | instid1(VALU_DEP_2)
	v_dual_ashrrev_i32 v5, 5, v5 :: v_dual_lshlrev_b32 v8, 4, v26
	v_add_nc_u32_e32 v4, v10, v4
	s_delay_alu instid0(VALU_DEP_2) | instskip(NEXT) | instid1(VALU_DEP_2)
	v_lshl_add_u32 v11, v5, 9, v8
	v_and_b32_e32 v25, 0xfffffe00, v4
	s_delay_alu instid0(VALU_DEP_2) | instskip(NEXT) | instid1(VALU_DEP_2)
	v_dual_ashrrev_i32 v4, 9, v4 :: v_dual_sub_nc_u32 v33, v10, v11
	v_dual_add_nc_u32 v8, v11, v24 :: v_dual_sub_nc_u32 v27, v10, v25
	s_delay_alu instid0(VALU_DEP_1) | instskip(NEXT) | instid1(VALU_DEP_1)
	v_cmp_lt_i32_e64 s13, 15, v27
	v_add_co_ci_u32_e64 v4, null, 0, v4, s13
	s_delay_alu instid0(VALU_DEP_1) | instskip(NEXT) | instid1(VALU_DEP_1)
	v_dual_ashrrev_i32 v9, 31, v8 :: v_dual_sub_nc_u32 v32, v4, v5
	v_add_nc_u64_e32 v[16:17], v[8:9], v[88:89]
	v_cmpx_lt_i32_e32 15, v33
	s_cbranch_execz .LBB8_669
; %bb.593:                              ;   in Loop: Header=BB8_307 Depth=3
	s_trap 2
	ds_load_b64 v[4:5], v0
	v_add_nc_u64_e32 v[18:19], v[8:9], v[78:79]
	s_mov_b32 s90, 0
	s_mov_b32 s88, 0
                                        ; implicit-def: $sgpr89
	s_wait_dscnt 0x0
	v_add_nc_u64_e32 v[20:21], v[4:5], v[8:9]
	s_branch .LBB8_595
.LBB8_594:                              ;   in Loop: Header=BB8_595 Depth=4
	s_or_b32 exec_lo, exec_lo, s14
	s_delay_alu instid0(VALU_DEP_1) | instskip(SKIP_3) | instid1(SALU_CYCLE_1)
	v_cmp_gt_i32_e32 vcc_lo, 16, v33
	s_or_b32 s88, vcc_lo, s88
	s_and_not1_b32 s14, s89, exec_lo
	s_and_b32 s15, s90, exec_lo
	s_or_b32 s89, s14, s15
	s_and_not1_b32 exec_lo, exec_lo, s88
	s_cbranch_execz .LBB8_668
.LBB8_595:                              ;   Parent Loop BB8_47 Depth=1
                                        ;     Parent Loop BB8_304 Depth=2
                                        ;       Parent Loop BB8_307 Depth=3
                                        ; =>      This Loop Header: Depth=4
                                        ;           Child Loop BB8_596 Depth 5
                                        ;           Child Loop BB8_633 Depth 5
	s_add_co_i32 s14, s33, 0xc0
	s_mov_b64 s[40:41], 0
	s_mov_b32 s91, s14
	s_mov_b32 s92, -1
.LBB8_596:                              ;   Parent Loop BB8_47 Depth=1
                                        ;     Parent Loop BB8_304 Depth=2
                                        ;       Parent Loop BB8_307 Depth=3
                                        ;         Parent Loop BB8_595 Depth=4
                                        ; =>        This Inner Loop Header: Depth=5
	s_cmp_eq_u32 s40, 1
	s_cselect_b32 vcc_lo, -1, 0
	s_cmp_eq_u32 s40, 0
	v_dual_cndmask_b32 v5, v19, v21 :: v_dual_cndmask_b32 v4, v18, v20
	s_cselect_b32 s14, -1, 0
	s_and_b32 s15, exec_lo, s92
	s_mov_b64 s[40:41], 1
	s_mov_b32 s92, 0
	global_load_b128 v[8:11], v[4:5], off th:TH_LOAD_NT
	s_wait_xcnt 0x0
	v_add_nc_u64_e32 v[4:5], 0x200, v[4:5]
	s_delay_alu instid0(VALU_DEP_1)
	v_dual_cndmask_b32 v19, v19, v5, s14 :: v_dual_cndmask_b32 v18, v18, v4, s14
	v_dual_cndmask_b32 v21, v21, v5 :: v_dual_cndmask_b32 v20, v20, v4
	s_mov_b32 vcc_lo, s15
	s_wait_loadcnt 0x0
	scratch_store_b128 off, v[8:11], s91
	s_wait_xcnt 0x0
	s_mov_b32 s91, s56
	s_cbranch_vccnz .LBB8_596
; %bb.597:                              ;   in Loop: Header=BB8_595 Depth=4
	s_and_saveexec_b32 s14, s90
	s_cbranch_execz .LBB8_631
; %bb.598:                              ;   in Loop: Header=BB8_595 Depth=4
	s_clause 0x1
	scratch_load_b128 v[8:11], off, s33 offset:224
	scratch_load_b128 v[12:15], off, s33 offset:240
	s_mov_b32 s15, exec_lo
                                        ; implicit-def: $vgpr34
	s_wait_loadcnt 0x1
	v_lshlrev_b32_e32 v4, 16, v8
	s_wait_loadcnt 0x0
	v_lshlrev_b32_e32 v5, 16, v12
	s_delay_alu instid0(VALU_DEP_1) | instskip(NEXT) | instid1(VALU_DEP_1)
	v_mul_f32_e32 v4, v4, v5
	v_and_b32_e32 v5, 0x7f800000, v4
	s_wait_xcnt 0x0
	s_delay_alu instid0(VALU_DEP_1)
	v_cmpx_ne_u32_e32 0x7f800000, v5
	s_xor_b32 s15, exec_lo, s15
; %bb.599:                              ;   in Loop: Header=BB8_595 Depth=4
	v_bfe_u32 v5, v4, 16, 1
	s_delay_alu instid0(VALU_DEP_1)
	v_add3_u32 v34, v4, v5, 0x7fff
                                        ; implicit-def: $vgpr4
; %bb.600:                              ;   in Loop: Header=BB8_595 Depth=4
	s_and_not1_saveexec_b32 s15, s15
; %bb.601:                              ;   in Loop: Header=BB8_595 Depth=4
	v_and_b32_e32 v5, 0xffff, v4
	v_or_b32_e32 v22, 0x10000, v4
	s_delay_alu instid0(VALU_DEP_2) | instskip(NEXT) | instid1(VALU_DEP_2)
	v_cmp_eq_u32_e32 vcc_lo, 0, v5
	v_cndmask_b32_e32 v34, v22, v4, vcc_lo
; %bb.602:                              ;   in Loop: Header=BB8_595 Depth=4
	s_or_b32 exec_lo, exec_lo, s15
	v_and_b32_e32 v5, 0xffff0000, v12
	v_and_b32_e32 v4, 0xffff0000, v8
	s_mov_b32 s15, exec_lo
                                        ; implicit-def: $vgpr12
	s_delay_alu instid0(VALU_DEP_2) | instskip(NEXT) | instid1(VALU_DEP_1)
	v_mov_b32_e32 v8, v5
	v_pk_mul_f32 v[22:23], v[8:9], v[4:5]
	s_delay_alu instid0(VALU_DEP_1) | instskip(NEXT) | instid1(VALU_DEP_1)
	v_and_b32_e32 v4, 0x7f800000, v22
	v_cmpx_ne_u32_e32 0x7f800000, v4
	s_xor_b32 s15, exec_lo, s15
; %bb.603:                              ;   in Loop: Header=BB8_595 Depth=4
	v_bfe_u32 v4, v22, 16, 1
	s_delay_alu instid0(VALU_DEP_1)
	v_add3_u32 v12, v22, v4, 0x7fff
                                        ; implicit-def: $vgpr22_vgpr23
; %bb.604:                              ;   in Loop: Header=BB8_595 Depth=4
	s_and_not1_saveexec_b32 s15, s15
; %bb.605:                              ;   in Loop: Header=BB8_595 Depth=4
	v_and_b32_e32 v4, 0xffff, v22
	v_or_b32_e32 v5, 0x10000, v22
	s_delay_alu instid0(VALU_DEP_2) | instskip(NEXT) | instid1(VALU_DEP_2)
	v_cmp_eq_u32_e32 vcc_lo, 0, v4
	v_cndmask_b32_e32 v12, v5, v22, vcc_lo
; %bb.606:                              ;   in Loop: Header=BB8_595 Depth=4
	s_or_b32 exec_lo, exec_lo, s15
	v_lshlrev_b32_e32 v4, 16, v9
	v_lshlrev_b32_e32 v5, 16, v13
	s_mov_b32 s15, exec_lo
                                        ; implicit-def: $vgpr22
	s_delay_alu instid0(VALU_DEP_1) | instskip(NEXT) | instid1(VALU_DEP_1)
	v_mul_f32_e32 v4, v5, v4
	v_and_b32_e32 v5, 0x7f800000, v4
	s_delay_alu instid0(VALU_DEP_1)
	v_cmpx_ne_u32_e32 0x7f800000, v5
	s_xor_b32 s15, exec_lo, s15
; %bb.607:                              ;   in Loop: Header=BB8_595 Depth=4
	v_bfe_u32 v5, v4, 16, 1
	s_delay_alu instid0(VALU_DEP_1)
	v_add3_u32 v22, v4, v5, 0x7fff
                                        ; implicit-def: $vgpr4
; %bb.608:                              ;   in Loop: Header=BB8_595 Depth=4
	s_and_not1_saveexec_b32 s15, s15
; %bb.609:                              ;   in Loop: Header=BB8_595 Depth=4
	v_and_b32_e32 v5, 0xffff, v4
	v_or_b32_e32 v8, 0x10000, v4
	s_delay_alu instid0(VALU_DEP_2) | instskip(NEXT) | instid1(VALU_DEP_2)
	v_cmp_eq_u32_e32 vcc_lo, 0, v5
	v_cndmask_b32_e32 v22, v8, v4, vcc_lo
; %bb.610:                              ;   in Loop: Header=BB8_595 Depth=4
	s_or_b32 exec_lo, exec_lo, s15
	v_and_b32_e32 v5, 0xffff0000, v13
	v_and_b32_e32 v4, 0xffff0000, v9
	s_mov_b32 s15, exec_lo
                                        ; implicit-def: $vgpr13
	s_delay_alu instid0(VALU_DEP_2) | instskip(NEXT) | instid1(VALU_DEP_1)
	v_mov_b32_e32 v8, v5
	v_pk_mul_f32 v[8:9], v[8:9], v[4:5]
	s_delay_alu instid0(VALU_DEP_1) | instskip(NEXT) | instid1(VALU_DEP_1)
	v_and_b32_e32 v4, 0x7f800000, v8
	v_cmpx_ne_u32_e32 0x7f800000, v4
	s_xor_b32 s15, exec_lo, s15
; %bb.611:                              ;   in Loop: Header=BB8_595 Depth=4
	v_bfe_u32 v4, v8, 16, 1
	s_delay_alu instid0(VALU_DEP_1)
	v_add3_u32 v13, v8, v4, 0x7fff
                                        ; implicit-def: $vgpr8_vgpr9
; %bb.612:                              ;   in Loop: Header=BB8_595 Depth=4
	s_and_not1_saveexec_b32 s15, s15
; %bb.613:                              ;   in Loop: Header=BB8_595 Depth=4
	v_and_b32_e32 v4, 0xffff, v8
	v_or_b32_e32 v5, 0x10000, v8
	s_delay_alu instid0(VALU_DEP_2) | instskip(NEXT) | instid1(VALU_DEP_2)
	v_cmp_eq_u32_e32 vcc_lo, 0, v4
	v_cndmask_b32_e32 v13, v5, v8, vcc_lo
; %bb.614:                              ;   in Loop: Header=BB8_595 Depth=4
	s_or_b32 exec_lo, exec_lo, s15
	v_lshlrev_b32_e32 v4, 16, v10
	v_lshlrev_b32_e32 v5, 16, v14
	s_mov_b32 s15, exec_lo
                                        ; implicit-def: $vgpr23
	s_delay_alu instid0(VALU_DEP_1) | instskip(NEXT) | instid1(VALU_DEP_1)
	v_mul_f32_e32 v4, v5, v4
	v_and_b32_e32 v5, 0x7f800000, v4
	s_delay_alu instid0(VALU_DEP_1)
	v_cmpx_ne_u32_e32 0x7f800000, v5
	s_xor_b32 s15, exec_lo, s15
; %bb.615:                              ;   in Loop: Header=BB8_595 Depth=4
	v_bfe_u32 v5, v4, 16, 1
	s_delay_alu instid0(VALU_DEP_1)
	v_add3_u32 v23, v4, v5, 0x7fff
                                        ; implicit-def: $vgpr4
; %bb.616:                              ;   in Loop: Header=BB8_595 Depth=4
	s_and_not1_saveexec_b32 s15, s15
; %bb.617:                              ;   in Loop: Header=BB8_595 Depth=4
	v_and_b32_e32 v5, 0xffff, v4
	v_or_b32_e32 v8, 0x10000, v4
	s_delay_alu instid0(VALU_DEP_2) | instskip(NEXT) | instid1(VALU_DEP_2)
	v_cmp_eq_u32_e32 vcc_lo, 0, v5
	v_cndmask_b32_e32 v23, v8, v4, vcc_lo
; %bb.618:                              ;   in Loop: Header=BB8_595 Depth=4
	s_or_b32 exec_lo, exec_lo, s15
	v_and_b32_e32 v5, 0xffff0000, v14
	v_and_b32_e32 v4, 0xffff0000, v10
	s_mov_b32 s15, exec_lo
                                        ; implicit-def: $vgpr10
	s_delay_alu instid0(VALU_DEP_2) | instskip(NEXT) | instid1(VALU_DEP_1)
	v_mov_b32_e32 v8, v5
	v_pk_mul_f32 v[8:9], v[8:9], v[4:5]
	s_delay_alu instid0(VALU_DEP_1) | instskip(NEXT) | instid1(VALU_DEP_1)
	v_and_b32_e32 v4, 0x7f800000, v8
	v_cmpx_ne_u32_e32 0x7f800000, v4
	s_xor_b32 s15, exec_lo, s15
; %bb.619:                              ;   in Loop: Header=BB8_595 Depth=4
	v_bfe_u32 v4, v8, 16, 1
	s_delay_alu instid0(VALU_DEP_1)
	v_add3_u32 v10, v8, v4, 0x7fff
                                        ; implicit-def: $vgpr8_vgpr9
; %bb.620:                              ;   in Loop: Header=BB8_595 Depth=4
	s_and_not1_saveexec_b32 s15, s15
; %bb.621:                              ;   in Loop: Header=BB8_595 Depth=4
	v_and_b32_e32 v4, 0xffff, v8
	v_or_b32_e32 v5, 0x10000, v8
	s_delay_alu instid0(VALU_DEP_2) | instskip(NEXT) | instid1(VALU_DEP_2)
	v_cmp_eq_u32_e32 vcc_lo, 0, v4
	v_cndmask_b32_e32 v10, v5, v8, vcc_lo
; %bb.622:                              ;   in Loop: Header=BB8_595 Depth=4
	s_or_b32 exec_lo, exec_lo, s15
	v_lshlrev_b32_e32 v4, 16, v11
	v_lshlrev_b32_e32 v5, 16, v15
	s_delay_alu instid0(VALU_DEP_1) | instskip(NEXT) | instid1(VALU_DEP_1)
	v_mul_f32_e32 v5, v5, v4
	v_and_b32_e32 v4, 0x7f800000, v5
	s_delay_alu instid0(VALU_DEP_1) | instskip(SKIP_1) | instid1(SALU_CYCLE_1)
	v_cmp_ne_u32_e32 vcc_lo, 0x7f800000, v4
                                        ; implicit-def: $vgpr4
	s_and_saveexec_b32 s15, vcc_lo
	s_xor_b32 s15, exec_lo, s15
; %bb.623:                              ;   in Loop: Header=BB8_595 Depth=4
	v_bfe_u32 v4, v5, 16, 1
	s_delay_alu instid0(VALU_DEP_1)
	v_add3_u32 v4, v5, v4, 0x7fff
                                        ; implicit-def: $vgpr5
; %bb.624:                              ;   in Loop: Header=BB8_595 Depth=4
	s_and_not1_saveexec_b32 s15, s15
; %bb.625:                              ;   in Loop: Header=BB8_595 Depth=4
	v_and_b32_e32 v4, 0xffff, v5
	v_or_b32_e32 v8, 0x10000, v5
	s_delay_alu instid0(VALU_DEP_2) | instskip(NEXT) | instid1(VALU_DEP_2)
	v_cmp_eq_u32_e32 vcc_lo, 0, v4
	v_cndmask_b32_e32 v4, v8, v5, vcc_lo
; %bb.626:                              ;   in Loop: Header=BB8_595 Depth=4
	s_or_b32 exec_lo, exec_lo, s15
	v_and_b32_e32 v9, 0xffff0000, v15
	v_and_b32_e32 v8, 0xffff0000, v11
	s_delay_alu instid0(VALU_DEP_2) | instskip(NEXT) | instid1(VALU_DEP_1)
	v_mov_b32_e32 v14, v9
	v_pk_mul_f32 v[8:9], v[14:15], v[8:9]
	s_delay_alu instid0(VALU_DEP_1) | instskip(NEXT) | instid1(VALU_DEP_1)
	v_and_b32_e32 v5, 0x7f800000, v8
	v_cmp_ne_u32_e32 vcc_lo, 0x7f800000, v5
                                        ; implicit-def: $vgpr5
	s_and_saveexec_b32 s15, vcc_lo
	s_delay_alu instid0(SALU_CYCLE_1)
	s_xor_b32 s15, exec_lo, s15
; %bb.627:                              ;   in Loop: Header=BB8_595 Depth=4
	v_bfe_u32 v5, v8, 16, 1
	s_delay_alu instid0(VALU_DEP_1)
	v_add3_u32 v5, v8, v5, 0x7fff
                                        ; implicit-def: $vgpr8_vgpr9
; %bb.628:                              ;   in Loop: Header=BB8_595 Depth=4
	s_and_not1_saveexec_b32 s15, s15
; %bb.629:                              ;   in Loop: Header=BB8_595 Depth=4
	v_and_b32_e32 v5, 0xffff, v8
	v_or_b32_e32 v9, 0x10000, v8
	s_delay_alu instid0(VALU_DEP_2) | instskip(NEXT) | instid1(VALU_DEP_2)
	v_cmp_eq_u32_e32 vcc_lo, 0, v5
	v_cndmask_b32_e32 v5, v9, v8, vcc_lo
; %bb.630:                              ;   in Loop: Header=BB8_595 Depth=4
	s_or_b32 exec_lo, exec_lo, s15
	v_dual_lshrrev_b32 v8, 16, v22 :: v_dual_lshrrev_b32 v14, 16, v23
	v_dual_lshrrev_b32 v11, 16, v34 :: v_dual_lshrrev_b32 v4, 16, v4
	s_delay_alu instid0(VALU_DEP_2) | instskip(NEXT) | instid1(VALU_DEP_3)
	v_and_or_b32 v9, 0xffff0000, v13, v8
	v_and_or_b32 v10, 0xffff0000, v10, v14
	s_delay_alu instid0(VALU_DEP_3) | instskip(NEXT) | instid1(VALU_DEP_4)
	v_and_or_b32 v8, 0xffff0000, v12, v11
	v_and_or_b32 v11, 0xffff0000, v5, v4
	global_store_b128 v[16:17], v[8:11], off th:TH_STORE_NT
	s_wait_xcnt 0x0
	v_add_nc_u64_e32 v[16:17], v[40:41], v[16:17]
	scratch_store_b128 off, v[8:11], s33 offset:224
.LBB8_631:                              ;   in Loop: Header=BB8_595 Depth=4
	s_wait_xcnt 0x0
	s_or_b32 exec_lo, exec_lo, s14
	v_sub_nc_u32_e32 v33, v33, v122
	v_add_nc_u64_e32 v[18:19], v[18:19], v[112:113]
	v_add_nc_u64_e32 v[20:21], v[20:21], v[112:113]
	s_delay_alu instid0(VALU_DEP_3)
	v_cmp_lt_i32_e64 s90, 15, v33
	s_and_saveexec_b32 s91, s90
	s_cbranch_execz .LBB8_634
; %bb.632:                              ;   in Loop: Header=BB8_595 Depth=4
	s_add_co_i32 s14, s33, 0xe0
	s_mov_b64 s[40:41], 0
	s_mov_b32 s92, s14
	s_mov_b32 s93, -1
.LBB8_633:                              ;   Parent Loop BB8_47 Depth=1
                                        ;     Parent Loop BB8_304 Depth=2
                                        ;       Parent Loop BB8_307 Depth=3
                                        ;         Parent Loop BB8_595 Depth=4
                                        ; =>        This Inner Loop Header: Depth=5
	s_cmp_eq_u32 s40, 1
	s_cselect_b32 vcc_lo, -1, 0
	s_cmp_eq_u32 s40, 0
	v_dual_cndmask_b32 v5, v19, v21 :: v_dual_cndmask_b32 v4, v18, v20
	s_cselect_b32 s14, -1, 0
	s_and_b32 s15, exec_lo, s93
	s_mov_b64 s[40:41], 1
	s_mov_b32 s93, 0
	global_load_b128 v[8:11], v[4:5], off th:TH_LOAD_NT
	s_wait_xcnt 0x0
	v_add_nc_u64_e32 v[4:5], 0x200, v[4:5]
	s_delay_alu instid0(VALU_DEP_1)
	v_dual_cndmask_b32 v19, v19, v5, s14 :: v_dual_cndmask_b32 v18, v18, v4, s14
	v_dual_cndmask_b32 v21, v21, v5 :: v_dual_cndmask_b32 v20, v20, v4
	s_mov_b32 vcc_lo, s15
	s_wait_loadcnt 0x0
	scratch_store_b128 off, v[8:11], s92
	s_wait_xcnt 0x0
	s_mov_b32 s92, s47
	s_cbranch_vccnz .LBB8_633
.LBB8_634:                              ;   in Loop: Header=BB8_595 Depth=4
	s_or_b32 exec_lo, exec_lo, s91
	s_clause 0x1
	scratch_load_b128 v[8:11], off, s33 offset:192
	scratch_load_b128 v[12:15], off, s33 offset:208
	s_mov_b32 s14, exec_lo
                                        ; implicit-def: $vgpr34
	s_wait_loadcnt 0x1
	v_lshlrev_b32_e32 v4, 16, v8
	s_wait_loadcnt 0x0
	v_lshlrev_b32_e32 v5, 16, v12
	s_delay_alu instid0(VALU_DEP_1) | instskip(NEXT) | instid1(VALU_DEP_1)
	v_mul_f32_e32 v4, v4, v5
	v_and_b32_e32 v5, 0x7f800000, v4
	s_wait_xcnt 0x0
	s_delay_alu instid0(VALU_DEP_1)
	v_cmpx_ne_u32_e32 0x7f800000, v5
	s_xor_b32 s14, exec_lo, s14
; %bb.635:                              ;   in Loop: Header=BB8_595 Depth=4
	v_bfe_u32 v5, v4, 16, 1
	s_delay_alu instid0(VALU_DEP_1)
	v_add3_u32 v34, v4, v5, 0x7fff
                                        ; implicit-def: $vgpr4
; %bb.636:                              ;   in Loop: Header=BB8_595 Depth=4
	s_and_not1_saveexec_b32 s14, s14
; %bb.637:                              ;   in Loop: Header=BB8_595 Depth=4
	v_and_b32_e32 v5, 0xffff, v4
	v_or_b32_e32 v22, 0x10000, v4
	s_delay_alu instid0(VALU_DEP_2) | instskip(NEXT) | instid1(VALU_DEP_2)
	v_cmp_eq_u32_e32 vcc_lo, 0, v5
	v_cndmask_b32_e32 v34, v22, v4, vcc_lo
; %bb.638:                              ;   in Loop: Header=BB8_595 Depth=4
	s_or_b32 exec_lo, exec_lo, s14
	v_and_b32_e32 v5, 0xffff0000, v12
	v_and_b32_e32 v4, 0xffff0000, v8
	s_mov_b32 s14, exec_lo
                                        ; implicit-def: $vgpr12
	s_delay_alu instid0(VALU_DEP_2) | instskip(NEXT) | instid1(VALU_DEP_1)
	v_mov_b32_e32 v8, v5
	v_pk_mul_f32 v[22:23], v[8:9], v[4:5]
	s_delay_alu instid0(VALU_DEP_1) | instskip(NEXT) | instid1(VALU_DEP_1)
	v_and_b32_e32 v4, 0x7f800000, v22
	v_cmpx_ne_u32_e32 0x7f800000, v4
	s_xor_b32 s14, exec_lo, s14
; %bb.639:                              ;   in Loop: Header=BB8_595 Depth=4
	v_bfe_u32 v4, v22, 16, 1
	s_delay_alu instid0(VALU_DEP_1)
	v_add3_u32 v12, v22, v4, 0x7fff
                                        ; implicit-def: $vgpr22_vgpr23
; %bb.640:                              ;   in Loop: Header=BB8_595 Depth=4
	s_and_not1_saveexec_b32 s14, s14
; %bb.641:                              ;   in Loop: Header=BB8_595 Depth=4
	v_and_b32_e32 v4, 0xffff, v22
	v_or_b32_e32 v5, 0x10000, v22
	s_delay_alu instid0(VALU_DEP_2) | instskip(NEXT) | instid1(VALU_DEP_2)
	v_cmp_eq_u32_e32 vcc_lo, 0, v4
	v_cndmask_b32_e32 v12, v5, v22, vcc_lo
; %bb.642:                              ;   in Loop: Header=BB8_595 Depth=4
	s_or_b32 exec_lo, exec_lo, s14
	v_lshlrev_b32_e32 v4, 16, v9
	v_lshlrev_b32_e32 v5, 16, v13
	s_mov_b32 s14, exec_lo
                                        ; implicit-def: $vgpr22
	s_delay_alu instid0(VALU_DEP_1) | instskip(NEXT) | instid1(VALU_DEP_1)
	v_mul_f32_e32 v4, v5, v4
	v_and_b32_e32 v5, 0x7f800000, v4
	s_delay_alu instid0(VALU_DEP_1)
	v_cmpx_ne_u32_e32 0x7f800000, v5
	s_xor_b32 s14, exec_lo, s14
; %bb.643:                              ;   in Loop: Header=BB8_595 Depth=4
	v_bfe_u32 v5, v4, 16, 1
	s_delay_alu instid0(VALU_DEP_1)
	v_add3_u32 v22, v4, v5, 0x7fff
                                        ; implicit-def: $vgpr4
; %bb.644:                              ;   in Loop: Header=BB8_595 Depth=4
	s_and_not1_saveexec_b32 s14, s14
; %bb.645:                              ;   in Loop: Header=BB8_595 Depth=4
	v_and_b32_e32 v5, 0xffff, v4
	v_or_b32_e32 v8, 0x10000, v4
	s_delay_alu instid0(VALU_DEP_2) | instskip(NEXT) | instid1(VALU_DEP_2)
	v_cmp_eq_u32_e32 vcc_lo, 0, v5
	v_cndmask_b32_e32 v22, v8, v4, vcc_lo
; %bb.646:                              ;   in Loop: Header=BB8_595 Depth=4
	s_or_b32 exec_lo, exec_lo, s14
	v_and_b32_e32 v5, 0xffff0000, v13
	v_and_b32_e32 v4, 0xffff0000, v9
	s_mov_b32 s14, exec_lo
                                        ; implicit-def: $vgpr13
	s_delay_alu instid0(VALU_DEP_2) | instskip(NEXT) | instid1(VALU_DEP_1)
	v_mov_b32_e32 v8, v5
	v_pk_mul_f32 v[8:9], v[8:9], v[4:5]
	s_delay_alu instid0(VALU_DEP_1) | instskip(NEXT) | instid1(VALU_DEP_1)
	v_and_b32_e32 v4, 0x7f800000, v8
	v_cmpx_ne_u32_e32 0x7f800000, v4
	s_xor_b32 s14, exec_lo, s14
; %bb.647:                              ;   in Loop: Header=BB8_595 Depth=4
	v_bfe_u32 v4, v8, 16, 1
	s_delay_alu instid0(VALU_DEP_1)
	v_add3_u32 v13, v8, v4, 0x7fff
                                        ; implicit-def: $vgpr8_vgpr9
; %bb.648:                              ;   in Loop: Header=BB8_595 Depth=4
	s_and_not1_saveexec_b32 s14, s14
; %bb.649:                              ;   in Loop: Header=BB8_595 Depth=4
	v_and_b32_e32 v4, 0xffff, v8
	v_or_b32_e32 v5, 0x10000, v8
	s_delay_alu instid0(VALU_DEP_2) | instskip(NEXT) | instid1(VALU_DEP_2)
	v_cmp_eq_u32_e32 vcc_lo, 0, v4
	v_cndmask_b32_e32 v13, v5, v8, vcc_lo
; %bb.650:                              ;   in Loop: Header=BB8_595 Depth=4
	s_or_b32 exec_lo, exec_lo, s14
	v_lshlrev_b32_e32 v4, 16, v10
	v_lshlrev_b32_e32 v5, 16, v14
	s_mov_b32 s14, exec_lo
                                        ; implicit-def: $vgpr23
	s_delay_alu instid0(VALU_DEP_1) | instskip(NEXT) | instid1(VALU_DEP_1)
	v_mul_f32_e32 v4, v5, v4
	v_and_b32_e32 v5, 0x7f800000, v4
	s_delay_alu instid0(VALU_DEP_1)
	v_cmpx_ne_u32_e32 0x7f800000, v5
	s_xor_b32 s14, exec_lo, s14
; %bb.651:                              ;   in Loop: Header=BB8_595 Depth=4
	v_bfe_u32 v5, v4, 16, 1
	s_delay_alu instid0(VALU_DEP_1)
	v_add3_u32 v23, v4, v5, 0x7fff
                                        ; implicit-def: $vgpr4
; %bb.652:                              ;   in Loop: Header=BB8_595 Depth=4
	s_and_not1_saveexec_b32 s14, s14
; %bb.653:                              ;   in Loop: Header=BB8_595 Depth=4
	v_and_b32_e32 v5, 0xffff, v4
	v_or_b32_e32 v8, 0x10000, v4
	s_delay_alu instid0(VALU_DEP_2) | instskip(NEXT) | instid1(VALU_DEP_2)
	v_cmp_eq_u32_e32 vcc_lo, 0, v5
	v_cndmask_b32_e32 v23, v8, v4, vcc_lo
; %bb.654:                              ;   in Loop: Header=BB8_595 Depth=4
	s_or_b32 exec_lo, exec_lo, s14
	v_and_b32_e32 v5, 0xffff0000, v14
	v_and_b32_e32 v4, 0xffff0000, v10
	s_mov_b32 s14, exec_lo
                                        ; implicit-def: $vgpr10
	s_delay_alu instid0(VALU_DEP_2) | instskip(NEXT) | instid1(VALU_DEP_1)
	v_mov_b32_e32 v8, v5
	v_pk_mul_f32 v[8:9], v[8:9], v[4:5]
	s_delay_alu instid0(VALU_DEP_1) | instskip(NEXT) | instid1(VALU_DEP_1)
	v_and_b32_e32 v4, 0x7f800000, v8
	v_cmpx_ne_u32_e32 0x7f800000, v4
	s_xor_b32 s14, exec_lo, s14
; %bb.655:                              ;   in Loop: Header=BB8_595 Depth=4
	v_bfe_u32 v4, v8, 16, 1
	s_delay_alu instid0(VALU_DEP_1)
	v_add3_u32 v10, v8, v4, 0x7fff
                                        ; implicit-def: $vgpr8_vgpr9
; %bb.656:                              ;   in Loop: Header=BB8_595 Depth=4
	s_and_not1_saveexec_b32 s14, s14
; %bb.657:                              ;   in Loop: Header=BB8_595 Depth=4
	v_and_b32_e32 v4, 0xffff, v8
	v_or_b32_e32 v5, 0x10000, v8
	s_delay_alu instid0(VALU_DEP_2) | instskip(NEXT) | instid1(VALU_DEP_2)
	v_cmp_eq_u32_e32 vcc_lo, 0, v4
	v_cndmask_b32_e32 v10, v5, v8, vcc_lo
; %bb.658:                              ;   in Loop: Header=BB8_595 Depth=4
	s_or_b32 exec_lo, exec_lo, s14
	v_lshlrev_b32_e32 v4, 16, v11
	v_lshlrev_b32_e32 v5, 16, v15
	s_delay_alu instid0(VALU_DEP_1) | instskip(NEXT) | instid1(VALU_DEP_1)
	v_mul_f32_e32 v5, v5, v4
	v_and_b32_e32 v4, 0x7f800000, v5
	s_delay_alu instid0(VALU_DEP_1) | instskip(SKIP_1) | instid1(SALU_CYCLE_1)
	v_cmp_ne_u32_e32 vcc_lo, 0x7f800000, v4
                                        ; implicit-def: $vgpr4
	s_and_saveexec_b32 s14, vcc_lo
	s_xor_b32 s14, exec_lo, s14
; %bb.659:                              ;   in Loop: Header=BB8_595 Depth=4
	v_bfe_u32 v4, v5, 16, 1
	s_delay_alu instid0(VALU_DEP_1)
	v_add3_u32 v4, v5, v4, 0x7fff
                                        ; implicit-def: $vgpr5
; %bb.660:                              ;   in Loop: Header=BB8_595 Depth=4
	s_and_not1_saveexec_b32 s14, s14
; %bb.661:                              ;   in Loop: Header=BB8_595 Depth=4
	v_and_b32_e32 v4, 0xffff, v5
	v_or_b32_e32 v8, 0x10000, v5
	s_delay_alu instid0(VALU_DEP_2) | instskip(NEXT) | instid1(VALU_DEP_2)
	v_cmp_eq_u32_e32 vcc_lo, 0, v4
	v_cndmask_b32_e32 v4, v8, v5, vcc_lo
; %bb.662:                              ;   in Loop: Header=BB8_595 Depth=4
	s_or_b32 exec_lo, exec_lo, s14
	v_and_b32_e32 v9, 0xffff0000, v15
	v_and_b32_e32 v8, 0xffff0000, v11
	s_delay_alu instid0(VALU_DEP_2) | instskip(NEXT) | instid1(VALU_DEP_1)
	v_mov_b32_e32 v14, v9
	v_pk_mul_f32 v[8:9], v[14:15], v[8:9]
	s_delay_alu instid0(VALU_DEP_1) | instskip(NEXT) | instid1(VALU_DEP_1)
	v_and_b32_e32 v5, 0x7f800000, v8
	v_cmp_ne_u32_e32 vcc_lo, 0x7f800000, v5
                                        ; implicit-def: $vgpr5
	s_and_saveexec_b32 s14, vcc_lo
	s_delay_alu instid0(SALU_CYCLE_1)
	s_xor_b32 s14, exec_lo, s14
; %bb.663:                              ;   in Loop: Header=BB8_595 Depth=4
	v_bfe_u32 v5, v8, 16, 1
	s_delay_alu instid0(VALU_DEP_1)
	v_add3_u32 v5, v8, v5, 0x7fff
                                        ; implicit-def: $vgpr8_vgpr9
; %bb.664:                              ;   in Loop: Header=BB8_595 Depth=4
	s_and_not1_saveexec_b32 s14, s14
; %bb.665:                              ;   in Loop: Header=BB8_595 Depth=4
	v_and_b32_e32 v5, 0xffff, v8
	v_or_b32_e32 v9, 0x10000, v8
	s_delay_alu instid0(VALU_DEP_2) | instskip(NEXT) | instid1(VALU_DEP_2)
	v_cmp_eq_u32_e32 vcc_lo, 0, v5
	v_cndmask_b32_e32 v5, v9, v8, vcc_lo
; %bb.666:                              ;   in Loop: Header=BB8_595 Depth=4
	s_or_b32 exec_lo, exec_lo, s14
	v_dual_lshrrev_b32 v8, 16, v22 :: v_dual_lshrrev_b32 v14, 16, v23
	v_dual_lshrrev_b32 v11, 16, v34 :: v_dual_lshrrev_b32 v4, 16, v4
	v_sub_nc_u32_e32 v32, v32, v84
	s_delay_alu instid0(VALU_DEP_3) | instskip(NEXT) | instid1(VALU_DEP_4)
	v_and_or_b32 v9, 0xffff0000, v13, v8
	v_and_or_b32 v10, 0xffff0000, v10, v14
	s_delay_alu instid0(VALU_DEP_4)
	v_and_or_b32 v8, 0xffff0000, v12, v11
	v_and_or_b32 v11, 0xffff0000, v5, v4
	global_store_b128 v[16:17], v[8:11], off th:TH_STORE_NT
	s_wait_xcnt 0x0
	v_add_nc_u64_e32 v[16:17], 0x200, v[16:17]
	scratch_store_b128 off, v[8:11], s33 offset:192
	s_wait_xcnt 0x0
	s_and_saveexec_b32 s14, s90
	s_cbranch_execz .LBB8_594
; %bb.667:                              ;   in Loop: Header=BB8_595 Depth=4
	v_add_nc_u64_e32 v[18:19], v[18:19], v[112:113]
	v_add_nc_u64_e32 v[20:21], v[20:21], v[112:113]
	;; [unrolled: 1-line block ×3, first 2 shown]
	v_dual_sub_nc_u32 v33, v33, v122 :: v_dual_sub_nc_u32 v32, v32, v84
	s_branch .LBB8_594
.LBB8_668:                              ;   in Loop: Header=BB8_307 Depth=3
	s_or_b32 exec_lo, exec_lo, s88
	s_delay_alu instid0(SALU_CYCLE_1)
	s_and_b32 s15, s89, exec_lo
.LBB8_669:                              ;   in Loop: Header=BB8_307 Depth=3
	s_or_b32 exec_lo, exec_lo, s79
	s_and_saveexec_b32 s14, s15
	s_cbranch_execz .LBB8_703
; %bb.670:                              ;   in Loop: Header=BB8_307 Depth=3
	s_clause 0x1
	scratch_load_b128 v[8:11], off, s33 offset:224
	scratch_load_b128 v[12:15], off, s33 offset:240
	s_mov_b32 s15, exec_lo
                                        ; implicit-def: $vgpr20
	s_wait_loadcnt 0x1
	v_lshlrev_b32_e32 v4, 16, v8
	s_wait_loadcnt 0x0
	v_lshlrev_b32_e32 v5, 16, v12
	s_delay_alu instid0(VALU_DEP_1) | instskip(NEXT) | instid1(VALU_DEP_1)
	v_mul_f32_e32 v4, v4, v5
	v_and_b32_e32 v5, 0x7f800000, v4
	s_wait_xcnt 0x0
	s_delay_alu instid0(VALU_DEP_1)
	v_cmpx_ne_u32_e32 0x7f800000, v5
	s_xor_b32 s15, exec_lo, s15
; %bb.671:                              ;   in Loop: Header=BB8_307 Depth=3
	v_bfe_u32 v5, v4, 16, 1
	s_delay_alu instid0(VALU_DEP_1)
	v_add3_u32 v20, v4, v5, 0x7fff
                                        ; implicit-def: $vgpr4
; %bb.672:                              ;   in Loop: Header=BB8_307 Depth=3
	s_and_not1_saveexec_b32 s15, s15
; %bb.673:                              ;   in Loop: Header=BB8_307 Depth=3
	v_and_b32_e32 v5, 0xffff, v4
	v_or_b32_e32 v18, 0x10000, v4
	s_delay_alu instid0(VALU_DEP_2) | instskip(NEXT) | instid1(VALU_DEP_2)
	v_cmp_eq_u32_e32 vcc_lo, 0, v5
	v_cndmask_b32_e32 v20, v18, v4, vcc_lo
; %bb.674:                              ;   in Loop: Header=BB8_307 Depth=3
	s_or_b32 exec_lo, exec_lo, s15
	v_and_b32_e32 v5, 0xffff0000, v12
	v_and_b32_e32 v4, 0xffff0000, v8
	s_mov_b32 s15, exec_lo
                                        ; implicit-def: $vgpr12
	s_delay_alu instid0(VALU_DEP_2) | instskip(NEXT) | instid1(VALU_DEP_1)
	v_mov_b32_e32 v8, v5
	v_pk_mul_f32 v[18:19], v[8:9], v[4:5]
	s_delay_alu instid0(VALU_DEP_1) | instskip(NEXT) | instid1(VALU_DEP_1)
	v_and_b32_e32 v4, 0x7f800000, v18
	v_cmpx_ne_u32_e32 0x7f800000, v4
	s_xor_b32 s15, exec_lo, s15
; %bb.675:                              ;   in Loop: Header=BB8_307 Depth=3
	v_bfe_u32 v4, v18, 16, 1
	s_delay_alu instid0(VALU_DEP_1)
	v_add3_u32 v12, v18, v4, 0x7fff
                                        ; implicit-def: $vgpr18_vgpr19
; %bb.676:                              ;   in Loop: Header=BB8_307 Depth=3
	s_and_not1_saveexec_b32 s15, s15
; %bb.677:                              ;   in Loop: Header=BB8_307 Depth=3
	v_and_b32_e32 v4, 0xffff, v18
	v_or_b32_e32 v5, 0x10000, v18
	s_delay_alu instid0(VALU_DEP_2) | instskip(NEXT) | instid1(VALU_DEP_2)
	v_cmp_eq_u32_e32 vcc_lo, 0, v4
	v_cndmask_b32_e32 v12, v5, v18, vcc_lo
; %bb.678:                              ;   in Loop: Header=BB8_307 Depth=3
	s_or_b32 exec_lo, exec_lo, s15
	v_lshlrev_b32_e32 v4, 16, v9
	v_lshlrev_b32_e32 v5, 16, v13
	s_mov_b32 s15, exec_lo
                                        ; implicit-def: $vgpr18
	s_delay_alu instid0(VALU_DEP_1) | instskip(NEXT) | instid1(VALU_DEP_1)
	v_mul_f32_e32 v4, v5, v4
	v_and_b32_e32 v5, 0x7f800000, v4
	s_delay_alu instid0(VALU_DEP_1)
	v_cmpx_ne_u32_e32 0x7f800000, v5
	s_xor_b32 s15, exec_lo, s15
; %bb.679:                              ;   in Loop: Header=BB8_307 Depth=3
	v_bfe_u32 v5, v4, 16, 1
	s_delay_alu instid0(VALU_DEP_1)
	v_add3_u32 v18, v4, v5, 0x7fff
                                        ; implicit-def: $vgpr4
; %bb.680:                              ;   in Loop: Header=BB8_307 Depth=3
	s_and_not1_saveexec_b32 s15, s15
; %bb.681:                              ;   in Loop: Header=BB8_307 Depth=3
	v_and_b32_e32 v5, 0xffff, v4
	v_or_b32_e32 v8, 0x10000, v4
	s_delay_alu instid0(VALU_DEP_2) | instskip(NEXT) | instid1(VALU_DEP_2)
	v_cmp_eq_u32_e32 vcc_lo, 0, v5
	v_cndmask_b32_e32 v18, v8, v4, vcc_lo
; %bb.682:                              ;   in Loop: Header=BB8_307 Depth=3
	s_or_b32 exec_lo, exec_lo, s15
	v_and_b32_e32 v5, 0xffff0000, v13
	v_and_b32_e32 v4, 0xffff0000, v9
	s_mov_b32 s15, exec_lo
                                        ; implicit-def: $vgpr13
	s_delay_alu instid0(VALU_DEP_2) | instskip(NEXT) | instid1(VALU_DEP_1)
	v_mov_b32_e32 v8, v5
	v_pk_mul_f32 v[8:9], v[8:9], v[4:5]
	s_delay_alu instid0(VALU_DEP_1) | instskip(NEXT) | instid1(VALU_DEP_1)
	v_and_b32_e32 v4, 0x7f800000, v8
	v_cmpx_ne_u32_e32 0x7f800000, v4
	s_xor_b32 s15, exec_lo, s15
; %bb.683:                              ;   in Loop: Header=BB8_307 Depth=3
	v_bfe_u32 v4, v8, 16, 1
	s_delay_alu instid0(VALU_DEP_1)
	v_add3_u32 v13, v8, v4, 0x7fff
                                        ; implicit-def: $vgpr8_vgpr9
; %bb.684:                              ;   in Loop: Header=BB8_307 Depth=3
	s_and_not1_saveexec_b32 s15, s15
; %bb.685:                              ;   in Loop: Header=BB8_307 Depth=3
	v_and_b32_e32 v4, 0xffff, v8
	v_or_b32_e32 v5, 0x10000, v8
	s_delay_alu instid0(VALU_DEP_2) | instskip(NEXT) | instid1(VALU_DEP_2)
	v_cmp_eq_u32_e32 vcc_lo, 0, v4
	v_cndmask_b32_e32 v13, v5, v8, vcc_lo
; %bb.686:                              ;   in Loop: Header=BB8_307 Depth=3
	s_or_b32 exec_lo, exec_lo, s15
	v_lshlrev_b32_e32 v4, 16, v10
	v_lshlrev_b32_e32 v5, 16, v14
	s_mov_b32 s15, exec_lo
                                        ; implicit-def: $vgpr19
	s_delay_alu instid0(VALU_DEP_1) | instskip(NEXT) | instid1(VALU_DEP_1)
	v_mul_f32_e32 v4, v5, v4
	v_and_b32_e32 v5, 0x7f800000, v4
	s_delay_alu instid0(VALU_DEP_1)
	v_cmpx_ne_u32_e32 0x7f800000, v5
	s_xor_b32 s15, exec_lo, s15
; %bb.687:                              ;   in Loop: Header=BB8_307 Depth=3
	v_bfe_u32 v5, v4, 16, 1
	s_delay_alu instid0(VALU_DEP_1)
	v_add3_u32 v19, v4, v5, 0x7fff
                                        ; implicit-def: $vgpr4
; %bb.688:                              ;   in Loop: Header=BB8_307 Depth=3
	s_and_not1_saveexec_b32 s15, s15
; %bb.689:                              ;   in Loop: Header=BB8_307 Depth=3
	v_and_b32_e32 v5, 0xffff, v4
	v_or_b32_e32 v8, 0x10000, v4
	s_delay_alu instid0(VALU_DEP_2) | instskip(NEXT) | instid1(VALU_DEP_2)
	v_cmp_eq_u32_e32 vcc_lo, 0, v5
	v_cndmask_b32_e32 v19, v8, v4, vcc_lo
; %bb.690:                              ;   in Loop: Header=BB8_307 Depth=3
	s_or_b32 exec_lo, exec_lo, s15
	v_and_b32_e32 v5, 0xffff0000, v14
	v_and_b32_e32 v4, 0xffff0000, v10
	s_mov_b32 s15, exec_lo
                                        ; implicit-def: $vgpr10
	s_delay_alu instid0(VALU_DEP_2) | instskip(NEXT) | instid1(VALU_DEP_1)
	v_mov_b32_e32 v8, v5
	v_pk_mul_f32 v[8:9], v[8:9], v[4:5]
	s_delay_alu instid0(VALU_DEP_1) | instskip(NEXT) | instid1(VALU_DEP_1)
	v_and_b32_e32 v4, 0x7f800000, v8
	v_cmpx_ne_u32_e32 0x7f800000, v4
	s_xor_b32 s15, exec_lo, s15
; %bb.691:                              ;   in Loop: Header=BB8_307 Depth=3
	v_bfe_u32 v4, v8, 16, 1
	s_delay_alu instid0(VALU_DEP_1)
	v_add3_u32 v10, v8, v4, 0x7fff
                                        ; implicit-def: $vgpr8_vgpr9
; %bb.692:                              ;   in Loop: Header=BB8_307 Depth=3
	s_and_not1_saveexec_b32 s15, s15
; %bb.693:                              ;   in Loop: Header=BB8_307 Depth=3
	v_and_b32_e32 v4, 0xffff, v8
	v_or_b32_e32 v5, 0x10000, v8
	s_delay_alu instid0(VALU_DEP_2) | instskip(NEXT) | instid1(VALU_DEP_2)
	v_cmp_eq_u32_e32 vcc_lo, 0, v4
	v_cndmask_b32_e32 v10, v5, v8, vcc_lo
; %bb.694:                              ;   in Loop: Header=BB8_307 Depth=3
	s_or_b32 exec_lo, exec_lo, s15
	v_lshlrev_b32_e32 v4, 16, v11
	v_lshlrev_b32_e32 v5, 16, v15
	s_delay_alu instid0(VALU_DEP_1) | instskip(NEXT) | instid1(VALU_DEP_1)
	v_mul_f32_e32 v5, v5, v4
	v_and_b32_e32 v4, 0x7f800000, v5
	s_delay_alu instid0(VALU_DEP_1) | instskip(SKIP_1) | instid1(SALU_CYCLE_1)
	v_cmp_ne_u32_e32 vcc_lo, 0x7f800000, v4
                                        ; implicit-def: $vgpr4
	s_and_saveexec_b32 s15, vcc_lo
	s_xor_b32 s15, exec_lo, s15
; %bb.695:                              ;   in Loop: Header=BB8_307 Depth=3
	v_bfe_u32 v4, v5, 16, 1
	s_delay_alu instid0(VALU_DEP_1)
	v_add3_u32 v4, v5, v4, 0x7fff
                                        ; implicit-def: $vgpr5
; %bb.696:                              ;   in Loop: Header=BB8_307 Depth=3
	s_and_not1_saveexec_b32 s15, s15
; %bb.697:                              ;   in Loop: Header=BB8_307 Depth=3
	v_and_b32_e32 v4, 0xffff, v5
	v_or_b32_e32 v8, 0x10000, v5
	s_delay_alu instid0(VALU_DEP_2) | instskip(NEXT) | instid1(VALU_DEP_2)
	v_cmp_eq_u32_e32 vcc_lo, 0, v4
	v_cndmask_b32_e32 v4, v8, v5, vcc_lo
; %bb.698:                              ;   in Loop: Header=BB8_307 Depth=3
	s_or_b32 exec_lo, exec_lo, s15
	v_and_b32_e32 v9, 0xffff0000, v15
	v_and_b32_e32 v8, 0xffff0000, v11
	s_delay_alu instid0(VALU_DEP_2) | instskip(NEXT) | instid1(VALU_DEP_1)
	v_mov_b32_e32 v14, v9
	v_pk_mul_f32 v[8:9], v[14:15], v[8:9]
	s_delay_alu instid0(VALU_DEP_1) | instskip(NEXT) | instid1(VALU_DEP_1)
	v_and_b32_e32 v5, 0x7f800000, v8
	v_cmp_ne_u32_e32 vcc_lo, 0x7f800000, v5
                                        ; implicit-def: $vgpr5
	s_and_saveexec_b32 s15, vcc_lo
	s_delay_alu instid0(SALU_CYCLE_1)
	s_xor_b32 s15, exec_lo, s15
; %bb.699:                              ;   in Loop: Header=BB8_307 Depth=3
	v_bfe_u32 v5, v8, 16, 1
	s_delay_alu instid0(VALU_DEP_1)
	v_add3_u32 v5, v8, v5, 0x7fff
                                        ; implicit-def: $vgpr8_vgpr9
; %bb.700:                              ;   in Loop: Header=BB8_307 Depth=3
	s_and_not1_saveexec_b32 s15, s15
; %bb.701:                              ;   in Loop: Header=BB8_307 Depth=3
	v_and_b32_e32 v5, 0xffff, v8
	v_or_b32_e32 v9, 0x10000, v8
	s_delay_alu instid0(VALU_DEP_2) | instskip(NEXT) | instid1(VALU_DEP_2)
	v_cmp_eq_u32_e32 vcc_lo, 0, v5
	v_cndmask_b32_e32 v5, v9, v8, vcc_lo
; %bb.702:                              ;   in Loop: Header=BB8_307 Depth=3
	s_or_b32 exec_lo, exec_lo, s15
	v_dual_lshrrev_b32 v8, 16, v18 :: v_dual_lshrrev_b32 v11, 16, v20
	v_dual_lshrrev_b32 v14, 16, v19 :: v_dual_lshrrev_b32 v4, 16, v4
	s_delay_alu instid0(VALU_DEP_2) | instskip(NEXT) | instid1(VALU_DEP_3)
	v_and_or_b32 v9, 0xffff0000, v13, v8
	v_and_or_b32 v8, 0xffff0000, v12, v11
	s_delay_alu instid0(VALU_DEP_3) | instskip(NEXT) | instid1(VALU_DEP_4)
	v_and_or_b32 v10, 0xffff0000, v10, v14
	v_and_or_b32 v11, 0xffff0000, v5, v4
	global_store_b128 v[16:17], v[8:11], off th:TH_STORE_NT
.LBB8_703:                              ;   in Loop: Header=BB8_307 Depth=3
	s_wait_xcnt 0x0
	s_or_b32 exec_lo, exec_lo, s14
	v_and_b32_e32 v4, 14, v73
	s_mov_b32 s15, s77
	s_mov_b32 s14, exec_lo
                                        ; implicit-def: $vgpr14
                                        ; implicit-def: $vgpr15
                                        ; implicit-def: $vgpr8
	s_delay_alu instid0(VALU_DEP_1) | instskip(NEXT) | instid1(VALU_DEP_1)
	v_cndmask_b32_e64 v73, v27, v4, s13
	v_cmpx_ne_u32_e32 0, v73
	s_cbranch_execz .LBB8_705
; %bb.704:                              ;   in Loop: Header=BB8_307 Depth=3
	v_cmp_lt_i32_e32 vcc_lo, 0, v32
	s_or_b32 s15, s77, exec_lo
	v_sub_nc_u32_e32 v4, v27, v4
	v_cndmask_b32_e32 v5, 0, v84, vcc_lo
	s_delay_alu instid0(VALU_DEP_2) | instskip(NEXT) | instid1(VALU_DEP_2)
	v_cndmask_b32_e64 v4, 0, v4, s13
	v_sub_nc_u32_e32 v5, v5, v32
	s_delay_alu instid0(VALU_DEP_2) | instskip(NEXT) | instid1(VALU_DEP_2)
	v_add3_u32 v14, v25, v24, v4
	v_lshl_add_u32 v5, v5, 5, v26
	s_delay_alu instid0(VALU_DEP_1) | instskip(NEXT) | instid1(VALU_DEP_1)
	v_ashrrev_i32_e32 v8, 31, v5
	v_lshrrev_b32_e32 v8, 27, v8
	s_delay_alu instid0(VALU_DEP_1) | instskip(NEXT) | instid1(VALU_DEP_1)
	v_add_nc_u32_e32 v8, v5, v8
	v_and_b32_e32 v9, 0xffffffe0, v8
	s_delay_alu instid0(VALU_DEP_1)
	v_dual_ashrrev_i32 v8, 5, v8 :: v_dual_sub_nc_u32 v15, v5, v9
.LBB8_705:                              ;   in Loop: Header=BB8_307 Depth=3
	s_or_b32 exec_lo, exec_lo, s14
	s_delay_alu instid0(SALU_CYCLE_1) | instskip(SKIP_1) | instid1(SALU_CYCLE_1)
	s_and_not1_b32 s13, s77, exec_lo
	s_and_b32 s14, s15, exec_lo
	s_or_b32 s77, s13, s14
.LBB8_706:                              ;   in Loop: Header=BB8_307 Depth=3
	s_or_b32 exec_lo, exec_lo, s78
	s_and_saveexec_b32 s15, s77
	s_cbranch_execz .LBB8_838
.LBB8_707:                              ;   in Loop: Header=BB8_307 Depth=3
	s_delay_alu instid0(VALU_DEP_1) | instskip(SKIP_1) | instid1(VALU_DEP_2)
	v_dual_ashrrev_i32 v4, 31, v73 :: v_dual_lshlrev_b32 v5, 9, v8
	v_dual_lshlrev_b32 v9, 1, v15 :: v_dual_mov_b32 v49, 0
	v_dual_mov_b32 v38, 0 :: v_dual_lshrrev_b32 v4, 23, v4
	v_dual_mov_b32 v35, 0 :: v_dual_mov_b32 v29, 0
	s_delay_alu instid0(VALU_DEP_3) | instskip(SKIP_1) | instid1(VALU_DEP_4)
	v_add3_u32 v12, v14, v9, v5
	v_dual_mov_b32 v28, 0 :: v_dual_mov_b32 v19, 0
	v_dual_add_nc_u32 v11, v73, v4 :: v_dual_mov_b32 v17, 0
	s_delay_alu instid0(VALU_DEP_3) | instskip(NEXT) | instid1(VALU_DEP_2)
	v_dual_ashrrev_i32 v13, 31, v12 :: v_dual_mov_b32 v21, 0
	v_dual_mov_b32 v39, 0 :: v_dual_ashrrev_i32 v16, 9, v11
	v_dual_mov_b32 v10, 0 :: v_dual_mov_b32 v4, 0
	v_dual_mov_b32 v36, 0 :: v_dual_mov_b32 v34, 0
	s_delay_alu instid0(VALU_DEP_3)
	v_dual_mov_b32 v20, 0 :: v_dual_sub_nc_u32 v25, v16, v8
	v_add_nc_u64_e32 v[8:9], v[88:89], v[12:13]
	v_dual_mov_b32 v18, 0 :: v_dual_mov_b32 v11, 0
	s_mov_b32 s14, 0
	s_mov_b32 s13, exec_lo
	v_cmpx_lt_i32_e32 0, v25
	s_cbranch_execz .LBB8_779
; %bb.708:                              ;   in Loop: Header=BB8_307 Depth=3
	s_trap 2
	ds_load_b64 v[4:5], v0
	v_add_nc_u64_e32 v[10:11], v[12:13], v[78:79]
	s_mov_b32 s41, 0
	s_mov_b32 s40, 0
                                        ; implicit-def: $sgpr14
                                        ; implicit-def: $vgpr53
                                        ; implicit-def: $vgpr51
                                        ; implicit-def: $vgpr48
                                        ; implicit-def: $vgpr37
                                        ; implicit-def: $vgpr33
                                        ; implicit-def: $vgpr32
                                        ; implicit-def: $vgpr27
                                        ; implicit-def: $vgpr26
                                        ; implicit-def: $vgpr17
                                        ; implicit-def: $vgpr18
                                        ; implicit-def: $vgpr19
                                        ; implicit-def: $vgpr20
                                        ; implicit-def: $vgpr21
                                        ; implicit-def: $vgpr22
                                        ; implicit-def: $vgpr23
                                        ; implicit-def: $vgpr24
	s_wait_dscnt 0x0
	v_add_nc_u64_e32 v[12:13], v[4:5], v[12:13]
	s_branch .LBB8_710
.LBB8_709:                              ;   in Loop: Header=BB8_710 Depth=4
	s_or_b32 exec_lo, exec_lo, s77
	v_dual_cndmask_b32 v5, 0, v84, s41 :: v_dual_cndmask_b32 v91, 0, v41, s41
	v_add_nc_u64_e32 v[34:35], v[10:11], v[112:113]
	v_add_nc_u64_e32 v[98:99], v[12:13], v[112:113]
	v_cndmask_b32_e64 v90, 0x200, v40, s41
	s_delay_alu instid0(VALU_DEP_4)
	v_sub_nc_u32_e32 v25, v25, v5
	s_clause 0x7
	flat_store_d16_hi_b16 v[8:9], v54 th:TH_STORE_NT
	flat_store_d16_hi_b16 v[8:9], v28 offset:64 th:TH_STORE_NT
	flat_store_d16_hi_b16 v[8:9], v29 offset:128 th:TH_STORE_NT
	flat_store_d16_hi_b16 v[8:9], v52 offset:192 th:TH_STORE_NT
	flat_store_d16_hi_b16 v[8:9], v50 offset:256 th:TH_STORE_NT
	flat_store_d16_hi_b16 v[8:9], v39 offset:320 th:TH_STORE_NT
	flat_store_d16_hi_b16 v[8:9], v36 offset:384 th:TH_STORE_NT
	flat_store_d16_hi_b16 v[8:9], v4 offset:448 th:TH_STORE_NT
	v_cndmask_b32_e64 v11, v11, v35, s41
	v_cmp_gt_i32_e32 vcc_lo, 1, v25
	s_wait_xcnt 0x0
	v_add_nc_u64_e32 v[8:9], v[8:9], v[90:91]
	v_dual_cndmask_b32 v10, v10, v34, s41 :: v_dual_cndmask_b32 v13, v13, v99, s41
	v_cndmask_b32_e64 v12, v12, v98, s41
	s_or_b32 s40, vcc_lo, s40
	s_and_not1_b32 s14, s14, exec_lo
	s_and_b32 s77, s41, exec_lo
	s_delay_alu instid0(SALU_CYCLE_1)
	s_or_b32 s14, s14, s77
	s_and_not1_b32 exec_lo, exec_lo, s40
	s_cbranch_execz .LBB8_778
.LBB8_710:                              ;   Parent Loop BB8_47 Depth=1
                                        ;     Parent Loop BB8_304 Depth=2
                                        ;       Parent Loop BB8_307 Depth=3
                                        ; =>      This Inner Loop Header: Depth=4
	s_clause 0x7
	flat_load_u16 v95, v[10:11] th:TH_LOAD_NT
	flat_load_u16 v93, v[10:11] offset:64 th:TH_LOAD_NT
	flat_load_u16 v91, v[10:11] offset:128 th:TH_LOAD_NT
	;; [unrolled: 1-line block ×7, first 2 shown]
	s_clause 0x7
	flat_load_u16 v104, v[12:13] th:TH_LOAD_NT
	flat_load_u16 v94, v[12:13] offset:64 th:TH_LOAD_NT
	flat_load_u16 v92, v[12:13] offset:128 th:TH_LOAD_NT
	;; [unrolled: 1-line block ×7, first 2 shown]
	s_wait_xcnt 0x0
	s_and_saveexec_b32 s77, s41
	s_cbranch_execz .LBB8_744
; %bb.711:                              ;   in Loop: Header=BB8_710 Depth=4
	v_lshlrev_b32_e32 v4, 16, v53
	v_lshlrev_b32_e32 v5, 16, v17
	s_mov_b32 s41, exec_lo
                                        ; implicit-def: $vgpr53
	s_delay_alu instid0(VALU_DEP_1) | instskip(NEXT) | instid1(VALU_DEP_1)
	v_mul_f32_e32 v4, v4, v5
	v_and_b32_e32 v5, 0x7f800000, v4
	s_delay_alu instid0(VALU_DEP_1)
	v_cmpx_ne_u32_e32 0x7f800000, v5
	s_xor_b32 s41, exec_lo, s41
; %bb.712:                              ;   in Loop: Header=BB8_710 Depth=4
	v_bfe_u32 v5, v4, 16, 1
	s_delay_alu instid0(VALU_DEP_1)
	v_add3_u32 v53, v4, v5, 0x7fff
                                        ; implicit-def: $vgpr4
; %bb.713:                              ;   in Loop: Header=BB8_710 Depth=4
	s_and_not1_saveexec_b32 s41, s41
; %bb.714:                              ;   in Loop: Header=BB8_710 Depth=4
	v_and_b32_e32 v5, 0xffff, v4
	v_or_b32_e32 v28, 0x10000, v4
	s_delay_alu instid0(VALU_DEP_2) | instskip(NEXT) | instid1(VALU_DEP_2)
	v_cmp_eq_u32_e32 vcc_lo, 0, v5
	v_cndmask_b32_e32 v53, v28, v4, vcc_lo
; %bb.715:                              ;   in Loop: Header=BB8_710 Depth=4
	s_or_b32 exec_lo, exec_lo, s41
	v_dual_lshlrev_b32 v4, 16, v51 :: v_dual_lshlrev_b32 v5, 16, v18
	s_mov_b32 s41, exec_lo
                                        ; implicit-def: $vgpr28
	s_delay_alu instid0(VALU_DEP_1) | instskip(NEXT) | instid1(VALU_DEP_1)
	v_mul_f32_e32 v4, v4, v5
	v_and_b32_e32 v5, 0x7f800000, v4
	s_delay_alu instid0(VALU_DEP_1)
	v_cmpx_ne_u32_e32 0x7f800000, v5
	s_xor_b32 s41, exec_lo, s41
; %bb.716:                              ;   in Loop: Header=BB8_710 Depth=4
	v_bfe_u32 v5, v4, 16, 1
	s_delay_alu instid0(VALU_DEP_1)
	v_add3_u32 v28, v4, v5, 0x7fff
                                        ; implicit-def: $vgpr4
; %bb.717:                              ;   in Loop: Header=BB8_710 Depth=4
	s_and_not1_saveexec_b32 s41, s41
; %bb.718:                              ;   in Loop: Header=BB8_710 Depth=4
	v_and_b32_e32 v5, 0xffff, v4
	v_or_b32_e32 v28, 0x10000, v4
	s_delay_alu instid0(VALU_DEP_2) | instskip(NEXT) | instid1(VALU_DEP_2)
	v_cmp_eq_u32_e32 vcc_lo, 0, v5
	v_cndmask_b32_e32 v28, v28, v4, vcc_lo
; %bb.719:                              ;   in Loop: Header=BB8_710 Depth=4
	s_or_b32 exec_lo, exec_lo, s41
	v_dual_lshlrev_b32 v4, 16, v48 :: v_dual_lshlrev_b32 v5, 16, v19
	s_mov_b32 s41, exec_lo
                                        ; implicit-def: $vgpr29
	s_delay_alu instid0(VALU_DEP_1) | instskip(NEXT) | instid1(VALU_DEP_1)
	v_mul_f32_e32 v4, v4, v5
	v_and_b32_e32 v5, 0x7f800000, v4
	s_delay_alu instid0(VALU_DEP_1)
	v_cmpx_ne_u32_e32 0x7f800000, v5
	s_xor_b32 s41, exec_lo, s41
; %bb.720:                              ;   in Loop: Header=BB8_710 Depth=4
	v_bfe_u32 v5, v4, 16, 1
	s_delay_alu instid0(VALU_DEP_1)
	v_add3_u32 v29, v4, v5, 0x7fff
                                        ; implicit-def: $vgpr4
; %bb.721:                              ;   in Loop: Header=BB8_710 Depth=4
	s_and_not1_saveexec_b32 s41, s41
; %bb.722:                              ;   in Loop: Header=BB8_710 Depth=4
	v_and_b32_e32 v5, 0xffff, v4
	v_or_b32_e32 v29, 0x10000, v4
	s_delay_alu instid0(VALU_DEP_2) | instskip(NEXT) | instid1(VALU_DEP_2)
	v_cmp_eq_u32_e32 vcc_lo, 0, v5
	v_cndmask_b32_e32 v29, v29, v4, vcc_lo
; %bb.723:                              ;   in Loop: Header=BB8_710 Depth=4
	s_or_b32 exec_lo, exec_lo, s41
	v_dual_lshlrev_b32 v4, 16, v37 :: v_dual_lshlrev_b32 v5, 16, v20
	s_mov_b32 s41, exec_lo
                                        ; implicit-def: $vgpr37
	s_delay_alu instid0(VALU_DEP_1) | instskip(NEXT) | instid1(VALU_DEP_1)
	v_mul_f32_e32 v4, v4, v5
	v_and_b32_e32 v5, 0x7f800000, v4
	s_delay_alu instid0(VALU_DEP_1)
	v_cmpx_ne_u32_e32 0x7f800000, v5
	s_xor_b32 s41, exec_lo, s41
; %bb.724:                              ;   in Loop: Header=BB8_710 Depth=4
	v_bfe_u32 v5, v4, 16, 1
	s_delay_alu instid0(VALU_DEP_1)
	v_add3_u32 v37, v4, v5, 0x7fff
                                        ; implicit-def: $vgpr4
; %bb.725:                              ;   in Loop: Header=BB8_710 Depth=4
	s_and_not1_saveexec_b32 s41, s41
; %bb.726:                              ;   in Loop: Header=BB8_710 Depth=4
	v_and_b32_e32 v5, 0xffff, v4
	v_or_b32_e32 v37, 0x10000, v4
	s_delay_alu instid0(VALU_DEP_2) | instskip(NEXT) | instid1(VALU_DEP_2)
	v_cmp_eq_u32_e32 vcc_lo, 0, v5
	v_cndmask_b32_e32 v37, v37, v4, vcc_lo
; %bb.727:                              ;   in Loop: Header=BB8_710 Depth=4
	s_or_b32 exec_lo, exec_lo, s41
	v_lshlrev_b32_e32 v4, 16, v33
	v_lshlrev_b32_e32 v5, 16, v21
	s_mov_b32 s41, exec_lo
                                        ; implicit-def: $vgpr33
	s_delay_alu instid0(VALU_DEP_1) | instskip(NEXT) | instid1(VALU_DEP_1)
	v_mul_f32_e32 v4, v4, v5
	v_and_b32_e32 v5, 0x7f800000, v4
	s_delay_alu instid0(VALU_DEP_1)
	v_cmpx_ne_u32_e32 0x7f800000, v5
	s_xor_b32 s41, exec_lo, s41
; %bb.728:                              ;   in Loop: Header=BB8_710 Depth=4
	v_bfe_u32 v5, v4, 16, 1
	s_delay_alu instid0(VALU_DEP_1)
	v_add3_u32 v33, v4, v5, 0x7fff
                                        ; implicit-def: $vgpr4
; %bb.729:                              ;   in Loop: Header=BB8_710 Depth=4
	s_and_not1_saveexec_b32 s41, s41
; %bb.730:                              ;   in Loop: Header=BB8_710 Depth=4
	v_and_b32_e32 v5, 0xffff, v4
	v_or_b32_e32 v33, 0x10000, v4
	s_delay_alu instid0(VALU_DEP_2) | instskip(NEXT) | instid1(VALU_DEP_2)
	v_cmp_eq_u32_e32 vcc_lo, 0, v5
	v_cndmask_b32_e32 v33, v33, v4, vcc_lo
; %bb.731:                              ;   in Loop: Header=BB8_710 Depth=4
	s_or_b32 exec_lo, exec_lo, s41
	v_dual_lshlrev_b32 v4, 16, v32 :: v_dual_lshlrev_b32 v5, 16, v22
	s_mov_b32 s41, exec_lo
                                        ; implicit-def: $vgpr32
	s_delay_alu instid0(VALU_DEP_1) | instskip(NEXT) | instid1(VALU_DEP_1)
	v_mul_f32_e32 v4, v4, v5
	v_and_b32_e32 v5, 0x7f800000, v4
	s_delay_alu instid0(VALU_DEP_1)
	v_cmpx_ne_u32_e32 0x7f800000, v5
	s_xor_b32 s41, exec_lo, s41
; %bb.732:                              ;   in Loop: Header=BB8_710 Depth=4
	v_bfe_u32 v5, v4, 16, 1
	s_delay_alu instid0(VALU_DEP_1)
	v_add3_u32 v32, v4, v5, 0x7fff
                                        ; implicit-def: $vgpr4
; %bb.733:                              ;   in Loop: Header=BB8_710 Depth=4
	s_and_not1_saveexec_b32 s41, s41
; %bb.734:                              ;   in Loop: Header=BB8_710 Depth=4
	v_and_b32_e32 v5, 0xffff, v4
	v_or_b32_e32 v32, 0x10000, v4
	s_delay_alu instid0(VALU_DEP_2) | instskip(NEXT) | instid1(VALU_DEP_2)
	v_cmp_eq_u32_e32 vcc_lo, 0, v5
	v_cndmask_b32_e32 v32, v32, v4, vcc_lo
; %bb.735:                              ;   in Loop: Header=BB8_710 Depth=4
	s_or_b32 exec_lo, exec_lo, s41
	v_lshlrev_b32_e32 v4, 16, v27
	v_lshlrev_b32_e32 v5, 16, v23
	s_delay_alu instid0(VALU_DEP_1) | instskip(NEXT) | instid1(VALU_DEP_1)
	v_mul_f32_e32 v5, v4, v5
	v_and_b32_e32 v4, 0x7f800000, v5
	s_delay_alu instid0(VALU_DEP_1) | instskip(SKIP_1) | instid1(SALU_CYCLE_1)
	v_cmp_ne_u32_e32 vcc_lo, 0x7f800000, v4
                                        ; implicit-def: $vgpr4
	s_and_saveexec_b32 s41, vcc_lo
	s_xor_b32 s41, exec_lo, s41
; %bb.736:                              ;   in Loop: Header=BB8_710 Depth=4
	v_bfe_u32 v4, v5, 16, 1
	s_delay_alu instid0(VALU_DEP_1)
	v_add3_u32 v4, v5, v4, 0x7fff
                                        ; implicit-def: $vgpr5
; %bb.737:                              ;   in Loop: Header=BB8_710 Depth=4
	s_and_not1_saveexec_b32 s41, s41
; %bb.738:                              ;   in Loop: Header=BB8_710 Depth=4
	v_and_b32_e32 v4, 0xffff, v5
	v_or_b32_e32 v27, 0x10000, v5
	s_delay_alu instid0(VALU_DEP_2) | instskip(NEXT) | instid1(VALU_DEP_2)
	v_cmp_eq_u32_e32 vcc_lo, 0, v4
	v_cndmask_b32_e32 v4, v27, v5, vcc_lo
; %bb.739:                              ;   in Loop: Header=BB8_710 Depth=4
	s_or_b32 exec_lo, exec_lo, s41
	v_dual_lshlrev_b32 v5, 16, v26 :: v_dual_lshlrev_b32 v26, 16, v24
	s_delay_alu instid0(VALU_DEP_1) | instskip(NEXT) | instid1(VALU_DEP_1)
	v_mul_f32_e32 v26, v5, v26
	v_and_b32_e32 v5, 0x7f800000, v26
	s_delay_alu instid0(VALU_DEP_1) | instskip(SKIP_1) | instid1(SALU_CYCLE_1)
	v_cmp_ne_u32_e32 vcc_lo, 0x7f800000, v5
                                        ; implicit-def: $vgpr5
	s_and_saveexec_b32 s41, vcc_lo
	s_xor_b32 s41, exec_lo, s41
; %bb.740:                              ;   in Loop: Header=BB8_710 Depth=4
	v_bfe_u32 v5, v26, 16, 1
	s_delay_alu instid0(VALU_DEP_1)
	v_add3_u32 v5, v26, v5, 0x7fff
                                        ; implicit-def: $vgpr26
; %bb.741:                              ;   in Loop: Header=BB8_710 Depth=4
	s_and_not1_saveexec_b32 s41, s41
; %bb.742:                              ;   in Loop: Header=BB8_710 Depth=4
	v_and_b32_e32 v5, 0xffff, v26
	v_or_b32_e32 v27, 0x10000, v26
	s_delay_alu instid0(VALU_DEP_2) | instskip(NEXT) | instid1(VALU_DEP_2)
	v_cmp_eq_u32_e32 vcc_lo, 0, v5
	v_cndmask_b32_e32 v5, v27, v26, vcc_lo
; %bb.743:                              ;   in Loop: Header=BB8_710 Depth=4
	s_or_b32 exec_lo, exec_lo, s41
	v_dual_lshrrev_b32 v32, 16, v32 :: v_dual_lshrrev_b32 v53, 16, v53
	v_dual_lshrrev_b32 v51, 16, v28 :: v_dual_lshrrev_b32 v48, 16, v29
	;; [unrolled: 1-line block ×3, first 2 shown]
	v_lshrrev_b32_e32 v33, 16, v33
	v_lshrrev_b32_e32 v26, 16, v5
	s_clause 0x7
	flat_store_b16 v[8:9], v53 th:TH_STORE_NT
	flat_store_b16 v[8:9], v51 offset:64 th:TH_STORE_NT
	flat_store_b16 v[8:9], v48 offset:128 th:TH_STORE_NT
	;; [unrolled: 1-line block ×7, first 2 shown]
	s_wait_xcnt 0x0
	v_add_nc_u64_e32 v[8:9], v[8:9], v[40:41]
.LBB8_744:                              ;   in Loop: Header=BB8_710 Depth=4
	s_or_b32 exec_lo, exec_lo, s77
	v_sub_nc_u32_e32 v25, v25, v84
	v_add_nc_u64_e32 v[10:11], v[10:11], v[40:41]
	v_add_nc_u64_e32 v[12:13], v[12:13], v[40:41]
	s_delay_alu instid0(VALU_DEP_3)
	v_cmp_lt_i32_e64 s41, 0, v25
	s_and_saveexec_b32 s77, s41
	s_cbranch_execz .LBB8_746
; %bb.745:                              ;   in Loop: Header=BB8_710 Depth=4
	s_clause 0x7
	flat_load_u16 v53, v[10:11] th:TH_LOAD_NT
	flat_load_u16 v51, v[10:11] offset:64 th:TH_LOAD_NT
	flat_load_u16 v48, v[10:11] offset:128 th:TH_LOAD_NT
	;; [unrolled: 1-line block ×7, first 2 shown]
	s_clause 0x7
	flat_load_u16 v17, v[12:13] th:TH_LOAD_NT
	flat_load_u16 v18, v[12:13] offset:64 th:TH_LOAD_NT
	flat_load_u16 v19, v[12:13] offset:128 th:TH_LOAD_NT
	;; [unrolled: 1-line block ×7, first 2 shown]
	s_wait_xcnt 0x8
	v_add_nc_u64_e32 v[10:11], 0x200, v[10:11]
	s_wait_xcnt 0x0
	v_add_nc_u64_e32 v[12:13], 0x200, v[12:13]
.LBB8_746:                              ;   in Loop: Header=BB8_710 Depth=4
	s_or_b32 exec_lo, exec_lo, s77
	s_wait_loadcnt_dscnt 0x707
	v_dual_lshlrev_b32 v4, 16, v95 :: v_dual_lshlrev_b32 v5, 16, v104
	s_mov_b32 s77, exec_lo
                                        ; implicit-def: $vgpr54
	s_delay_alu instid0(VALU_DEP_1) | instskip(NEXT) | instid1(VALU_DEP_1)
	v_mul_f32_e32 v4, v5, v4
	v_and_b32_e32 v5, 0x7f800000, v4
	s_delay_alu instid0(VALU_DEP_1)
	v_cmpx_ne_u32_e32 0x7f800000, v5
	s_xor_b32 s77, exec_lo, s77
; %bb.747:                              ;   in Loop: Header=BB8_710 Depth=4
	v_bfe_u32 v5, v4, 16, 1
	s_delay_alu instid0(VALU_DEP_1)
	v_add3_u32 v54, v4, v5, 0x7fff
                                        ; implicit-def: $vgpr4
; %bb.748:                              ;   in Loop: Header=BB8_710 Depth=4
	s_and_not1_saveexec_b32 s77, s77
; %bb.749:                              ;   in Loop: Header=BB8_710 Depth=4
	v_and_b32_e32 v5, 0xffff, v4
	v_or_b32_e32 v28, 0x10000, v4
	s_delay_alu instid0(VALU_DEP_2) | instskip(NEXT) | instid1(VALU_DEP_2)
	v_cmp_eq_u32_e32 vcc_lo, 0, v5
	v_cndmask_b32_e32 v54, v28, v4, vcc_lo
; %bb.750:                              ;   in Loop: Header=BB8_710 Depth=4
	s_or_b32 exec_lo, exec_lo, s77
	s_wait_loadcnt_dscnt 0x606
	v_dual_lshlrev_b32 v4, 16, v93 :: v_dual_lshlrev_b32 v5, 16, v94
	s_mov_b32 s77, exec_lo
                                        ; implicit-def: $vgpr28
	s_delay_alu instid0(VALU_DEP_1) | instskip(NEXT) | instid1(VALU_DEP_1)
	v_mul_f32_e32 v4, v5, v4
	v_and_b32_e32 v5, 0x7f800000, v4
	s_delay_alu instid0(VALU_DEP_1)
	v_cmpx_ne_u32_e32 0x7f800000, v5
	s_xor_b32 s77, exec_lo, s77
; %bb.751:                              ;   in Loop: Header=BB8_710 Depth=4
	v_bfe_u32 v5, v4, 16, 1
	s_delay_alu instid0(VALU_DEP_1)
	v_add3_u32 v28, v4, v5, 0x7fff
                                        ; implicit-def: $vgpr4
; %bb.752:                              ;   in Loop: Header=BB8_710 Depth=4
	s_and_not1_saveexec_b32 s77, s77
; %bb.753:                              ;   in Loop: Header=BB8_710 Depth=4
	v_and_b32_e32 v5, 0xffff, v4
	v_or_b32_e32 v28, 0x10000, v4
	s_delay_alu instid0(VALU_DEP_2) | instskip(NEXT) | instid1(VALU_DEP_2)
	v_cmp_eq_u32_e32 vcc_lo, 0, v5
	v_cndmask_b32_e32 v28, v28, v4, vcc_lo
; %bb.754:                              ;   in Loop: Header=BB8_710 Depth=4
	s_or_b32 exec_lo, exec_lo, s77
	s_wait_loadcnt_dscnt 0x505
	v_dual_lshlrev_b32 v4, 16, v91 :: v_dual_lshlrev_b32 v5, 16, v92
	s_mov_b32 s77, exec_lo
                                        ; implicit-def: $vgpr29
	s_delay_alu instid0(VALU_DEP_1) | instskip(NEXT) | instid1(VALU_DEP_1)
	v_mul_f32_e32 v4, v5, v4
	v_and_b32_e32 v5, 0x7f800000, v4
	s_delay_alu instid0(VALU_DEP_1)
	v_cmpx_ne_u32_e32 0x7f800000, v5
	s_xor_b32 s77, exec_lo, s77
; %bb.755:                              ;   in Loop: Header=BB8_710 Depth=4
	v_bfe_u32 v5, v4, 16, 1
	s_delay_alu instid0(VALU_DEP_1)
	v_add3_u32 v29, v4, v5, 0x7fff
                                        ; implicit-def: $vgpr4
; %bb.756:                              ;   in Loop: Header=BB8_710 Depth=4
	s_and_not1_saveexec_b32 s77, s77
; %bb.757:                              ;   in Loop: Header=BB8_710 Depth=4
	v_and_b32_e32 v5, 0xffff, v4
	v_or_b32_e32 v29, 0x10000, v4
	s_delay_alu instid0(VALU_DEP_2) | instskip(NEXT) | instid1(VALU_DEP_2)
	v_cmp_eq_u32_e32 vcc_lo, 0, v5
	v_cndmask_b32_e32 v29, v29, v4, vcc_lo
; %bb.758:                              ;   in Loop: Header=BB8_710 Depth=4
	s_or_b32 exec_lo, exec_lo, s77
	s_wait_loadcnt_dscnt 0x404
	v_dual_lshlrev_b32 v4, 16, v52 :: v_dual_lshlrev_b32 v5, 16, v90
	s_mov_b32 s77, exec_lo
                                        ; implicit-def: $vgpr52
	s_delay_alu instid0(VALU_DEP_1) | instskip(NEXT) | instid1(VALU_DEP_1)
	v_mul_f32_e32 v4, v5, v4
	v_and_b32_e32 v5, 0x7f800000, v4
	s_delay_alu instid0(VALU_DEP_1)
	v_cmpx_ne_u32_e32 0x7f800000, v5
	s_xor_b32 s77, exec_lo, s77
; %bb.759:                              ;   in Loop: Header=BB8_710 Depth=4
	v_bfe_u32 v5, v4, 16, 1
	s_delay_alu instid0(VALU_DEP_1)
	v_add3_u32 v52, v4, v5, 0x7fff
                                        ; implicit-def: $vgpr4
; %bb.760:                              ;   in Loop: Header=BB8_710 Depth=4
	s_and_not1_saveexec_b32 s77, s77
; %bb.761:                              ;   in Loop: Header=BB8_710 Depth=4
	v_and_b32_e32 v5, 0xffff, v4
	v_or_b32_e32 v52, 0x10000, v4
	s_delay_alu instid0(VALU_DEP_2) | instskip(NEXT) | instid1(VALU_DEP_2)
	v_cmp_eq_u32_e32 vcc_lo, 0, v5
	v_cndmask_b32_e32 v52, v52, v4, vcc_lo
; %bb.762:                              ;   in Loop: Header=BB8_710 Depth=4
	s_or_b32 exec_lo, exec_lo, s77
	s_wait_loadcnt_dscnt 0x303
	v_dual_lshlrev_b32 v4, 16, v50 :: v_dual_lshlrev_b32 v5, 16, v75
	s_mov_b32 s77, exec_lo
                                        ; implicit-def: $vgpr50
	s_delay_alu instid0(VALU_DEP_1) | instskip(NEXT) | instid1(VALU_DEP_1)
	v_mul_f32_e32 v4, v5, v4
	v_and_b32_e32 v5, 0x7f800000, v4
	s_delay_alu instid0(VALU_DEP_1)
	v_cmpx_ne_u32_e32 0x7f800000, v5
	s_xor_b32 s77, exec_lo, s77
; %bb.763:                              ;   in Loop: Header=BB8_710 Depth=4
	v_bfe_u32 v5, v4, 16, 1
	s_delay_alu instid0(VALU_DEP_1)
	v_add3_u32 v50, v4, v5, 0x7fff
                                        ; implicit-def: $vgpr4
; %bb.764:                              ;   in Loop: Header=BB8_710 Depth=4
	s_and_not1_saveexec_b32 s77, s77
; %bb.765:                              ;   in Loop: Header=BB8_710 Depth=4
	v_and_b32_e32 v5, 0xffff, v4
	v_or_b32_e32 v50, 0x10000, v4
	s_delay_alu instid0(VALU_DEP_2) | instskip(NEXT) | instid1(VALU_DEP_2)
	v_cmp_eq_u32_e32 vcc_lo, 0, v5
	v_cndmask_b32_e32 v50, v50, v4, vcc_lo
; %bb.766:                              ;   in Loop: Header=BB8_710 Depth=4
	s_or_b32 exec_lo, exec_lo, s77
	s_wait_loadcnt_dscnt 0x202
	v_dual_lshlrev_b32 v4, 16, v39 :: v_dual_lshlrev_b32 v5, 16, v49
	s_mov_b32 s77, exec_lo
                                        ; implicit-def: $vgpr39
	s_delay_alu instid0(VALU_DEP_1) | instskip(NEXT) | instid1(VALU_DEP_1)
	v_mul_f32_e32 v4, v5, v4
	v_and_b32_e32 v5, 0x7f800000, v4
	s_delay_alu instid0(VALU_DEP_1)
	v_cmpx_ne_u32_e32 0x7f800000, v5
	s_xor_b32 s77, exec_lo, s77
; %bb.767:                              ;   in Loop: Header=BB8_710 Depth=4
	v_bfe_u32 v5, v4, 16, 1
	s_delay_alu instid0(VALU_DEP_1)
	v_add3_u32 v39, v4, v5, 0x7fff
                                        ; implicit-def: $vgpr4
; %bb.768:                              ;   in Loop: Header=BB8_710 Depth=4
	s_and_not1_saveexec_b32 s77, s77
; %bb.769:                              ;   in Loop: Header=BB8_710 Depth=4
	v_and_b32_e32 v5, 0xffff, v4
	v_or_b32_e32 v39, 0x10000, v4
	s_delay_alu instid0(VALU_DEP_2) | instskip(NEXT) | instid1(VALU_DEP_2)
	v_cmp_eq_u32_e32 vcc_lo, 0, v5
	v_cndmask_b32_e32 v39, v39, v4, vcc_lo
; %bb.770:                              ;   in Loop: Header=BB8_710 Depth=4
	s_or_b32 exec_lo, exec_lo, s77
	s_wait_loadcnt_dscnt 0x101
	v_dual_lshlrev_b32 v4, 16, v36 :: v_dual_lshlrev_b32 v5, 16, v38
	s_mov_b32 s77, exec_lo
                                        ; implicit-def: $vgpr36
	s_delay_alu instid0(VALU_DEP_1) | instskip(NEXT) | instid1(VALU_DEP_1)
	v_mul_f32_e32 v4, v5, v4
	v_and_b32_e32 v5, 0x7f800000, v4
	s_delay_alu instid0(VALU_DEP_1)
	v_cmpx_ne_u32_e32 0x7f800000, v5
	s_xor_b32 s77, exec_lo, s77
; %bb.771:                              ;   in Loop: Header=BB8_710 Depth=4
	v_bfe_u32 v5, v4, 16, 1
	s_delay_alu instid0(VALU_DEP_1)
	v_add3_u32 v36, v4, v5, 0x7fff
                                        ; implicit-def: $vgpr4
; %bb.772:                              ;   in Loop: Header=BB8_710 Depth=4
	s_and_not1_saveexec_b32 s77, s77
; %bb.773:                              ;   in Loop: Header=BB8_710 Depth=4
	v_and_b32_e32 v5, 0xffff, v4
	v_or_b32_e32 v36, 0x10000, v4
	s_delay_alu instid0(VALU_DEP_2) | instskip(NEXT) | instid1(VALU_DEP_2)
	v_cmp_eq_u32_e32 vcc_lo, 0, v5
	v_cndmask_b32_e32 v36, v36, v4, vcc_lo
; %bb.774:                              ;   in Loop: Header=BB8_710 Depth=4
	s_or_b32 exec_lo, exec_lo, s77
	s_wait_loadcnt_dscnt 0x0
	v_dual_lshlrev_b32 v4, 16, v34 :: v_dual_lshlrev_b32 v5, 16, v35
	s_delay_alu instid0(VALU_DEP_1) | instskip(NEXT) | instid1(VALU_DEP_1)
	v_mul_f32_e32 v5, v5, v4
	v_and_b32_e32 v4, 0x7f800000, v5
	s_delay_alu instid0(VALU_DEP_1) | instskip(SKIP_1) | instid1(SALU_CYCLE_1)
	v_cmp_ne_u32_e32 vcc_lo, 0x7f800000, v4
                                        ; implicit-def: $vgpr4
	s_and_saveexec_b32 s77, vcc_lo
	s_xor_b32 s77, exec_lo, s77
; %bb.775:                              ;   in Loop: Header=BB8_710 Depth=4
	v_bfe_u32 v4, v5, 16, 1
	s_delay_alu instid0(VALU_DEP_1)
	v_add3_u32 v4, v5, v4, 0x7fff
                                        ; implicit-def: $vgpr5
; %bb.776:                              ;   in Loop: Header=BB8_710 Depth=4
	s_and_not1_saveexec_b32 s77, s77
	s_cbranch_execz .LBB8_709
; %bb.777:                              ;   in Loop: Header=BB8_710 Depth=4
	v_and_b32_e32 v4, 0xffff, v5
	v_or_b32_e32 v34, 0x10000, v5
	s_delay_alu instid0(VALU_DEP_2) | instskip(NEXT) | instid1(VALU_DEP_2)
	v_cmp_eq_u32_e32 vcc_lo, 0, v4
	v_cndmask_b32_e32 v4, v34, v5, vcc_lo
	s_branch .LBB8_709
.LBB8_778:                              ;   in Loop: Header=BB8_307 Depth=3
	s_or_b32 exec_lo, exec_lo, s40
	v_dual_lshlrev_b32 v49, 16, v53 :: v_dual_lshlrev_b32 v38, 16, v51
	v_dual_lshlrev_b32 v4, 16, v17 :: v_dual_lshlrev_b32 v39, 16, v18
	;; [unrolled: 1-line block ×8, first 2 shown]
	s_and_b32 s14, s14, exec_lo
.LBB8_779:                              ;   in Loop: Header=BB8_307 Depth=3
	s_or_b32 exec_lo, exec_lo, s13
	s_and_saveexec_b32 s13, s14
	s_cbranch_execz .LBB8_813
; %bb.780:                              ;   in Loop: Header=BB8_307 Depth=3
	v_mul_f32_e32 v4, v4, v49
	s_mov_b32 s14, exec_lo
                                        ; implicit-def: $vgpr12
	s_delay_alu instid0(VALU_DEP_1) | instskip(NEXT) | instid1(VALU_DEP_1)
	v_and_b32_e32 v5, 0x7f800000, v4
	v_cmpx_ne_u32_e32 0x7f800000, v5
	s_xor_b32 s14, exec_lo, s14
; %bb.781:                              ;   in Loop: Header=BB8_307 Depth=3
	v_bfe_u32 v5, v4, 16, 1
	s_delay_alu instid0(VALU_DEP_1)
	v_add3_u32 v12, v4, v5, 0x7fff
                                        ; implicit-def: $vgpr4
; %bb.782:                              ;   in Loop: Header=BB8_307 Depth=3
	s_and_not1_saveexec_b32 s14, s14
; %bb.783:                              ;   in Loop: Header=BB8_307 Depth=3
	v_and_b32_e32 v5, 0xffff, v4
	v_or_b32_e32 v12, 0x10000, v4
	s_delay_alu instid0(VALU_DEP_2) | instskip(NEXT) | instid1(VALU_DEP_2)
	v_cmp_eq_u32_e32 vcc_lo, 0, v5
	v_cndmask_b32_e32 v12, v12, v4, vcc_lo
; %bb.784:                              ;   in Loop: Header=BB8_307 Depth=3
	s_or_b32 exec_lo, exec_lo, s14
	v_mul_f32_e32 v4, v39, v38
	s_mov_b32 s14, exec_lo
                                        ; implicit-def: $vgpr13
	s_delay_alu instid0(VALU_DEP_1) | instskip(NEXT) | instid1(VALU_DEP_1)
	v_and_b32_e32 v5, 0x7f800000, v4
	v_cmpx_ne_u32_e32 0x7f800000, v5
	s_xor_b32 s14, exec_lo, s14
; %bb.785:                              ;   in Loop: Header=BB8_307 Depth=3
	v_bfe_u32 v5, v4, 16, 1
	s_delay_alu instid0(VALU_DEP_1)
	v_add3_u32 v13, v4, v5, 0x7fff
                                        ; implicit-def: $vgpr4
; %bb.786:                              ;   in Loop: Header=BB8_307 Depth=3
	s_and_not1_saveexec_b32 s14, s14
; %bb.787:                              ;   in Loop: Header=BB8_307 Depth=3
	v_and_b32_e32 v5, 0xffff, v4
	v_or_b32_e32 v13, 0x10000, v4
	s_delay_alu instid0(VALU_DEP_2) | instskip(NEXT) | instid1(VALU_DEP_2)
	v_cmp_eq_u32_e32 vcc_lo, 0, v5
	v_cndmask_b32_e32 v13, v13, v4, vcc_lo
; %bb.788:                              ;   in Loop: Header=BB8_307 Depth=3
	s_or_b32 exec_lo, exec_lo, s14
	v_mul_f32_e32 v4, v36, v35
	s_mov_b32 s14, exec_lo
                                        ; implicit-def: $vgpr22
	s_delay_alu instid0(VALU_DEP_1) | instskip(NEXT) | instid1(VALU_DEP_1)
	v_and_b32_e32 v5, 0x7f800000, v4
	v_cmpx_ne_u32_e32 0x7f800000, v5
	s_xor_b32 s14, exec_lo, s14
; %bb.789:                              ;   in Loop: Header=BB8_307 Depth=3
	v_bfe_u32 v5, v4, 16, 1
	s_delay_alu instid0(VALU_DEP_1)
	v_add3_u32 v22, v4, v5, 0x7fff
                                        ; implicit-def: $vgpr4
; %bb.790:                              ;   in Loop: Header=BB8_307 Depth=3
	s_and_not1_saveexec_b32 s14, s14
; %bb.791:                              ;   in Loop: Header=BB8_307 Depth=3
	v_and_b32_e32 v5, 0xffff, v4
	v_or_b32_e32 v22, 0x10000, v4
	s_delay_alu instid0(VALU_DEP_2) | instskip(NEXT) | instid1(VALU_DEP_2)
	v_cmp_eq_u32_e32 vcc_lo, 0, v5
	v_cndmask_b32_e32 v22, v22, v4, vcc_lo
; %bb.792:                              ;   in Loop: Header=BB8_307 Depth=3
	s_or_b32 exec_lo, exec_lo, s14
	v_mul_f32_e32 v4, v34, v29
	s_mov_b32 s14, exec_lo
                                        ; implicit-def: $vgpr23
	s_delay_alu instid0(VALU_DEP_1) | instskip(NEXT) | instid1(VALU_DEP_1)
	v_and_b32_e32 v5, 0x7f800000, v4
	v_cmpx_ne_u32_e32 0x7f800000, v5
	s_xor_b32 s14, exec_lo, s14
; %bb.793:                              ;   in Loop: Header=BB8_307 Depth=3
	v_bfe_u32 v5, v4, 16, 1
	s_delay_alu instid0(VALU_DEP_1)
	v_add3_u32 v23, v4, v5, 0x7fff
                                        ; implicit-def: $vgpr4
; %bb.794:                              ;   in Loop: Header=BB8_307 Depth=3
	s_and_not1_saveexec_b32 s14, s14
; %bb.795:                              ;   in Loop: Header=BB8_307 Depth=3
	v_and_b32_e32 v5, 0xffff, v4
	v_or_b32_e32 v23, 0x10000, v4
	s_delay_alu instid0(VALU_DEP_2) | instskip(NEXT) | instid1(VALU_DEP_2)
	v_cmp_eq_u32_e32 vcc_lo, 0, v5
	v_cndmask_b32_e32 v23, v23, v4, vcc_lo
; %bb.796:                              ;   in Loop: Header=BB8_307 Depth=3
	s_or_b32 exec_lo, exec_lo, s14
	v_mul_f32_e32 v4, v21, v28
	s_mov_b32 s14, exec_lo
                                        ; implicit-def: $vgpr21
	s_delay_alu instid0(VALU_DEP_1) | instskip(NEXT) | instid1(VALU_DEP_1)
	v_and_b32_e32 v5, 0x7f800000, v4
	v_cmpx_ne_u32_e32 0x7f800000, v5
	s_xor_b32 s14, exec_lo, s14
; %bb.797:                              ;   in Loop: Header=BB8_307 Depth=3
	v_bfe_u32 v5, v4, 16, 1
	s_delay_alu instid0(VALU_DEP_1)
	v_add3_u32 v21, v4, v5, 0x7fff
                                        ; implicit-def: $vgpr4
; %bb.798:                              ;   in Loop: Header=BB8_307 Depth=3
	s_and_not1_saveexec_b32 s14, s14
; %bb.799:                              ;   in Loop: Header=BB8_307 Depth=3
	v_and_b32_e32 v5, 0xffff, v4
	v_or_b32_e32 v21, 0x10000, v4
	s_delay_alu instid0(VALU_DEP_2) | instskip(NEXT) | instid1(VALU_DEP_2)
	v_cmp_eq_u32_e32 vcc_lo, 0, v5
	v_cndmask_b32_e32 v21, v21, v4, vcc_lo
; %bb.800:                              ;   in Loop: Header=BB8_307 Depth=3
	s_or_b32 exec_lo, exec_lo, s14
	v_mul_f32_e32 v4, v20, v19
	s_mov_b32 s14, exec_lo
                                        ; implicit-def: $vgpr19
	s_delay_alu instid0(VALU_DEP_1) | instskip(NEXT) | instid1(VALU_DEP_1)
	v_and_b32_e32 v5, 0x7f800000, v4
	v_cmpx_ne_u32_e32 0x7f800000, v5
	s_xor_b32 s14, exec_lo, s14
; %bb.801:                              ;   in Loop: Header=BB8_307 Depth=3
	v_bfe_u32 v5, v4, 16, 1
	s_delay_alu instid0(VALU_DEP_1)
	v_add3_u32 v19, v4, v5, 0x7fff
                                        ; implicit-def: $vgpr4
; %bb.802:                              ;   in Loop: Header=BB8_307 Depth=3
	s_and_not1_saveexec_b32 s14, s14
; %bb.803:                              ;   in Loop: Header=BB8_307 Depth=3
	v_and_b32_e32 v5, 0xffff, v4
	v_or_b32_e32 v19, 0x10000, v4
	s_delay_alu instid0(VALU_DEP_2) | instskip(NEXT) | instid1(VALU_DEP_2)
	v_cmp_eq_u32_e32 vcc_lo, 0, v5
	v_cndmask_b32_e32 v19, v19, v4, vcc_lo
; %bb.804:                              ;   in Loop: Header=BB8_307 Depth=3
	s_or_b32 exec_lo, exec_lo, s14
	v_mul_f32_e32 v5, v18, v17
	s_delay_alu instid0(VALU_DEP_1) | instskip(NEXT) | instid1(VALU_DEP_1)
	v_and_b32_e32 v4, 0x7f800000, v5
	v_cmp_ne_u32_e32 vcc_lo, 0x7f800000, v4
                                        ; implicit-def: $vgpr4
	s_and_saveexec_b32 s14, vcc_lo
	s_delay_alu instid0(SALU_CYCLE_1)
	s_xor_b32 s14, exec_lo, s14
; %bb.805:                              ;   in Loop: Header=BB8_307 Depth=3
	v_bfe_u32 v4, v5, 16, 1
	s_delay_alu instid0(VALU_DEP_1)
	v_add3_u32 v4, v5, v4, 0x7fff
                                        ; implicit-def: $vgpr5
; %bb.806:                              ;   in Loop: Header=BB8_307 Depth=3
	s_and_not1_saveexec_b32 s14, s14
; %bb.807:                              ;   in Loop: Header=BB8_307 Depth=3
	v_and_b32_e32 v4, 0xffff, v5
	v_or_b32_e32 v17, 0x10000, v5
	s_delay_alu instid0(VALU_DEP_2) | instskip(NEXT) | instid1(VALU_DEP_2)
	v_cmp_eq_u32_e32 vcc_lo, 0, v4
	v_cndmask_b32_e32 v4, v17, v5, vcc_lo
; %bb.808:                              ;   in Loop: Header=BB8_307 Depth=3
	s_or_b32 exec_lo, exec_lo, s14
	v_mul_f32_e32 v10, v11, v10
	s_delay_alu instid0(VALU_DEP_1) | instskip(NEXT) | instid1(VALU_DEP_1)
	v_and_b32_e32 v5, 0x7f800000, v10
	v_cmp_ne_u32_e32 vcc_lo, 0x7f800000, v5
                                        ; implicit-def: $vgpr5
	s_and_saveexec_b32 s14, vcc_lo
	s_delay_alu instid0(SALU_CYCLE_1)
	s_xor_b32 s14, exec_lo, s14
; %bb.809:                              ;   in Loop: Header=BB8_307 Depth=3
	v_bfe_u32 v5, v10, 16, 1
	s_delay_alu instid0(VALU_DEP_1)
	v_add3_u32 v5, v10, v5, 0x7fff
                                        ; implicit-def: $vgpr10
; %bb.810:                              ;   in Loop: Header=BB8_307 Depth=3
	s_and_not1_saveexec_b32 s14, s14
; %bb.811:                              ;   in Loop: Header=BB8_307 Depth=3
	v_and_b32_e32 v5, 0xffff, v10
	v_or_b32_e32 v11, 0x10000, v10
	s_delay_alu instid0(VALU_DEP_2) | instskip(NEXT) | instid1(VALU_DEP_2)
	v_cmp_eq_u32_e32 vcc_lo, 0, v5
	v_cndmask_b32_e32 v5, v11, v10, vcc_lo
; %bb.812:                              ;   in Loop: Header=BB8_307 Depth=3
	s_or_b32 exec_lo, exec_lo, s14
	s_clause 0x7
	flat_store_d16_hi_b16 v[8:9], v12 th:TH_STORE_NT
	flat_store_d16_hi_b16 v[8:9], v13 offset:64 th:TH_STORE_NT
	flat_store_d16_hi_b16 v[8:9], v22 offset:128 th:TH_STORE_NT
	;; [unrolled: 1-line block ×7, first 2 shown]
.LBB8_813:                              ;   in Loop: Header=BB8_307 Depth=3
	s_wait_xcnt 0x0
	s_or_b32 exec_lo, exec_lo, s13
	v_lshlrev_b32_e32 v4, 9, v16
	s_delay_alu instid0(VALU_DEP_1)
	v_cmp_ne_u32_e32 vcc_lo, v73, v4
	s_and_b32 exec_lo, exec_lo, vcc_lo
	s_cbranch_execz .LBB8_838
; %bb.814:                              ;   in Loop: Header=BB8_307 Depth=3
	v_lshlrev_b32_e32 v5, 5, v25
	s_delay_alu instid0(VALU_DEP_1) | instskip(NEXT) | instid1(VALU_DEP_1)
	v_sub_nc_u32_e32 v5, v15, v5
	v_ashrrev_i32_e32 v8, 31, v5
	s_delay_alu instid0(VALU_DEP_1) | instskip(NEXT) | instid1(VALU_DEP_1)
	v_lshrrev_b32_e32 v8, 27, v8
	v_add_nc_u32_e32 v8, v5, v8
	s_delay_alu instid0(VALU_DEP_1) | instskip(NEXT) | instid1(VALU_DEP_1)
	v_and_b32_e32 v9, 0x7fffffe0, v8
	v_dual_lshlrev_b32 v8, 1, v8 :: v_dual_sub_nc_u32 v5, v5, v9
	s_delay_alu instid0(VALU_DEP_1) | instskip(NEXT) | instid1(VALU_DEP_2)
	v_and_b32_e32 v8, 0xffffffc0, v8
	v_lshlrev_b32_e32 v5, 1, v5
	s_delay_alu instid0(VALU_DEP_1) | instskip(NEXT) | instid1(VALU_DEP_1)
	v_add3_u32 v4, v8, v5, v4
	v_sub_nc_u32_e32 v15, v73, v4
	s_delay_alu instid0(VALU_DEP_1)
	v_cmp_lt_i32_e32 vcc_lo, 1, v15
	s_and_b32 exec_lo, exec_lo, vcc_lo
	s_cbranch_execz .LBB8_838
; %bb.815:                              ;   in Loop: Header=BB8_307 Depth=3
	s_trap 2
	ds_load_b64 v[10:11], v0
	v_add_nc_u32_e32 v4, v4, v14
	s_mov_b32 s79, 0
	s_mov_b32 s77, 0
                                        ; implicit-def: $sgpr78
	s_delay_alu instid0(VALU_DEP_1) | instskip(NEXT) | instid1(VALU_DEP_1)
	v_ashrrev_i32_e32 v5, 31, v4
	v_add_nc_u64_e32 v[8:9], v[88:89], v[4:5]
	v_add_nc_u64_e32 v[12:13], v[4:5], v[78:79]
	s_wait_dscnt 0x0
	v_add_nc_u64_e32 v[10:11], v[10:11], v[4:5]
	s_branch .LBB8_817
.LBB8_816:                              ;   in Loop: Header=BB8_817 Depth=4
	s_or_b32 exec_lo, exec_lo, s13
	s_delay_alu instid0(VALU_DEP_1) | instskip(SKIP_2) | instid1(VALU_DEP_3)
	v_dual_cndmask_b32 v15, 0, v123, s79 :: v_dual_lshrrev_b32 v20, 16, v4
	v_add_nc_u64_e32 v[4:5], v[10:11], v[114:115]
	v_dual_cndmask_b32 v17, 0, v45, s79 :: v_dual_cndmask_b32 v16, 64, v44, s79
	v_sub_nc_u32_e32 v15, v14, v15
	v_add_nc_u64_e32 v[18:19], v[12:13], v[114:115]
	flat_store_b16 v[8:9], v20 th:TH_STORE_NT
	scratch_store_b16 off, v20, s33 offset:192
	v_cndmask_b32_e64 v11, v11, v5, s79
	v_cmp_gt_i32_e32 vcc_lo, 2, v15
	s_wait_xcnt 0x1
	v_add_nc_u64_e32 v[8:9], v[8:9], v[16:17]
	v_dual_cndmask_b32 v10, v10, v4, s79 :: v_dual_cndmask_b32 v13, v13, v19, s79
	v_cndmask_b32_e64 v12, v12, v18, s79
	s_or_b32 s77, vcc_lo, s77
	s_and_not1_b32 s13, s78, exec_lo
	s_and_b32 s14, s79, exec_lo
	s_delay_alu instid0(SALU_CYCLE_1)
	s_or_b32 s78, s13, s14
	s_wait_xcnt 0x0
	s_and_not1_b32 exec_lo, exec_lo, s77
	s_cbranch_execz .LBB8_832
.LBB8_817:                              ;   Parent Loop BB8_47 Depth=1
                                        ;     Parent Loop BB8_304 Depth=2
                                        ;       Parent Loop BB8_307 Depth=3
                                        ; =>      This Loop Header: Depth=4
                                        ;           Child Loop BB8_818 Depth 5
                                        ;           Child Loop BB8_827 Depth 5
	s_add_co_i32 s13, s33, 0xc0
	s_mov_b64 s[40:41], 0
	s_mov_b32 s88, s13
	s_mov_b32 s89, -1
.LBB8_818:                              ;   Parent Loop BB8_47 Depth=1
                                        ;     Parent Loop BB8_304 Depth=2
                                        ;       Parent Loop BB8_307 Depth=3
                                        ;         Parent Loop BB8_817 Depth=4
                                        ; =>        This Inner Loop Header: Depth=5
	s_cmp_eq_u32 s40, 1
	s_cselect_b32 vcc_lo, -1, 0
	s_cmp_eq_u32 s40, 0
	v_dual_cndmask_b32 v5, v13, v11 :: v_dual_cndmask_b32 v4, v12, v10
	s_cselect_b32 s13, -1, 0
	s_and_b32 s14, exec_lo, s89
	s_mov_b64 s[40:41], 1
	s_mov_b32 s89, 0
	flat_load_u16 v14, v[4:5] th:TH_LOAD_NT
	s_wait_xcnt 0x0
	v_add_nc_u64_e32 v[4:5], 64, v[4:5]
	s_delay_alu instid0(VALU_DEP_1)
	v_dual_cndmask_b32 v11, v11, v5 :: v_dual_cndmask_b32 v10, v10, v4
	v_dual_cndmask_b32 v13, v13, v5, s13 :: v_dual_cndmask_b32 v12, v12, v4, s13
	s_add_co_i32 s13, s33, 0xe0
	s_mov_b32 vcc_lo, s14
	s_wait_loadcnt_dscnt 0x0
	scratch_store_b16 off, v14, s88
	s_wait_xcnt 0x0
	s_mov_b32 s88, s13
	s_cbranch_vccnz .LBB8_818
; %bb.819:                              ;   in Loop: Header=BB8_817 Depth=4
	s_and_saveexec_b32 s13, s79
	s_cbranch_execz .LBB8_825
; %bb.820:                              ;   in Loop: Header=BB8_817 Depth=4
	s_clause 0x1
	scratch_load_u16 v4, off, s33 offset:188
	scratch_load_u16 v5, off, s33 offset:190
	s_wait_loadcnt 0x0
	v_dual_lshlrev_b32 v4, 16, v4 :: v_dual_lshlrev_b32 v5, 16, v5
	s_delay_alu instid0(VALU_DEP_1) | instskip(NEXT) | instid1(VALU_DEP_1)
	v_mul_f32_e32 v4, v5, v4
	v_and_b32_e32 v5, 0x7f800000, v4
	s_delay_alu instid0(VALU_DEP_1) | instskip(SKIP_2) | instid1(SALU_CYCLE_1)
	v_cmp_ne_u32_e32 vcc_lo, 0x7f800000, v5
                                        ; implicit-def: $vgpr5
	s_wait_xcnt 0x0
	s_and_saveexec_b32 s14, vcc_lo
	s_xor_b32 s14, exec_lo, s14
; %bb.821:                              ;   in Loop: Header=BB8_817 Depth=4
	v_bfe_u32 v5, v4, 16, 1
	s_delay_alu instid0(VALU_DEP_1)
	v_add3_u32 v5, v4, v5, 0x7fff
                                        ; implicit-def: $vgpr4
; %bb.822:                              ;   in Loop: Header=BB8_817 Depth=4
	s_and_not1_saveexec_b32 s14, s14
; %bb.823:                              ;   in Loop: Header=BB8_817 Depth=4
	v_and_b32_e32 v5, 0xffff, v4
	v_or_b32_e32 v14, 0x10000, v4
	s_delay_alu instid0(VALU_DEP_2) | instskip(NEXT) | instid1(VALU_DEP_2)
	v_cmp_eq_u32_e32 vcc_lo, 0, v5
	v_cndmask_b32_e32 v5, v14, v4, vcc_lo
; %bb.824:                              ;   in Loop: Header=BB8_817 Depth=4
	s_or_b32 exec_lo, exec_lo, s14
	s_delay_alu instid0(VALU_DEP_1)
	v_lshrrev_b32_e32 v4, 16, v5
	flat_store_b16 v[8:9], v4 th:TH_STORE_NT
	s_wait_xcnt 0x0
	v_add_nc_u64_e32 v[8:9], v[8:9], v[44:45]
	scratch_store_b16 off, v4, s33 offset:188
.LBB8_825:                              ;   in Loop: Header=BB8_817 Depth=4
	s_wait_xcnt 0x0
	s_or_b32 exec_lo, exec_lo, s13
	v_sub_nc_u32_e32 v14, v15, v123
	v_add_nc_u64_e32 v[12:13], v[12:13], v[114:115]
	v_add_nc_u64_e32 v[10:11], v[10:11], v[114:115]
	s_delay_alu instid0(VALU_DEP_3)
	v_cmp_lt_i32_e64 s79, 1, v14
	s_and_saveexec_b32 s88, s79
	s_cbranch_execz .LBB8_828
; %bb.826:                              ;   in Loop: Header=BB8_817 Depth=4
	s_add_co_i32 s13, s33, 0xbc
	s_mov_b64 s[40:41], 0
	s_mov_b32 s89, s13
	s_mov_b32 s90, -1
.LBB8_827:                              ;   Parent Loop BB8_47 Depth=1
                                        ;     Parent Loop BB8_304 Depth=2
                                        ;       Parent Loop BB8_307 Depth=3
                                        ;         Parent Loop BB8_817 Depth=4
                                        ; =>        This Inner Loop Header: Depth=5
	s_cmp_eq_u32 s40, 1
	s_cselect_b32 vcc_lo, -1, 0
	s_cmp_eq_u32 s40, 0
	v_dual_cndmask_b32 v5, v13, v11 :: v_dual_cndmask_b32 v4, v12, v10
	s_cselect_b32 s13, -1, 0
	s_and_b32 s14, exec_lo, s90
	s_mov_b64 s[40:41], 1
	s_mov_b32 s90, 0
	flat_load_u16 v15, v[4:5] th:TH_LOAD_NT
	s_wait_xcnt 0x0
	v_add_nc_u64_e32 v[4:5], 64, v[4:5]
	s_delay_alu instid0(VALU_DEP_1)
	v_dual_cndmask_b32 v13, v13, v5, s13 :: v_dual_cndmask_b32 v12, v12, v4, s13
	v_dual_cndmask_b32 v11, v11, v5 :: v_dual_cndmask_b32 v10, v10, v4
	s_add_co_i32 s13, s33, 0xbe
	s_mov_b32 vcc_lo, s14
	s_wait_loadcnt_dscnt 0x0
	scratch_store_b16 off, v15, s89
	s_wait_xcnt 0x0
	s_mov_b32 s89, s13
	s_cbranch_vccnz .LBB8_827
.LBB8_828:                              ;   in Loop: Header=BB8_817 Depth=4
	s_or_b32 exec_lo, exec_lo, s88
	s_clause 0x1
	scratch_load_u16 v4, off, s33 offset:192
	scratch_load_u16 v5, off, s33 offset:224
	s_wait_loadcnt 0x0
	v_dual_lshlrev_b32 v4, 16, v4 :: v_dual_lshlrev_b32 v5, 16, v5
	s_delay_alu instid0(VALU_DEP_1) | instskip(NEXT) | instid1(VALU_DEP_1)
	v_mul_f32_e32 v5, v5, v4
	v_and_b32_e32 v4, 0x7f800000, v5
	s_delay_alu instid0(VALU_DEP_1) | instskip(SKIP_2) | instid1(SALU_CYCLE_1)
	v_cmp_ne_u32_e32 vcc_lo, 0x7f800000, v4
                                        ; implicit-def: $vgpr4
	s_wait_xcnt 0x0
	s_and_saveexec_b32 s13, vcc_lo
	s_xor_b32 s13, exec_lo, s13
; %bb.829:                              ;   in Loop: Header=BB8_817 Depth=4
	v_bfe_u32 v4, v5, 16, 1
	s_delay_alu instid0(VALU_DEP_1)
	v_add3_u32 v4, v5, v4, 0x7fff
                                        ; implicit-def: $vgpr5
; %bb.830:                              ;   in Loop: Header=BB8_817 Depth=4
	s_and_not1_saveexec_b32 s13, s13
	s_cbranch_execz .LBB8_816
; %bb.831:                              ;   in Loop: Header=BB8_817 Depth=4
	v_and_b32_e32 v4, 0xffff, v5
	v_or_b32_e32 v15, 0x10000, v5
	s_delay_alu instid0(VALU_DEP_2) | instskip(NEXT) | instid1(VALU_DEP_2)
	v_cmp_eq_u32_e32 vcc_lo, 0, v4
	v_cndmask_b32_e32 v4, v15, v5, vcc_lo
	s_branch .LBB8_816
.LBB8_832:                              ;   in Loop: Header=BB8_307 Depth=3
	s_or_b32 exec_lo, exec_lo, s77
	s_delay_alu instid0(SALU_CYCLE_1)
	s_and_b32 exec_lo, exec_lo, s78
	s_cbranch_execz .LBB8_838
; %bb.833:                              ;   in Loop: Header=BB8_307 Depth=3
	s_clause 0x1
	scratch_load_u16 v4, off, s33 offset:188
	scratch_load_u16 v5, off, s33 offset:190
	s_wait_loadcnt 0x0
	v_dual_lshlrev_b32 v4, 16, v4 :: v_dual_lshlrev_b32 v5, 16, v5
	s_delay_alu instid0(VALU_DEP_1) | instskip(NEXT) | instid1(VALU_DEP_1)
	v_mul_f32_e32 v4, v5, v4
	v_and_b32_e32 v5, 0x7f800000, v4
	s_delay_alu instid0(VALU_DEP_1) | instskip(SKIP_2) | instid1(SALU_CYCLE_1)
	v_cmp_ne_u32_e32 vcc_lo, 0x7f800000, v5
                                        ; implicit-def: $vgpr5
	s_wait_xcnt 0x0
	s_and_saveexec_b32 s13, vcc_lo
	s_xor_b32 s13, exec_lo, s13
; %bb.834:                              ;   in Loop: Header=BB8_307 Depth=3
	v_bfe_u32 v5, v4, 16, 1
	s_delay_alu instid0(VALU_DEP_1)
	v_add3_u32 v5, v4, v5, 0x7fff
                                        ; implicit-def: $vgpr4
; %bb.835:                              ;   in Loop: Header=BB8_307 Depth=3
	s_and_not1_saveexec_b32 s13, s13
; %bb.836:                              ;   in Loop: Header=BB8_307 Depth=3
	v_and_b32_e32 v5, 0xffff, v4
	v_or_b32_e32 v10, 0x10000, v4
	s_delay_alu instid0(VALU_DEP_2) | instskip(NEXT) | instid1(VALU_DEP_2)
	v_cmp_eq_u32_e32 vcc_lo, 0, v5
	v_cndmask_b32_e32 v5, v10, v4, vcc_lo
; %bb.837:                              ;   in Loop: Header=BB8_307 Depth=3
	s_or_b32 exec_lo, exec_lo, s13
	flat_store_d16_hi_b16 v[8:9], v5 th:TH_STORE_NT
.LBB8_838:                              ;   in Loop: Header=BB8_307 Depth=3
	s_wait_xcnt 0x0
	s_or_b32 exec_lo, exec_lo, s15
	v_cmp_lt_i32_e64 s13, 0, v2
	s_and_saveexec_b32 s14, s2
	s_cbranch_execz .LBB8_382
.LBB8_839:                              ;   in Loop: Header=BB8_307 Depth=3
	s_and_saveexec_b32 s15, s3
	s_delay_alu instid0(SALU_CYCLE_1)
	s_xor_b32 s15, exec_lo, s15
	s_cbranch_execz .LBB8_854
; %bb.840:                              ;   in Loop: Header=BB8_307 Depth=3
	s_and_saveexec_b32 s40, s6
	s_cbranch_execz .LBB8_853
; %bb.841:                              ;   in Loop: Header=BB8_307 Depth=3
	s_mov_b32 s77, exec_lo
	s_mov_b32 s41, exec_lo
	v_mbcnt_lo_u32_b32 v2, s77, 0
	global_wb scope:SCOPE_DEV
	s_wait_storecnt 0x0
	s_wait_loadcnt_dscnt 0x0
	global_inv scope:SCOPE_DEV
	v_cmpx_eq_u32_e32 0, v2
	s_cbranch_execz .LBB8_843
; %bb.842:                              ;   in Loop: Header=BB8_307 Depth=3
	s_bcnt1_i32_b32 s77, s77
	s_delay_alu instid0(SALU_CYCLE_1)
	v_mov_b32_e32 v2, s77
	s_wait_loadcnt 0x0
	ds_add_u64 v0, v[2:3]
	s_trap 2
.LBB8_843:                              ;   in Loop: Header=BB8_307 Depth=3
	s_or_b32 exec_lo, exec_lo, s41
	s_trap 2
	ds_load_b64 v[4:5], v0
	s_wait_dscnt 0x0
	v_add_nc_u64_e32 v[80:81], v[80:81], v[84:85]
	s_mov_b32 s41, exec_lo
	s_delay_alu instid0(VALU_DEP_1)
	v_cmpx_lt_u64_e64 v[4:5], v[80:81]
	s_cbranch_execz .LBB8_852
; %bb.844:                              ;   in Loop: Header=BB8_307 Depth=3
	s_mov_b32 s77, 0
	s_mov_b32 s88, 0
                                        ; implicit-def: $sgpr78
                                        ; implicit-def: $sgpr79
	s_branch .LBB8_846
.LBB8_845:                              ;   in Loop: Header=BB8_846 Depth=4
	s_or_b32 exec_lo, exec_lo, s90
	s_delay_alu instid0(SALU_CYCLE_1) | instskip(NEXT) | instid1(SALU_CYCLE_1)
	s_and_b32 s89, exec_lo, s91
	s_or_b32 s77, s89, s77
	s_and_not1_b32 s78, s78, exec_lo
	s_and_b32 s89, s79, exec_lo
	s_delay_alu instid0(SALU_CYCLE_1)
	s_or_b32 s78, s78, s89
	s_and_not1_b32 exec_lo, exec_lo, s77
	s_cbranch_execz .LBB8_850
.LBB8_846:                              ;   Parent Loop BB8_47 Depth=1
                                        ;     Parent Loop BB8_304 Depth=2
                                        ;       Parent Loop BB8_307 Depth=3
                                        ; =>      This Inner Loop Header: Depth=4
	s_add_co_i32 s88, s88, 1
	s_delay_alu instid0(SALU_CYCLE_1) | instskip(SKIP_1) | instid1(SALU_CYCLE_1)
	s_cmp_lg_u32 s88, 0x2710
	s_cselect_b32 s89, -1, 0
	s_and_b32 vcc_lo, exec_lo, s89
	s_cbranch_vccz .LBB8_848
; %bb.847:                              ;   in Loop: Header=BB8_846 Depth=4
	s_mov_b32 s91, -1
	s_or_b32 s79, s79, exec_lo
	s_and_saveexec_b32 s90, s89
	s_cbranch_execz .LBB8_845
	s_branch .LBB8_849
.LBB8_848:                              ;   in Loop: Header=BB8_846 Depth=4
	s_trap 2
	ds_load_b64 v[4:5], v0
	s_and_not1_b32 s89, s89, exec_lo
	s_mov_b32 s88, 0
	s_wait_loadcnt_dscnt 0x0
	flat_load_b32 v2, v[4:5] scope:SCOPE_SYS
	s_wait_loadcnt_dscnt 0x0
	global_inv scope:SCOPE_SYS
	v_cmp_eq_u32_e32 vcc_lo, 0, v2
	s_and_b32 s90, vcc_lo, exec_lo
	s_delay_alu instid0(SALU_CYCLE_1)
	s_or_b32 s89, s89, s90
	s_mov_b32 s91, -1
	s_or_b32 s79, s79, exec_lo
	s_wait_xcnt 0x0
	s_and_saveexec_b32 s90, s89
	s_cbranch_execz .LBB8_845
.LBB8_849:                              ;   in Loop: Header=BB8_846 Depth=4
	s_sleep 1
	s_trap 2
	ds_load_b64 v[4:5], v0
	s_wait_dscnt 0x0
	s_and_not1_b32 s79, s79, exec_lo
	v_cmp_ge_u64_e32 vcc_lo, v[4:5], v[80:81]
	s_or_not1_b32 s91, vcc_lo, exec_lo
	s_branch .LBB8_845
.LBB8_850:                              ;   in Loop: Header=BB8_307 Depth=3
	s_or_b32 exec_lo, exec_lo, s77
	s_and_saveexec_b32 s77, s78
	s_delay_alu instid0(SALU_CYCLE_1)
	s_xor_b32 s77, exec_lo, s77
	s_cbranch_execz .LBB8_852
; %bb.851:                              ;   in Loop: Header=BB8_307 Depth=3
	ds_store_b32 v0, v111
	s_trap 2
.LBB8_852:                              ;   in Loop: Header=BB8_307 Depth=3
	s_or_b32 exec_lo, exec_lo, s41
	;;#ASMSTART
	s_wakeup
	;;#ASMEND
.LBB8_853:                              ;   in Loop: Header=BB8_307 Depth=3
	s_or_b32 exec_lo, exec_lo, s40
.LBB8_854:                              ;   in Loop: Header=BB8_307 Depth=3
	s_and_not1_saveexec_b32 s15, s15
	s_cbranch_execz .LBB8_856
; %bb.855:                              ;   in Loop: Header=BB8_307 Depth=3
	global_wb scope:SCOPE_DEV
	s_wait_storecnt 0x0
	s_wait_loadcnt_dscnt 0x0
	global_inv scope:SCOPE_DEV
	s_barrier_signal -1
	s_barrier_wait -1
.LBB8_856:                              ;   in Loop: Header=BB8_307 Depth=3
	s_or_b32 exec_lo, exec_lo, s15
	s_delay_alu instid0(SALU_CYCLE_1) | instskip(SKIP_1) | instid1(SALU_CYCLE_1)
	s_or_b32 exec_lo, exec_lo, s14
                                        ; implicit-def: $vgpr2
	s_and_saveexec_b32 s14, s10
	s_xor_b32 s14, exec_lo, s14
	s_cbranch_execnz .LBB8_383
.LBB8_857:                              ;   in Loop: Header=BB8_307 Depth=3
	s_and_not1_saveexec_b32 s13, s14
	s_cbranch_execz .LBB8_876
.LBB8_858:                              ;   in Loop: Header=BB8_307 Depth=3
	s_and_saveexec_b32 s14, s3
	s_delay_alu instid0(SALU_CYCLE_1)
	s_xor_b32 s14, exec_lo, s14
	s_cbranch_execz .LBB8_873
; %bb.859:                              ;   in Loop: Header=BB8_307 Depth=3
	s_and_saveexec_b32 s15, s6
	s_cbranch_execz .LBB8_872
; %bb.860:                              ;   in Loop: Header=BB8_307 Depth=3
	s_mov_b32 s41, exec_lo
	s_mov_b32 s40, exec_lo
	v_mbcnt_lo_u32_b32 v2, s41, 0
	;;#ASMSTART
	s_waitcnt lgkmcnt(0) vmcnt(0)
	;;#ASMEND
	s_delay_alu instid0(VALU_DEP_1)
	v_cmpx_eq_u32_e32 0, v2
	s_cbranch_execz .LBB8_862
; %bb.861:                              ;   in Loop: Header=BB8_307 Depth=3
	s_bcnt1_i32_b32 s41, s41
	s_delay_alu instid0(SALU_CYCLE_1)
	v_mov_b32_e32 v2, s41
	s_wait_storecnt 0x0
	s_wait_loadcnt_dscnt 0x0
	ds_add_u64 v0, v[2:3]
	s_trap 2
.LBB8_862:                              ;   in Loop: Header=BB8_307 Depth=3
	s_or_b32 exec_lo, exec_lo, s40
	s_trap 2
	ds_load_b64 v[4:5], v0
	s_wait_dscnt 0x0
	v_add_nc_u64_e32 v[80:81], v[80:81], v[84:85]
	s_mov_b32 s40, exec_lo
	s_delay_alu instid0(VALU_DEP_1)
	v_cmpx_lt_u64_e64 v[4:5], v[80:81]
	s_cbranch_execz .LBB8_871
; %bb.863:                              ;   in Loop: Header=BB8_307 Depth=3
	s_mov_b32 s41, 0
	s_mov_b32 s79, 0
                                        ; implicit-def: $sgpr77
                                        ; implicit-def: $sgpr78
	s_branch .LBB8_865
.LBB8_864:                              ;   in Loop: Header=BB8_865 Depth=4
	s_or_b32 exec_lo, exec_lo, s89
	s_delay_alu instid0(SALU_CYCLE_1) | instskip(NEXT) | instid1(SALU_CYCLE_1)
	s_and_b32 s88, exec_lo, s90
	s_or_b32 s41, s88, s41
	s_and_not1_b32 s77, s77, exec_lo
	s_and_b32 s88, s78, exec_lo
	s_delay_alu instid0(SALU_CYCLE_1)
	s_or_b32 s77, s77, s88
	s_and_not1_b32 exec_lo, exec_lo, s41
	s_cbranch_execz .LBB8_869
.LBB8_865:                              ;   Parent Loop BB8_47 Depth=1
                                        ;     Parent Loop BB8_304 Depth=2
                                        ;       Parent Loop BB8_307 Depth=3
                                        ; =>      This Inner Loop Header: Depth=4
	s_add_co_i32 s79, s79, 1
	s_delay_alu instid0(SALU_CYCLE_1) | instskip(SKIP_1) | instid1(SALU_CYCLE_1)
	s_cmp_lg_u32 s79, 0x2710
	s_cselect_b32 s88, -1, 0
	s_and_b32 vcc_lo, exec_lo, s88
	s_cbranch_vccz .LBB8_867
; %bb.866:                              ;   in Loop: Header=BB8_865 Depth=4
	s_mov_b32 s90, -1
	s_or_b32 s78, s78, exec_lo
	s_and_saveexec_b32 s89, s88
	s_cbranch_execz .LBB8_864
	s_branch .LBB8_868
.LBB8_867:                              ;   in Loop: Header=BB8_865 Depth=4
	s_trap 2
	ds_load_b64 v[4:5], v0
	s_and_not1_b32 s88, s88, exec_lo
	s_mov_b32 s79, 0
	s_wait_storecnt 0x0
	s_wait_loadcnt_dscnt 0x0
	flat_load_b32 v2, v[4:5] scope:SCOPE_SYS
	s_wait_loadcnt_dscnt 0x0
	global_inv scope:SCOPE_SYS
	v_cmp_eq_u32_e32 vcc_lo, 0, v2
	s_and_b32 s89, vcc_lo, exec_lo
	s_delay_alu instid0(SALU_CYCLE_1)
	s_or_b32 s88, s88, s89
	s_mov_b32 s90, -1
	s_or_b32 s78, s78, exec_lo
	s_wait_xcnt 0x0
	s_and_saveexec_b32 s89, s88
	s_cbranch_execz .LBB8_864
.LBB8_868:                              ;   in Loop: Header=BB8_865 Depth=4
	s_sleep 1
	s_trap 2
	ds_load_b64 v[4:5], v0
	s_wait_dscnt 0x0
	s_and_not1_b32 s78, s78, exec_lo
	v_cmp_ge_u64_e32 vcc_lo, v[4:5], v[80:81]
	s_or_not1_b32 s90, vcc_lo, exec_lo
	s_branch .LBB8_864
.LBB8_869:                              ;   in Loop: Header=BB8_307 Depth=3
	s_or_b32 exec_lo, exec_lo, s41
	s_and_saveexec_b32 s41, s77
	s_delay_alu instid0(SALU_CYCLE_1)
	s_xor_b32 s41, exec_lo, s41
	s_cbranch_execz .LBB8_871
; %bb.870:                              ;   in Loop: Header=BB8_307 Depth=3
	ds_store_b32 v0, v111
	s_trap 2
.LBB8_871:                              ;   in Loop: Header=BB8_307 Depth=3
	s_or_b32 exec_lo, exec_lo, s40
	;;#ASMSTART
	s_wakeup
	;;#ASMEND
.LBB8_872:                              ;   in Loop: Header=BB8_307 Depth=3
	s_or_b32 exec_lo, exec_lo, s15
.LBB8_873:                              ;   in Loop: Header=BB8_307 Depth=3
	s_and_not1_saveexec_b32 s14, s14
	s_cbranch_execz .LBB8_875
; %bb.874:                              ;   in Loop: Header=BB8_307 Depth=3
	;;#ASMSTART
	s_waitcnt lgkmcnt(0) vmcnt(0)
	;;#ASMEND
	s_barrier_signal -1
	s_barrier_wait -1
.LBB8_875:                              ;   in Loop: Header=BB8_307 Depth=3
	s_or_b32 exec_lo, exec_lo, s14
	v_and_b32_e32 v2, 16, v30
.LBB8_876:                              ;   in Loop: Header=BB8_307 Depth=3
	s_or_b32 exec_lo, exec_lo, s13
	s_delay_alu instid0(VALU_DEP_1) | instskip(SKIP_1) | instid1(SALU_CYCLE_1)
	v_cmp_ne_u32_e32 vcc_lo, 0, v2
	s_xor_b32 s13, s4, -1
	s_and_b32 s14, vcc_lo, s13
	s_delay_alu instid0(SALU_CYCLE_1)
	s_and_saveexec_b32 s13, s14
	s_cbranch_execz .LBB8_878
; %bb.877:                              ;   in Loop: Header=BB8_307 Depth=3
	global_wb scope:SCOPE_SYS
	s_wait_storecnt 0x0
	s_wait_loadcnt_dscnt 0x0
	flat_store_b32 v[70:71], v111 scope:SCOPE_SYS
.LBB8_878:                              ;   in Loop: Header=BB8_307 Depth=3
	s_wait_xcnt 0x0
	s_or_b32 exec_lo, exec_lo, s13
	v_and_b32_e32 v2, 48, v30
	s_mov_b32 s13, exec_lo
	s_delay_alu instid0(VALU_DEP_1)
	v_cmpx_ne_u32_e32 0, v2
	s_cbranch_execz .LBB8_306
; %bb.879:                              ;   in Loop: Header=BB8_307 Depth=3
	v_add_nc_u64_e32 v[58:59], 2, v[58:59]
	global_wb scope:SCOPE_SYS
	s_wait_storecnt 0x0
	s_wait_loadcnt_dscnt 0x0
	flat_store_b64 v[64:65], v[58:59] scope:SCOPE_SYS
	s_branch .LBB8_306
.LBB8_880:                              ;   in Loop: Header=BB8_304 Depth=2
	s_or_b32 exec_lo, exec_lo, s74
.LBB8_881:                              ;   in Loop: Header=BB8_304 Depth=2
	s_delay_alu instid0(SALU_CYCLE_1) | instskip(NEXT) | instid1(SALU_CYCLE_1)
	s_or_b32 exec_lo, exec_lo, s27
	s_mov_b32 s14, exec_lo
	v_cmpx_gt_i32_e32 2, v2
	s_cbranch_execz .LBB8_303
; %bb.882:                              ;   in Loop: Header=BB8_304 Depth=2
	v_cmp_eq_u32_e64 s27, 0, v2
	s_mov_b32 s15, 0
	s_branch .LBB8_884
.LBB8_883:                              ;   in Loop: Header=BB8_884 Depth=3
	s_wait_xcnt 0x0
	s_or_b32 exec_lo, exec_lo, s13
	v_add_nc_u32_e32 v74, v72, v74
	s_mov_b32 s27, 0
	s_and_not1_b32 exec_lo, exec_lo, s15
	s_cbranch_execz .LBB8_302
.LBB8_884:                              ;   Parent Loop BB8_47 Depth=1
                                        ;     Parent Loop BB8_304 Depth=2
                                        ; =>    This Loop Header: Depth=3
                                        ;         Child Loop BB8_890 Depth 4
                                        ;         Child Loop BB8_918 Depth 4
	;; [unrolled: 1-line block ×3, first 2 shown]
	s_delay_alu instid0(VALU_DEP_1) | instskip(SKIP_2) | instid1(VALU_DEP_2)
	v_sub_nc_u32_e32 v2, v106, v74
	v_and_b32_e32 v4, 12, v30
	s_mov_b32 s40, exec_lo
	v_min_i32_e32 v72, v72, v2
	s_delay_alu instid0(VALU_DEP_2)
	v_cmpx_ne_u32_e32 0, v4
	s_cbranch_execz .LBB8_910
; %bb.885:                              ;   in Loop: Header=BB8_884 Depth=3
	v_and_b32_e32 v2, 8, v30
	v_add_nc_u64_e32 v[8:9], 2, v[58:59]
	s_mov_b32 s41, exec_lo
	s_wait_loadcnt_dscnt 0x1
	s_delay_alu instid0(VALU_DEP_2) | instskip(NEXT) | instid1(VALU_DEP_1)
	v_add_nc_u64_e32 v[4:5], v[82:83], v[2:3]
	v_cmpx_lt_u64_e64 v[4:5], v[8:9]
	s_cbranch_execz .LBB8_897
; %bb.886:                              ;   in Loop: Header=BB8_884 Depth=3
	v_and_b32_e32 v4, 64, v30
	s_mov_b32 s74, 0
	s_mov_b32 s78, 0
                                        ; implicit-def: $sgpr75
                                        ; implicit-def: $sgpr76
                                        ; implicit-def: $sgpr77
	s_delay_alu instid0(VALU_DEP_1)
	v_cmp_eq_u32_e32 vcc_lo, 0, v4
	s_branch .LBB8_890
.LBB8_887:                              ;   in Loop: Header=BB8_890 Depth=4
	s_wait_loadcnt_dscnt 0x0
	v_add_nc_u64_e32 v[4:5], v[82:83], v[2:3]
	s_or_b32 s89, s89, exec_lo
	s_delay_alu instid0(VALU_DEP_1)
	v_cmp_ge_u64_e64 s13, v[4:5], v[8:9]
	s_or_not1_b32 s88, s13, exec_lo
.LBB8_888:                              ;   in Loop: Header=BB8_890 Depth=4
	s_or_b32 exec_lo, exec_lo, s91
	s_delay_alu instid0(SALU_CYCLE_1)
	s_and_not1_b32 s13, s77, exec_lo
	s_and_b32 s77, s89, exec_lo
	s_and_not1_b32 s76, s76, exec_lo
	s_and_b32 s88, s88, exec_lo
	s_or_b32 s77, s13, s77
	s_or_b32 s76, s76, s88
.LBB8_889:                              ;   in Loop: Header=BB8_890 Depth=4
	s_or_b32 exec_lo, exec_lo, s79
	s_delay_alu instid0(SALU_CYCLE_1) | instskip(NEXT) | instid1(SALU_CYCLE_1)
	s_and_b32 s13, exec_lo, s76
	s_or_b32 s74, s13, s74
	s_and_not1_b32 s13, s75, exec_lo
	s_and_b32 s75, s77, exec_lo
	s_delay_alu instid0(SALU_CYCLE_1)
	s_or_b32 s75, s13, s75
	s_and_not1_b32 exec_lo, exec_lo, s74
	s_cbranch_execz .LBB8_894
.LBB8_890:                              ;   Parent Loop BB8_47 Depth=1
                                        ;     Parent Loop BB8_304 Depth=2
                                        ;       Parent Loop BB8_884 Depth=3
                                        ; =>      This Inner Loop Header: Depth=4
	s_sleep 1
	s_wait_loadcnt_dscnt 0x0
	flat_load_b64 v[82:83], v[64:65] scope:SCOPE_SYS
	s_or_b32 s77, s77, exec_lo
	s_or_b32 s76, s76, exec_lo
                                        ; implicit-def: $vgpr10
	s_wait_xcnt 0x0
	s_and_saveexec_b32 s79, vcc_lo
	s_cbranch_execz .LBB8_889
; %bb.891:                              ;   in Loop: Header=BB8_890 Depth=4
	s_cmp_lt_i32 s78, 0x270f
	s_mov_b32 s88, -1
	s_cselect_b32 s90, -1, 0
	s_cmp_gt_i32 s78, 0x270e
	s_cbranch_scc0 .LBB8_893
; %bb.892:                              ;   in Loop: Header=BB8_890 Depth=4
	s_trap 2
	ds_load_b64 v[4:5], v0
	s_and_not1_b32 s78, s90, exec_lo
	s_mov_b32 s89, 0
	s_wait_storecnt 0x0
	s_wait_loadcnt_dscnt 0x0
	flat_load_b32 v10, v[4:5] scope:SCOPE_SYS
	s_wait_loadcnt_dscnt 0x0
	global_inv scope:SCOPE_SYS
	v_cmp_eq_u32_e64 s13, 0, v10
	s_and_b32 s13, s13, exec_lo
	s_delay_alu instid0(SALU_CYCLE_1)
	s_or_b32 s90, s78, s13
	s_mov_b32 s78, 0
	s_wait_xcnt 0x0
	s_and_saveexec_b32 s91, s90
	s_cbranch_execz .LBB8_888
	s_branch .LBB8_887
.LBB8_893:                              ;   in Loop: Header=BB8_890 Depth=4
	s_add_co_i32 s78, s78, 1
	s_mov_b32 s89, -1
                                        ; implicit-def: $vgpr10
	s_and_saveexec_b32 s91, s90
	s_cbranch_execz .LBB8_888
	s_branch .LBB8_887
.LBB8_894:                              ;   in Loop: Header=BB8_884 Depth=3
	s_or_b32 exec_lo, exec_lo, s74
	s_xor_b32 s13, s75, -1
	s_delay_alu instid0(SALU_CYCLE_1) | instskip(NEXT) | instid1(SALU_CYCLE_1)
	s_and_saveexec_b32 s74, s13
	s_xor_b32 s13, exec_lo, s74
	s_cbranch_execz .LBB8_896
; %bb.895:                              ;   in Loop: Header=BB8_884 Depth=3
	v_or_b32_e32 v30, 64, v30
	s_wait_storecnt 0x0
	s_wait_loadcnt_dscnt 0x0
	ds_store_b32 v0, v10
	s_trap 2
.LBB8_896:                              ;   in Loop: Header=BB8_884 Depth=3
	s_or_b32 exec_lo, exec_lo, s13
.LBB8_897:                              ;   in Loop: Header=BB8_884 Depth=3
	s_delay_alu instid0(SALU_CYCLE_1) | instskip(SKIP_3) | instid1(VALU_DEP_1)
	s_or_b32 exec_lo, exec_lo, s41
	v_and_b32_e32 v4, 0x108, v30
	s_mov_b32 s13, exec_lo
	;;#ASMSTART
	s_wakeup
	;;#ASMEND
                                        ; implicit-def: $vgpr10_vgpr11
	v_cmpx_ne_u32_e32 0x108, v4
	s_xor_b32 s13, exec_lo, s13
; %bb.898:                              ;   in Loop: Header=BB8_884 Depth=3
	v_dual_mov_b32 v11, v3 :: v_dual_bitop2_b32 v10, 7, v58 bitop3:0x40
                                        ; implicit-def: $vgpr58_vgpr59
; %bb.899:                              ;   in Loop: Header=BB8_884 Depth=3
	s_and_not1_saveexec_b32 s13, s13
	s_cbranch_execz .LBB8_901
; %bb.900:                              ;   in Loop: Header=BB8_884 Depth=3
	v_dual_ashrrev_i32 v73, 31, v72 :: v_dual_bitop2_b32 v10, 7, v58 bitop3:0x40
	v_mov_b32_e32 v11, v3
	s_delay_alu instid0(VALU_DEP_2) | instskip(NEXT) | instid1(VALU_DEP_3)
	v_mad_nc_u64_u32 v[4:5], v10, 24, v[6:7]
	v_lshlrev_b64_e32 v[12:13], 1, v[72:73]
	flat_store_b64 v[4:5], v[12:13] offset:8
.LBB8_901:                              ;   in Loop: Header=BB8_884 Depth=3
	s_wait_xcnt 0x0
	s_or_b32 exec_lo, exec_lo, s13
	v_and_b32_e32 v4, 0x100, v30
	s_mov_b32 s13, -1
	s_mov_b32 s41, exec_lo
                                        ; implicit-def: $vgpr12_vgpr13
	s_delay_alu instid0(VALU_DEP_1)
	v_cmpx_ne_u32_e32 0, v4
	s_cbranch_execz .LBB8_905
; %bb.902:                              ;   in Loop: Header=BB8_884 Depth=3
	v_mad_nc_u64_u32 v[14:15], v10, 24, v[6:7]
	s_mov_b32 s74, exec_lo
                                        ; implicit-def: $vgpr12_vgpr13
	s_delay_alu instid0(VALU_DEP_1)
	v_mad_u32 v15, v11, 24, v15
	flat_load_b32 v4, v[14:15]
	s_wait_loadcnt_dscnt 0x0
	v_cmp_ne_u32_e32 vcc_lo, 1, v4
	s_wait_xcnt 0x0
	v_cmpx_eq_u32_e32 1, v4
	s_cbranch_execz .LBB8_904
; %bb.903:                              ;   in Loop: Header=BB8_884 Depth=3
	flat_load_b32 v4, v[14:15] offset:4 scope:SCOPE_SYS
	s_wait_loadcnt_dscnt 0x0
	v_ashrrev_i32_e32 v5, 31, v4
	s_delay_alu instid0(VALU_DEP_1)
	v_lshrrev_b64 v[12:13], 1, v[4:5]
.LBB8_904:                              ;   in Loop: Header=BB8_884 Depth=3
	s_wait_xcnt 0x0
	s_or_b32 exec_lo, exec_lo, s74
	s_delay_alu instid0(SALU_CYCLE_1)
	s_or_not1_b32 s13, vcc_lo, exec_lo
.LBB8_905:                              ;   in Loop: Header=BB8_884 Depth=3
	s_or_b32 exec_lo, exec_lo, s41
	s_and_saveexec_b32 s41, s13
; %bb.906:                              ;   in Loop: Header=BB8_884 Depth=3
	v_mul_u64_e32 v[12:13], v[10:11], v[66:67]
; %bb.907:                              ;   in Loop: Header=BB8_884 Depth=3
	s_or_b32 exec_lo, exec_lo, s41
	v_cmp_eq_u32_e32 vcc_lo, 0, v2
	v_and_b32_e32 v10, 0x2000, v30
	s_delay_alu instid0(VALU_DEP_3) | instskip(SKIP_2) | instid1(VALU_DEP_1)
	v_lshl_add_u64 v[4:5], v[12:13], 1, v[68:69]
	s_mov_b32 s13, exec_lo
	v_cndmask_b32_e32 v2, 0xc8, v120, vcc_lo
	v_add_nc_u32_e32 v2, v0, v2
	ds_store_b64 v2, v[4:5] offset:584
	v_cmpx_ne_u32_e32 0, v10
	s_cbranch_execz .LBB8_909
; %bb.908:                              ;   in Loop: Header=BB8_884 Depth=3
	ds_load_b64 v[4:5], v0 offset:872
	s_wait_dscnt 0x0
	v_add_nc_u64_e32 v[4:5], 1, v[4:5]
	ds_store_b64 v0, v[4:5] offset:872
.LBB8_909:                              ;   in Loop: Header=BB8_884 Depth=3
	s_or_b32 exec_lo, exec_lo, s13
	v_mov_b64_e32 v[58:59], v[8:9]
.LBB8_910:                              ;   in Loop: Header=BB8_884 Depth=3
	s_or_b32 exec_lo, exec_lo, s40
	s_xor_b32 s13, s27, -1
	s_delay_alu instid0(SALU_CYCLE_1) | instskip(NEXT) | instid1(SALU_CYCLE_1)
	s_and_b32 s13, exec_lo, s13
	s_or_b32 s15, s13, s15
	s_and_saveexec_b32 s13, s2
	s_cbranch_execz .LBB8_929
; %bb.911:                              ;   in Loop: Header=BB8_884 Depth=3
	s_and_saveexec_b32 s27, s3
	s_delay_alu instid0(SALU_CYCLE_1)
	s_xor_b32 s27, exec_lo, s27
	s_cbranch_execz .LBB8_926
; %bb.912:                              ;   in Loop: Header=BB8_884 Depth=3
	s_and_saveexec_b32 s40, s6
	s_cbranch_execz .LBB8_925
; %bb.913:                              ;   in Loop: Header=BB8_884 Depth=3
	s_mov_b32 s74, exec_lo
	s_mov_b32 s41, exec_lo
	v_mbcnt_lo_u32_b32 v2, s74, 0
	global_wb scope:SCOPE_DEV
	s_wait_storecnt 0x0
	s_wait_loadcnt_dscnt 0x0
	global_inv scope:SCOPE_DEV
	v_cmpx_eq_u32_e32 0, v2
	s_cbranch_execz .LBB8_915
; %bb.914:                              ;   in Loop: Header=BB8_884 Depth=3
	s_bcnt1_i32_b32 s74, s74
	s_delay_alu instid0(SALU_CYCLE_1)
	v_mov_b32_e32 v2, s74
	s_wait_loadcnt 0x0
	ds_add_u64 v0, v[2:3]
	s_trap 2
.LBB8_915:                              ;   in Loop: Header=BB8_884 Depth=3
	s_or_b32 exec_lo, exec_lo, s41
	s_trap 2
	ds_load_b64 v[4:5], v0
	s_wait_dscnt 0x0
	v_add_nc_u64_e32 v[80:81], v[80:81], v[84:85]
	s_mov_b32 s41, exec_lo
	s_delay_alu instid0(VALU_DEP_1)
	v_cmpx_lt_u64_e64 v[4:5], v[80:81]
	s_cbranch_execz .LBB8_924
; %bb.916:                              ;   in Loop: Header=BB8_884 Depth=3
	s_mov_b32 s74, 0
	s_mov_b32 s77, 0
                                        ; implicit-def: $sgpr75
                                        ; implicit-def: $sgpr76
	s_branch .LBB8_918
.LBB8_917:                              ;   in Loop: Header=BB8_918 Depth=4
	s_or_b32 exec_lo, exec_lo, s79
	s_delay_alu instid0(SALU_CYCLE_1) | instskip(NEXT) | instid1(SALU_CYCLE_1)
	s_and_b32 s78, exec_lo, s88
	s_or_b32 s74, s78, s74
	s_and_not1_b32 s75, s75, exec_lo
	s_and_b32 s78, s76, exec_lo
	s_delay_alu instid0(SALU_CYCLE_1)
	s_or_b32 s75, s75, s78
	s_and_not1_b32 exec_lo, exec_lo, s74
	s_cbranch_execz .LBB8_922
.LBB8_918:                              ;   Parent Loop BB8_47 Depth=1
                                        ;     Parent Loop BB8_304 Depth=2
                                        ;       Parent Loop BB8_884 Depth=3
                                        ; =>      This Inner Loop Header: Depth=4
	s_add_co_i32 s77, s77, 1
	s_delay_alu instid0(SALU_CYCLE_1) | instskip(SKIP_1) | instid1(SALU_CYCLE_1)
	s_cmp_lg_u32 s77, 0x2710
	s_cselect_b32 s78, -1, 0
	s_and_b32 vcc_lo, exec_lo, s78
	s_cbranch_vccz .LBB8_920
; %bb.919:                              ;   in Loop: Header=BB8_918 Depth=4
	s_mov_b32 s88, -1
	s_or_b32 s76, s76, exec_lo
	s_and_saveexec_b32 s79, s78
	s_cbranch_execz .LBB8_917
	s_branch .LBB8_921
.LBB8_920:                              ;   in Loop: Header=BB8_918 Depth=4
	s_trap 2
	ds_load_b64 v[4:5], v0
	s_and_not1_b32 s78, s78, exec_lo
	s_mov_b32 s77, 0
	s_wait_loadcnt_dscnt 0x0
	flat_load_b32 v2, v[4:5] scope:SCOPE_SYS
	s_wait_loadcnt_dscnt 0x0
	global_inv scope:SCOPE_SYS
	v_cmp_eq_u32_e32 vcc_lo, 0, v2
	s_and_b32 s79, vcc_lo, exec_lo
	s_delay_alu instid0(SALU_CYCLE_1)
	s_or_b32 s78, s78, s79
	s_mov_b32 s88, -1
	s_or_b32 s76, s76, exec_lo
	s_wait_xcnt 0x0
	s_and_saveexec_b32 s79, s78
	s_cbranch_execz .LBB8_917
.LBB8_921:                              ;   in Loop: Header=BB8_918 Depth=4
	s_sleep 1
	s_trap 2
	ds_load_b64 v[4:5], v0
	s_wait_dscnt 0x0
	s_and_not1_b32 s76, s76, exec_lo
	v_cmp_ge_u64_e32 vcc_lo, v[4:5], v[80:81]
	s_or_not1_b32 s88, vcc_lo, exec_lo
	s_branch .LBB8_917
.LBB8_922:                              ;   in Loop: Header=BB8_884 Depth=3
	s_or_b32 exec_lo, exec_lo, s74
	s_and_saveexec_b32 s74, s75
	s_delay_alu instid0(SALU_CYCLE_1)
	s_xor_b32 s74, exec_lo, s74
	s_cbranch_execz .LBB8_924
; %bb.923:                              ;   in Loop: Header=BB8_884 Depth=3
	ds_store_b32 v0, v111
	s_trap 2
.LBB8_924:                              ;   in Loop: Header=BB8_884 Depth=3
	s_or_b32 exec_lo, exec_lo, s41
	;;#ASMSTART
	s_wakeup
	;;#ASMEND
.LBB8_925:                              ;   in Loop: Header=BB8_884 Depth=3
	s_or_b32 exec_lo, exec_lo, s40
.LBB8_926:                              ;   in Loop: Header=BB8_884 Depth=3
	s_and_not1_saveexec_b32 s27, s27
	s_cbranch_execz .LBB8_928
; %bb.927:                              ;   in Loop: Header=BB8_884 Depth=3
	global_wb scope:SCOPE_DEV
	s_wait_storecnt 0x0
	s_wait_loadcnt_dscnt 0x0
	global_inv scope:SCOPE_DEV
	s_barrier_signal -1
	s_barrier_wait -1
.LBB8_928:                              ;   in Loop: Header=BB8_884 Depth=3
	s_or_b32 exec_lo, exec_lo, s27
.LBB8_929:                              ;   in Loop: Header=BB8_884 Depth=3
	s_delay_alu instid0(SALU_CYCLE_1) | instskip(SKIP_1) | instid1(SALU_CYCLE_1)
	s_or_b32 exec_lo, exec_lo, s13
                                        ; implicit-def: $vgpr2
	s_and_saveexec_b32 s13, s61
	s_xor_b32 s13, exec_lo, s13
	s_cbranch_execz .LBB8_941
; %bb.930:                              ;   in Loop: Header=BB8_884 Depth=3
	s_and_saveexec_b32 s27, s3
	s_delay_alu instid0(SALU_CYCLE_1)
	s_xor_b32 s27, exec_lo, s27
	s_cbranch_execz .LBB8_946
; %bb.931:                              ;   in Loop: Header=BB8_884 Depth=3
	s_and_saveexec_b32 s40, s6
	s_cbranch_execz .LBB8_945
; %bb.932:                              ;   in Loop: Header=BB8_884 Depth=3
	s_mov_b32 s74, exec_lo
	s_mov_b32 s41, exec_lo
	v_mbcnt_lo_u32_b32 v2, s74, 0
	;;#ASMSTART
	s_waitcnt lgkmcnt(0) vmcnt(0)
	;;#ASMEND
	s_delay_alu instid0(VALU_DEP_1)
	v_cmpx_eq_u32_e32 0, v2
	s_cbranch_execz .LBB8_934
; %bb.933:                              ;   in Loop: Header=BB8_884 Depth=3
	s_bcnt1_i32_b32 s74, s74
	s_delay_alu instid0(SALU_CYCLE_1)
	v_mov_b32_e32 v2, s74
	s_wait_storecnt 0x0
	s_wait_loadcnt_dscnt 0x0
	ds_add_u64 v0, v[2:3]
	s_trap 2
.LBB8_934:                              ;   in Loop: Header=BB8_884 Depth=3
	s_or_b32 exec_lo, exec_lo, s41
	s_trap 2
	ds_load_b64 v[4:5], v0
	s_wait_dscnt 0x0
	v_add_nc_u64_e32 v[80:81], v[80:81], v[84:85]
	s_mov_b32 s41, exec_lo
	s_delay_alu instid0(VALU_DEP_1)
	v_cmpx_lt_u64_e64 v[4:5], v[80:81]
	s_cbranch_execz .LBB8_944
; %bb.935:                              ;   in Loop: Header=BB8_884 Depth=3
	s_mov_b32 s74, 0
	s_mov_b32 s77, 0
                                        ; implicit-def: $sgpr75
                                        ; implicit-def: $sgpr76
	s_branch .LBB8_937
.LBB8_936:                              ;   in Loop: Header=BB8_937 Depth=4
	s_or_b32 exec_lo, exec_lo, s79
	s_delay_alu instid0(SALU_CYCLE_1) | instskip(NEXT) | instid1(SALU_CYCLE_1)
	s_and_b32 s78, exec_lo, s88
	s_or_b32 s74, s78, s74
	s_and_not1_b32 s75, s75, exec_lo
	s_and_b32 s78, s76, exec_lo
	s_delay_alu instid0(SALU_CYCLE_1)
	s_or_b32 s75, s75, s78
	s_and_not1_b32 exec_lo, exec_lo, s74
	s_cbranch_execz .LBB8_942
.LBB8_937:                              ;   Parent Loop BB8_47 Depth=1
                                        ;     Parent Loop BB8_304 Depth=2
                                        ;       Parent Loop BB8_884 Depth=3
                                        ; =>      This Inner Loop Header: Depth=4
	s_add_co_i32 s77, s77, 1
	s_delay_alu instid0(SALU_CYCLE_1) | instskip(SKIP_1) | instid1(SALU_CYCLE_1)
	s_cmp_lg_u32 s77, 0x2710
	s_cselect_b32 s78, -1, 0
	s_and_b32 vcc_lo, exec_lo, s78
	s_cbranch_vccz .LBB8_939
; %bb.938:                              ;   in Loop: Header=BB8_937 Depth=4
	s_mov_b32 s88, -1
	s_or_b32 s76, s76, exec_lo
	s_and_saveexec_b32 s79, s78
	s_cbranch_execz .LBB8_936
	s_branch .LBB8_940
.LBB8_939:                              ;   in Loop: Header=BB8_937 Depth=4
	s_trap 2
	ds_load_b64 v[4:5], v0
	s_and_not1_b32 s78, s78, exec_lo
	s_mov_b32 s77, 0
	s_wait_storecnt 0x0
	s_wait_loadcnt_dscnt 0x0
	flat_load_b32 v2, v[4:5] scope:SCOPE_SYS
	s_wait_loadcnt_dscnt 0x0
	global_inv scope:SCOPE_SYS
	v_cmp_eq_u32_e32 vcc_lo, 0, v2
	s_and_b32 s79, vcc_lo, exec_lo
	s_delay_alu instid0(SALU_CYCLE_1)
	s_or_b32 s78, s78, s79
	s_mov_b32 s88, -1
	s_or_b32 s76, s76, exec_lo
	s_wait_xcnt 0x0
	s_and_saveexec_b32 s79, s78
	s_cbranch_execz .LBB8_936
.LBB8_940:                              ;   in Loop: Header=BB8_937 Depth=4
	s_sleep 1
	s_trap 2
	ds_load_b64 v[4:5], v0
	s_wait_dscnt 0x0
	s_and_not1_b32 s76, s76, exec_lo
	v_cmp_ge_u64_e32 vcc_lo, v[4:5], v[80:81]
	s_or_not1_b32 s88, vcc_lo, exec_lo
	s_branch .LBB8_936
.LBB8_941:                              ;   in Loop: Header=BB8_884 Depth=3
	s_and_not1_saveexec_b32 s27, s13
	s_cbranch_execnz .LBB8_949
	s_branch .LBB8_952
.LBB8_942:                              ;   in Loop: Header=BB8_884 Depth=3
	s_or_b32 exec_lo, exec_lo, s74
	s_and_saveexec_b32 s74, s75
	s_delay_alu instid0(SALU_CYCLE_1)
	s_xor_b32 s74, exec_lo, s74
	s_cbranch_execz .LBB8_944
; %bb.943:                              ;   in Loop: Header=BB8_884 Depth=3
	ds_store_b32 v0, v111
	s_trap 2
.LBB8_944:                              ;   in Loop: Header=BB8_884 Depth=3
	s_or_b32 exec_lo, exec_lo, s41
	;;#ASMSTART
	s_wakeup
	;;#ASMEND
.LBB8_945:                              ;   in Loop: Header=BB8_884 Depth=3
	s_or_b32 exec_lo, exec_lo, s40
.LBB8_946:                              ;   in Loop: Header=BB8_884 Depth=3
	s_and_not1_saveexec_b32 s27, s27
	s_cbranch_execz .LBB8_948
; %bb.947:                              ;   in Loop: Header=BB8_884 Depth=3
	;;#ASMSTART
	s_waitcnt lgkmcnt(0) vmcnt(0)
	;;#ASMEND
	s_barrier_signal -1
	s_barrier_wait -1
.LBB8_948:                              ;   in Loop: Header=BB8_884 Depth=3
	s_or_b32 exec_lo, exec_lo, s27
	v_and_b32_e32 v2, 16, v30
	s_and_not1_saveexec_b32 s27, s13
	s_cbranch_execz .LBB8_952
.LBB8_949:                              ;   in Loop: Header=BB8_884 Depth=3
	s_trap 2
	ds_load_b32 v2, v0
	v_cmp_lt_i32_e32 vcc_lo, 0, v72
	s_wait_dscnt 0x0
	v_readfirstlane_b32 s13, v2
	v_and_b32_e32 v2, 16, v30
	s_cmp_eq_u32 s13, 0
	s_delay_alu instid0(VALU_DEP_1) | instskip(SKIP_3) | instid1(SALU_CYCLE_1)
	v_cmp_ne_u32_e64 s13, 0, v2
	s_cselect_b32 s40, -1, 0
	v_and_b32_e32 v2, 16, v30
	s_and_b32 s40, vcc_lo, s40
	s_and_b32 s40, s13, s40
	s_delay_alu instid0(SALU_CYCLE_1)
	s_and_saveexec_b32 s13, s40
	s_cbranch_execz .LBB8_951
; %bb.950:                              ;   in Loop: Header=BB8_884 Depth=3
	v_mov_b32_e32 v2, 1
	global_wb scope:SCOPE_SYS
	s_wait_loadcnt 0x0
	s_wait_storecnt 0x0
	global_inv scope:SCOPE_SYS
.LBB8_951:                              ;   in Loop: Header=BB8_884 Depth=3
	s_or_b32 exec_lo, exec_lo, s13
.LBB8_952:                              ;   in Loop: Header=BB8_884 Depth=3
	s_delay_alu instid0(SALU_CYCLE_1) | instskip(NEXT) | instid1(VALU_DEP_1)
	s_or_b32 exec_lo, exec_lo, s27
	v_cmp_ne_u32_e32 vcc_lo, 0, v2
	s_xor_b32 s13, s4, -1
	s_delay_alu instid0(SALU_CYCLE_1) | instskip(NEXT) | instid1(SALU_CYCLE_1)
	s_and_b32 s27, vcc_lo, s13
	s_and_saveexec_b32 s13, s27
	s_cbranch_execz .LBB8_954
; %bb.953:                              ;   in Loop: Header=BB8_884 Depth=3
	global_wb scope:SCOPE_SYS
	s_wait_storecnt 0x0
	s_wait_loadcnt_dscnt 0x0
	flat_store_b32 v[70:71], v111 scope:SCOPE_SYS
.LBB8_954:                              ;   in Loop: Header=BB8_884 Depth=3
	s_wait_xcnt 0x0
	s_or_b32 exec_lo, exec_lo, s13
	v_and_b32_e32 v2, 48, v30
	s_mov_b32 s13, exec_lo
	s_delay_alu instid0(VALU_DEP_1)
	v_cmpx_ne_u32_e32 0, v2
	s_cbranch_execz .LBB8_883
; %bb.955:                              ;   in Loop: Header=BB8_884 Depth=3
	v_add_nc_u64_e32 v[58:59], 2, v[58:59]
	global_wb scope:SCOPE_SYS
	s_wait_storecnt 0x0
	s_wait_loadcnt_dscnt 0x0
	flat_store_b64 v[64:65], v[58:59] scope:SCOPE_SYS
	s_branch .LBB8_883
.LBB8_956:                              ;   in Loop: Header=BB8_47 Depth=1
	v_mul_u64_e32 v[8:9], s[16:17], v[56:57]
	v_mov_b32_e32 v74, 0
	s_delay_alu instid0(VALU_DEP_2) | instskip(NEXT) | instid1(VALU_DEP_1)
	v_sub_nc_u64_e32 v[4:5], v[60:61], v[8:9]
	v_min_i64 v[4:5], v[56:57], v[4:5]
	s_delay_alu instid0(VALU_DEP_1) | instskip(SKIP_1) | instid1(VALU_DEP_2)
	v_max_i32_e32 v125, 0, v4
	v_cmp_lt_i32_e32 vcc_lo, 0, v4
	v_add_nc_u32_e32 v2, 31, v125
	s_and_b32 s13, s63, vcc_lo
	s_delay_alu instid0(VALU_DEP_1) | instskip(NEXT) | instid1(VALU_DEP_1)
	v_lshrrev_b32_e32 v2, 1, v2
	v_and_b32_e32 v5, 0x3ffffff0, v2
	s_delay_alu instid0(VALU_DEP_1)
	v_dual_mov_b32 v2, 0 :: v_dual_max_i32 v72, s45, v5
	s_and_saveexec_b32 s18, s13
	s_cbranch_execz .LBB8_2009
; %bb.957:                              ;   in Loop: Header=BB8_47 Depth=1
	v_add_nc_u64_e32 v[4:5], v[8:9], v[62:63]
	v_mov_b32_e32 v74, 0
	s_mov_b32 s75, 1
	s_mov_b32 s74, -1
	s_mov_b32 s27, 0
	s_delay_alu instid0(VALU_DEP_2)
	v_lshlrev_b64_e32 v[76:77], 1, v[4:5]
	s_branch .LBB8_959
.LBB8_958:                              ;   in Loop: Header=BB8_959 Depth=2
	s_wait_xcnt 0x0
	s_or_b32 exec_lo, exec_lo, s13
	v_dual_add_nc_u32 v74, v72, v74 :: v_dual_mov_b32 v2, s75
	s_xor_b32 s13, s74, -1
	s_mov_b32 s74, 0
	s_mov_b32 s75, 2
	s_delay_alu instid0(VALU_DEP_1) | instskip(SKIP_1) | instid1(SALU_CYCLE_1)
	v_cmp_ge_i32_e32 vcc_lo, v74, v125
	s_or_b32 s13, s13, vcc_lo
	s_and_b32 s13, exec_lo, s13
	s_delay_alu instid0(SALU_CYCLE_1) | instskip(NEXT) | instid1(SALU_CYCLE_1)
	s_or_b32 s27, s13, s27
	s_and_not1_b32 exec_lo, exec_lo, s27
	s_cbranch_execz .LBB8_2008
.LBB8_959:                              ;   Parent Loop BB8_47 Depth=1
                                        ; =>  This Loop Header: Depth=2
                                        ;       Child Loop BB8_967 Depth 3
                                        ;       Child Loop BB8_995 Depth 3
	;; [unrolled: 1-line block ×5, first 2 shown]
                                        ;         Child Loop BB8_1246 Depth 4
                                        ;         Child Loop BB8_1281 Depth 4
	;; [unrolled: 1-line block ×4, first 2 shown]
                                        ;       Child Loop BB8_1357 Depth 3
                                        ;       Child Loop BB8_1365 Depth 3
	;; [unrolled: 1-line block ×3, first 2 shown]
                                        ;         Child Loop BB8_1475 Depth 4
                                        ;         Child Loop BB8_1482 Depth 4
	;; [unrolled: 1-line block ×4, first 2 shown]
                                        ;       Child Loop BB8_1501 Depth 3
                                        ;       Child Loop BB8_1513 Depth 3
                                        ;       Child Loop BB8_1719 Depth 3
                                        ;         Child Loop BB8_1720 Depth 4
                                        ;         Child Loop BB8_1757 Depth 4
                                        ;       Child Loop BB8_1834 Depth 3
                                        ;       Child Loop BB8_1941 Depth 3
                                        ;         Child Loop BB8_1942 Depth 4
                                        ;         Child Loop BB8_1951 Depth 4
                                        ;       Child Loop BB8_1970 Depth 3
                                        ;       Child Loop BB8_1993 Depth 3
	s_and_saveexec_b32 s13, s0
	s_cbranch_execz .LBB8_961
; %bb.960:                              ;   in Loop: Header=BB8_959 Depth=2
	s_trap 2
	ds_load_b64 v[4:5], v0
	ds_load_2addr_b64 v[8:11], v0 offset1:1
	s_wait_dscnt 0x1
	v_cmp_ne_u64_e32 vcc_lo, 0, v[4:5]
	v_ashrrev_i32_e32 v75, 31, v74
	v_add_nc_u64_e32 v[14:15], v[4:5], v[76:77]
	s_wait_dscnt 0x0
	v_add_nc_u64_e32 v[8:9], v[8:9], v[76:77]
	v_add_nc_u64_e32 v[10:11], v[10:11], v[76:77]
	v_lshlrev_b64_e32 v[12:13], 1, v[74:75]
	s_delay_alu instid0(VALU_DEP_1) | instskip(NEXT) | instid1(VALU_DEP_4)
	v_add_nc_u64_e32 v[14:15], v[14:15], v[12:13]
	v_add_nc_u64_e32 v[4:5], v[8:9], v[12:13]
	s_delay_alu instid0(VALU_DEP_4) | instskip(NEXT) | instid1(VALU_DEP_3)
	v_add_nc_u64_e32 v[8:9], v[10:11], v[12:13]
	v_dual_cndmask_b32 v11, 0, v15 :: v_dual_cndmask_b32 v10, 0, v14
	ds_store_b64 v0, v[4:5]
	ds_store_b64 v0, v[8:9]
	;; [unrolled: 1-line block ×3, first 2 shown]
.LBB8_961:                              ;   in Loop: Header=BB8_959 Depth=2
	s_or_b32 exec_lo, exec_lo, s13
	v_sub_nc_u32_e32 v2, v125, v74
	v_and_b32_e32 v4, 12, v30
	s_mov_b32 s14, exec_lo
	s_delay_alu instid0(VALU_DEP_2) | instskip(NEXT) | instid1(VALU_DEP_2)
	v_min_i32_e32 v72, v72, v2
	v_cmpx_ne_u32_e32 0, v4
	s_cbranch_execz .LBB8_987
; %bb.962:                              ;   in Loop: Header=BB8_959 Depth=2
	v_and_b32_e32 v2, 8, v30
	v_add_nc_u64_e32 v[8:9], 2, v[58:59]
	s_mov_b32 s15, exec_lo
	s_wait_loadcnt_dscnt 0x1
	s_delay_alu instid0(VALU_DEP_2) | instskip(NEXT) | instid1(VALU_DEP_1)
	v_add_nc_u64_e32 v[4:5], v[82:83], v[2:3]
	v_cmpx_lt_u64_e64 v[4:5], v[8:9]
	s_cbranch_execz .LBB8_974
; %bb.963:                              ;   in Loop: Header=BB8_959 Depth=2
	v_and_b32_e32 v4, 64, v30
	s_mov_b32 s40, 0
	s_mov_b32 s78, 0
                                        ; implicit-def: $sgpr41
                                        ; implicit-def: $sgpr76
                                        ; implicit-def: $sgpr77
	s_delay_alu instid0(VALU_DEP_1)
	v_cmp_eq_u32_e32 vcc_lo, 0, v4
	s_branch .LBB8_967
.LBB8_964:                              ;   in Loop: Header=BB8_967 Depth=3
	s_wait_loadcnt_dscnt 0x0
	v_add_nc_u64_e32 v[4:5], v[82:83], v[2:3]
	s_or_b32 s89, s89, exec_lo
	s_delay_alu instid0(VALU_DEP_1)
	v_cmp_ge_u64_e64 s13, v[4:5], v[8:9]
	s_or_not1_b32 s88, s13, exec_lo
.LBB8_965:                              ;   in Loop: Header=BB8_967 Depth=3
	s_or_b32 exec_lo, exec_lo, s91
	s_delay_alu instid0(SALU_CYCLE_1)
	s_and_not1_b32 s13, s77, exec_lo
	s_and_b32 s77, s89, exec_lo
	s_and_not1_b32 s76, s76, exec_lo
	s_and_b32 s88, s88, exec_lo
	s_or_b32 s77, s13, s77
	s_or_b32 s76, s76, s88
.LBB8_966:                              ;   in Loop: Header=BB8_967 Depth=3
	s_or_b32 exec_lo, exec_lo, s79
	s_delay_alu instid0(SALU_CYCLE_1) | instskip(NEXT) | instid1(SALU_CYCLE_1)
	s_and_b32 s13, exec_lo, s76
	s_or_b32 s40, s13, s40
	s_and_not1_b32 s13, s41, exec_lo
	s_and_b32 s41, s77, exec_lo
	s_delay_alu instid0(SALU_CYCLE_1)
	s_or_b32 s41, s13, s41
	s_and_not1_b32 exec_lo, exec_lo, s40
	s_cbranch_execz .LBB8_971
.LBB8_967:                              ;   Parent Loop BB8_47 Depth=1
                                        ;     Parent Loop BB8_959 Depth=2
                                        ; =>    This Inner Loop Header: Depth=3
	s_sleep 1
	s_wait_loadcnt_dscnt 0x0
	flat_load_b64 v[82:83], v[64:65] scope:SCOPE_SYS
	s_or_b32 s77, s77, exec_lo
	s_or_b32 s76, s76, exec_lo
                                        ; implicit-def: $vgpr10
	s_wait_xcnt 0x0
	s_and_saveexec_b32 s79, vcc_lo
	s_cbranch_execz .LBB8_966
; %bb.968:                              ;   in Loop: Header=BB8_967 Depth=3
	s_cmp_lt_i32 s78, 0x270f
	s_mov_b32 s88, -1
	s_cselect_b32 s90, -1, 0
	s_cmp_gt_i32 s78, 0x270e
	s_cbranch_scc0 .LBB8_970
; %bb.969:                              ;   in Loop: Header=BB8_967 Depth=3
	s_trap 2
	ds_load_b64 v[4:5], v0
	s_and_not1_b32 s78, s90, exec_lo
	s_mov_b32 s89, 0
	s_wait_storecnt 0x0
	s_wait_loadcnt_dscnt 0x0
	flat_load_b32 v10, v[4:5] scope:SCOPE_SYS
	s_wait_loadcnt_dscnt 0x0
	global_inv scope:SCOPE_SYS
	v_cmp_eq_u32_e64 s13, 0, v10
	s_and_b32 s13, s13, exec_lo
	s_delay_alu instid0(SALU_CYCLE_1)
	s_or_b32 s90, s78, s13
	s_mov_b32 s78, 0
	s_wait_xcnt 0x0
	s_and_saveexec_b32 s91, s90
	s_cbranch_execz .LBB8_965
	s_branch .LBB8_964
.LBB8_970:                              ;   in Loop: Header=BB8_967 Depth=3
	s_add_co_i32 s78, s78, 1
	s_mov_b32 s89, -1
                                        ; implicit-def: $vgpr10
	s_and_saveexec_b32 s91, s90
	s_cbranch_execz .LBB8_965
	s_branch .LBB8_964
.LBB8_971:                              ;   in Loop: Header=BB8_959 Depth=2
	s_or_b32 exec_lo, exec_lo, s40
	s_xor_b32 s13, s41, -1
	s_delay_alu instid0(SALU_CYCLE_1) | instskip(NEXT) | instid1(SALU_CYCLE_1)
	s_and_saveexec_b32 s40, s13
	s_xor_b32 s13, exec_lo, s40
	s_cbranch_execz .LBB8_973
; %bb.972:                              ;   in Loop: Header=BB8_959 Depth=2
	v_or_b32_e32 v30, 64, v30
	s_wait_storecnt 0x0
	s_wait_loadcnt_dscnt 0x0
	ds_store_b32 v0, v10
	s_trap 2
.LBB8_973:                              ;   in Loop: Header=BB8_959 Depth=2
	s_or_b32 exec_lo, exec_lo, s13
.LBB8_974:                              ;   in Loop: Header=BB8_959 Depth=2
	s_delay_alu instid0(SALU_CYCLE_1) | instskip(SKIP_4) | instid1(VALU_DEP_2)
	s_or_b32 exec_lo, exec_lo, s15
	v_and_b32_e32 v4, 0x108, v30
	v_and_b32_e32 v10, 7, v58
	s_mov_b32 s13, exec_lo
	;;#ASMSTART
	s_wakeup
	;;#ASMEND
	v_cmpx_ne_u32_e32 0x108, v4
	s_xor_b32 s13, exec_lo, s13
; %bb.975:                              ;   in Loop: Header=BB8_959 Depth=2
	v_mov_b32_e32 v11, v3
; %bb.976:                              ;   in Loop: Header=BB8_959 Depth=2
	s_and_not1_saveexec_b32 s13, s13
	s_cbranch_execz .LBB8_978
; %bb.977:                              ;   in Loop: Header=BB8_959 Depth=2
	v_dual_ashrrev_i32 v73, 31, v72 :: v_dual_mov_b32 v11, v3
	v_mad_nc_u64_u32 v[4:5], v10, 24, v[6:7]
	s_delay_alu instid0(VALU_DEP_2)
	v_lshlrev_b64_e32 v[12:13], 1, v[72:73]
	flat_store_b64 v[4:5], v[12:13] offset:8
.LBB8_978:                              ;   in Loop: Header=BB8_959 Depth=2
	s_wait_xcnt 0x0
	s_or_b32 exec_lo, exec_lo, s13
	v_and_b32_e32 v4, 0x100, v30
	s_mov_b32 s13, -1
	s_mov_b32 s15, exec_lo
                                        ; implicit-def: $vgpr12_vgpr13
	s_delay_alu instid0(VALU_DEP_1)
	v_cmpx_ne_u32_e32 0, v4
	s_cbranch_execz .LBB8_982
; %bb.979:                              ;   in Loop: Header=BB8_959 Depth=2
	v_mad_nc_u64_u32 v[14:15], v10, 24, v[6:7]
	s_mov_b32 s40, exec_lo
                                        ; implicit-def: $vgpr12_vgpr13
	s_delay_alu instid0(VALU_DEP_1)
	v_mad_u32 v15, v11, 24, v15
	flat_load_b32 v4, v[14:15]
	s_wait_loadcnt_dscnt 0x0
	v_cmp_ne_u32_e32 vcc_lo, 1, v4
	s_wait_xcnt 0x0
	v_cmpx_eq_u32_e32 1, v4
	s_cbranch_execz .LBB8_981
; %bb.980:                              ;   in Loop: Header=BB8_959 Depth=2
	flat_load_b32 v4, v[14:15] offset:4 scope:SCOPE_SYS
	s_wait_loadcnt_dscnt 0x0
	v_ashrrev_i32_e32 v5, 31, v4
	s_delay_alu instid0(VALU_DEP_1)
	v_lshrrev_b64 v[12:13], 1, v[4:5]
.LBB8_981:                              ;   in Loop: Header=BB8_959 Depth=2
	s_wait_xcnt 0x0
	s_or_b32 exec_lo, exec_lo, s40
	s_delay_alu instid0(SALU_CYCLE_1)
	s_or_not1_b32 s13, vcc_lo, exec_lo
.LBB8_982:                              ;   in Loop: Header=BB8_959 Depth=2
	s_or_b32 exec_lo, exec_lo, s15
	s_and_saveexec_b32 s15, s13
; %bb.983:                              ;   in Loop: Header=BB8_959 Depth=2
	v_mul_u64_e32 v[12:13], v[10:11], v[66:67]
; %bb.984:                              ;   in Loop: Header=BB8_959 Depth=2
	s_or_b32 exec_lo, exec_lo, s15
	v_cmp_eq_u32_e32 vcc_lo, 0, v2
	v_and_b32_e32 v10, 0x2000, v30
	s_delay_alu instid0(VALU_DEP_3) | instskip(SKIP_2) | instid1(VALU_DEP_1)
	v_lshl_add_u64 v[4:5], v[12:13], 1, v[68:69]
	s_mov_b32 s13, exec_lo
	v_cndmask_b32_e32 v2, 0xd0, v120, vcc_lo
	v_add_nc_u32_e32 v2, v0, v2
	ds_store_b64 v2, v[4:5] offset:584
	v_cmpx_ne_u32_e32 0, v10
	s_cbranch_execz .LBB8_986
; %bb.985:                              ;   in Loop: Header=BB8_959 Depth=2
	ds_load_b64 v[4:5], v0 offset:872
	s_wait_dscnt 0x0
	v_add_nc_u64_e32 v[4:5], 1, v[4:5]
	ds_store_b64 v0, v[4:5] offset:872
.LBB8_986:                              ;   in Loop: Header=BB8_959 Depth=2
	s_or_b32 exec_lo, exec_lo, s13
	v_mov_b64_e32 v[58:59], v[8:9]
.LBB8_987:                              ;   in Loop: Header=BB8_959 Depth=2
	s_or_b32 exec_lo, exec_lo, s14
	s_and_saveexec_b32 s13, s2
	s_cbranch_execz .LBB8_1006
; %bb.988:                              ;   in Loop: Header=BB8_959 Depth=2
	s_and_saveexec_b32 s14, s3
	s_delay_alu instid0(SALU_CYCLE_1)
	s_xor_b32 s14, exec_lo, s14
	s_cbranch_execz .LBB8_1003
; %bb.989:                              ;   in Loop: Header=BB8_959 Depth=2
	s_and_saveexec_b32 s15, s6
	s_cbranch_execz .LBB8_1002
; %bb.990:                              ;   in Loop: Header=BB8_959 Depth=2
	s_mov_b32 s41, exec_lo
	s_mov_b32 s40, exec_lo
	v_mbcnt_lo_u32_b32 v2, s41, 0
	global_wb scope:SCOPE_DEV
	s_wait_storecnt 0x0
	s_wait_loadcnt_dscnt 0x0
	global_inv scope:SCOPE_DEV
	v_cmpx_eq_u32_e32 0, v2
	s_cbranch_execz .LBB8_992
; %bb.991:                              ;   in Loop: Header=BB8_959 Depth=2
	s_bcnt1_i32_b32 s41, s41
	s_delay_alu instid0(SALU_CYCLE_1)
	v_mov_b32_e32 v2, s41
	s_wait_loadcnt 0x0
	ds_add_u64 v0, v[2:3]
	s_trap 2
.LBB8_992:                              ;   in Loop: Header=BB8_959 Depth=2
	s_or_b32 exec_lo, exec_lo, s40
	s_trap 2
	ds_load_b64 v[4:5], v0
	s_wait_dscnt 0x0
	v_add_nc_u64_e32 v[80:81], v[80:81], v[84:85]
	s_mov_b32 s40, exec_lo
	s_delay_alu instid0(VALU_DEP_1)
	v_cmpx_lt_u64_e64 v[4:5], v[80:81]
	s_cbranch_execz .LBB8_1001
; %bb.993:                              ;   in Loop: Header=BB8_959 Depth=2
	s_mov_b32 s41, 0
	s_mov_b32 s78, 0
                                        ; implicit-def: $sgpr76
                                        ; implicit-def: $sgpr77
	s_branch .LBB8_995
.LBB8_994:                              ;   in Loop: Header=BB8_995 Depth=3
	s_or_b32 exec_lo, exec_lo, s88
	s_delay_alu instid0(SALU_CYCLE_1) | instskip(NEXT) | instid1(SALU_CYCLE_1)
	s_and_b32 s79, exec_lo, s89
	s_or_b32 s41, s79, s41
	s_and_not1_b32 s76, s76, exec_lo
	s_and_b32 s79, s77, exec_lo
	s_delay_alu instid0(SALU_CYCLE_1)
	s_or_b32 s76, s76, s79
	s_and_not1_b32 exec_lo, exec_lo, s41
	s_cbranch_execz .LBB8_999
.LBB8_995:                              ;   Parent Loop BB8_47 Depth=1
                                        ;     Parent Loop BB8_959 Depth=2
                                        ; =>    This Inner Loop Header: Depth=3
	s_add_co_i32 s78, s78, 1
	s_delay_alu instid0(SALU_CYCLE_1) | instskip(SKIP_1) | instid1(SALU_CYCLE_1)
	s_cmp_lg_u32 s78, 0x2710
	s_cselect_b32 s79, -1, 0
	s_and_b32 vcc_lo, exec_lo, s79
	s_cbranch_vccz .LBB8_997
; %bb.996:                              ;   in Loop: Header=BB8_995 Depth=3
	s_mov_b32 s89, -1
	s_or_b32 s77, s77, exec_lo
	s_and_saveexec_b32 s88, s79
	s_cbranch_execz .LBB8_994
	s_branch .LBB8_998
.LBB8_997:                              ;   in Loop: Header=BB8_995 Depth=3
	s_trap 2
	ds_load_b64 v[4:5], v0
	s_and_not1_b32 s79, s79, exec_lo
	s_mov_b32 s78, 0
	s_wait_loadcnt_dscnt 0x0
	flat_load_b32 v2, v[4:5] scope:SCOPE_SYS
	s_wait_loadcnt_dscnt 0x0
	global_inv scope:SCOPE_SYS
	v_cmp_eq_u32_e32 vcc_lo, 0, v2
	s_and_b32 s88, vcc_lo, exec_lo
	s_delay_alu instid0(SALU_CYCLE_1)
	s_or_b32 s79, s79, s88
	s_mov_b32 s89, -1
	s_or_b32 s77, s77, exec_lo
	s_wait_xcnt 0x0
	s_and_saveexec_b32 s88, s79
	s_cbranch_execz .LBB8_994
.LBB8_998:                              ;   in Loop: Header=BB8_995 Depth=3
	s_sleep 1
	s_trap 2
	ds_load_b64 v[4:5], v0
	s_wait_dscnt 0x0
	s_and_not1_b32 s77, s77, exec_lo
	v_cmp_ge_u64_e32 vcc_lo, v[4:5], v[80:81]
	s_or_not1_b32 s89, vcc_lo, exec_lo
	s_branch .LBB8_994
.LBB8_999:                              ;   in Loop: Header=BB8_959 Depth=2
	s_or_b32 exec_lo, exec_lo, s41
	s_and_saveexec_b32 s41, s76
	s_delay_alu instid0(SALU_CYCLE_1)
	s_xor_b32 s41, exec_lo, s41
	s_cbranch_execz .LBB8_1001
; %bb.1000:                             ;   in Loop: Header=BB8_959 Depth=2
	ds_store_b32 v0, v111
	s_trap 2
.LBB8_1001:                             ;   in Loop: Header=BB8_959 Depth=2
	s_or_b32 exec_lo, exec_lo, s40
	;;#ASMSTART
	s_wakeup
	;;#ASMEND
.LBB8_1002:                             ;   in Loop: Header=BB8_959 Depth=2
	s_or_b32 exec_lo, exec_lo, s15
.LBB8_1003:                             ;   in Loop: Header=BB8_959 Depth=2
	s_and_not1_saveexec_b32 s14, s14
	s_cbranch_execz .LBB8_1005
; %bb.1004:                             ;   in Loop: Header=BB8_959 Depth=2
	global_wb scope:SCOPE_DEV
	s_wait_storecnt 0x0
	s_wait_loadcnt_dscnt 0x0
	global_inv scope:SCOPE_DEV
	s_barrier_signal -1
	s_barrier_wait -1
.LBB8_1005:                             ;   in Loop: Header=BB8_959 Depth=2
	s_or_b32 exec_lo, exec_lo, s14
.LBB8_1006:                             ;   in Loop: Header=BB8_959 Depth=2
	s_delay_alu instid0(SALU_CYCLE_1) | instskip(SKIP_4) | instid1(VALU_DEP_1)
	s_or_b32 exec_lo, exec_lo, s13
	s_trap 2
	ds_load_b32 v8, v0
	v_and_b32_e32 v2, 0x4000, v30
	s_xor_b32 s13, s1, -1
	v_cmp_ne_u32_e32 vcc_lo, 0, v2
	s_and_b32 s14, s13, vcc_lo
	s_delay_alu instid0(SALU_CYCLE_1)
	s_and_saveexec_b32 s13, s14
	s_cbranch_execz .LBB8_1025
; %bb.1007:                             ;   in Loop: Header=BB8_959 Depth=2
	s_and_saveexec_b32 s14, s3
	s_delay_alu instid0(SALU_CYCLE_1)
	s_xor_b32 s14, exec_lo, s14
	s_cbranch_execz .LBB8_1022
; %bb.1008:                             ;   in Loop: Header=BB8_959 Depth=2
	s_and_saveexec_b32 s15, s6
	s_cbranch_execz .LBB8_1021
; %bb.1009:                             ;   in Loop: Header=BB8_959 Depth=2
	s_mov_b32 s41, exec_lo
	s_mov_b32 s40, exec_lo
	v_mbcnt_lo_u32_b32 v2, s41, 0
	global_wb scope:SCOPE_DEV
	s_wait_storecnt 0x0
	s_wait_loadcnt_dscnt 0x0
	global_inv scope:SCOPE_DEV
	v_cmpx_eq_u32_e32 0, v2
	s_cbranch_execz .LBB8_1011
; %bb.1010:                             ;   in Loop: Header=BB8_959 Depth=2
	s_bcnt1_i32_b32 s41, s41
	s_delay_alu instid0(SALU_CYCLE_1)
	v_mov_b32_e32 v2, s41
	s_wait_loadcnt 0x0
	ds_add_u64 v0, v[2:3]
	s_trap 2
.LBB8_1011:                             ;   in Loop: Header=BB8_959 Depth=2
	s_or_b32 exec_lo, exec_lo, s40
	s_trap 2
	ds_load_b64 v[4:5], v0
	s_wait_dscnt 0x0
	v_add_nc_u64_e32 v[80:81], v[80:81], v[84:85]
	s_mov_b32 s40, exec_lo
	s_delay_alu instid0(VALU_DEP_1)
	v_cmpx_lt_u64_e64 v[4:5], v[80:81]
	s_cbranch_execz .LBB8_1020
; %bb.1012:                             ;   in Loop: Header=BB8_959 Depth=2
	s_mov_b32 s41, 0
	s_mov_b32 s78, 0
                                        ; implicit-def: $sgpr76
                                        ; implicit-def: $sgpr77
	s_branch .LBB8_1014
.LBB8_1013:                             ;   in Loop: Header=BB8_1014 Depth=3
	s_or_b32 exec_lo, exec_lo, s88
	s_delay_alu instid0(SALU_CYCLE_1) | instskip(NEXT) | instid1(SALU_CYCLE_1)
	s_and_b32 s79, exec_lo, s89
	s_or_b32 s41, s79, s41
	s_and_not1_b32 s76, s76, exec_lo
	s_and_b32 s79, s77, exec_lo
	s_delay_alu instid0(SALU_CYCLE_1)
	s_or_b32 s76, s76, s79
	s_and_not1_b32 exec_lo, exec_lo, s41
	s_cbranch_execz .LBB8_1018
.LBB8_1014:                             ;   Parent Loop BB8_47 Depth=1
                                        ;     Parent Loop BB8_959 Depth=2
                                        ; =>    This Inner Loop Header: Depth=3
	s_add_co_i32 s78, s78, 1
	s_delay_alu instid0(SALU_CYCLE_1) | instskip(SKIP_1) | instid1(SALU_CYCLE_1)
	s_cmp_lg_u32 s78, 0x2710
	s_cselect_b32 s79, -1, 0
	s_and_b32 vcc_lo, exec_lo, s79
	s_cbranch_vccz .LBB8_1016
; %bb.1015:                             ;   in Loop: Header=BB8_1014 Depth=3
	s_mov_b32 s89, -1
	s_or_b32 s77, s77, exec_lo
	s_and_saveexec_b32 s88, s79
	s_cbranch_execz .LBB8_1013
	s_branch .LBB8_1017
.LBB8_1016:                             ;   in Loop: Header=BB8_1014 Depth=3
	s_trap 2
	ds_load_b64 v[4:5], v0
	s_and_not1_b32 s79, s79, exec_lo
	s_mov_b32 s78, 0
	s_wait_loadcnt_dscnt 0x0
	flat_load_b32 v2, v[4:5] scope:SCOPE_SYS
	s_wait_loadcnt_dscnt 0x0
	global_inv scope:SCOPE_SYS
	v_cmp_eq_u32_e32 vcc_lo, 0, v2
	s_and_b32 s88, vcc_lo, exec_lo
	s_delay_alu instid0(SALU_CYCLE_1)
	s_or_b32 s79, s79, s88
	s_mov_b32 s89, -1
	s_or_b32 s77, s77, exec_lo
	s_wait_xcnt 0x0
	s_and_saveexec_b32 s88, s79
	s_cbranch_execz .LBB8_1013
.LBB8_1017:                             ;   in Loop: Header=BB8_1014 Depth=3
	s_sleep 1
	s_trap 2
	ds_load_b64 v[4:5], v0
	s_wait_dscnt 0x0
	s_and_not1_b32 s77, s77, exec_lo
	v_cmp_ge_u64_e32 vcc_lo, v[4:5], v[80:81]
	s_or_not1_b32 s89, vcc_lo, exec_lo
	s_branch .LBB8_1013
.LBB8_1018:                             ;   in Loop: Header=BB8_959 Depth=2
	s_or_b32 exec_lo, exec_lo, s41
	s_and_saveexec_b32 s41, s76
	s_delay_alu instid0(SALU_CYCLE_1)
	s_xor_b32 s41, exec_lo, s41
	s_cbranch_execz .LBB8_1020
; %bb.1019:                             ;   in Loop: Header=BB8_959 Depth=2
	ds_store_b32 v0, v111
	s_trap 2
.LBB8_1020:                             ;   in Loop: Header=BB8_959 Depth=2
	s_or_b32 exec_lo, exec_lo, s40
	;;#ASMSTART
	s_wakeup
	;;#ASMEND
.LBB8_1021:                             ;   in Loop: Header=BB8_959 Depth=2
	s_or_b32 exec_lo, exec_lo, s15
.LBB8_1022:                             ;   in Loop: Header=BB8_959 Depth=2
	s_and_not1_saveexec_b32 s14, s14
	s_cbranch_execz .LBB8_1024
; %bb.1023:                             ;   in Loop: Header=BB8_959 Depth=2
	global_wb scope:SCOPE_DEV
	s_wait_storecnt 0x0
	s_wait_loadcnt_dscnt 0x0
	global_inv scope:SCOPE_DEV
	s_barrier_signal -1
	s_barrier_wait -1
.LBB8_1024:                             ;   in Loop: Header=BB8_959 Depth=2
	s_or_b32 exec_lo, exec_lo, s14
.LBB8_1025:                             ;   in Loop: Header=BB8_959 Depth=2
	s_delay_alu instid0(SALU_CYCLE_1)
	s_or_b32 exec_lo, exec_lo, s13
	s_trap 2
	ds_load_b64 v[78:79], v0
	s_wait_dscnt 0x0
	v_cmp_eq_u64_e32 vcc_lo, 0, v[78:79]
	s_cbranch_vccnz .LBB8_1171
; %bb.1026:                             ;   in Loop: Header=BB8_959 Depth=2
	s_trap 2
	ds_load_b64 v[88:89], v0
	s_wait_dscnt 0x0
	v_cmp_eq_u64_e32 vcc_lo, 0, v[88:89]
	s_cbranch_vccnz .LBB8_1171
; %bb.1027:                             ;   in Loop: Header=BB8_959 Depth=2
	s_trap 2
	ds_load_b64 v[90:91], v0
	v_cmp_eq_u32_e32 vcc_lo, 0, v8
	s_mov_b32 s13, -1
	v_cndmask_b32_e32 v2, 0, v72, vcc_lo
	s_delay_alu instid0(VALU_DEP_1)
	v_lshlrev_b32_e32 v73, 1, v2
	s_wait_dscnt 0x0
	v_cmp_ne_u64_e32 vcc_lo, 0, v[90:91]
	s_cbranch_vccz .LBB8_1503
; %bb.1028:                             ;   in Loop: Header=BB8_959 Depth=2
	s_and_saveexec_b32 s14, s12
	s_cbranch_execz .LBB8_1030
; %bb.1029:                             ;   in Loop: Header=BB8_959 Depth=2
	ds_load_b32 v4, v0 offset:720
	s_wait_dscnt 0x0
	v_and_b32_e32 v4, 15, v4
	s_delay_alu instid0(VALU_DEP_1)
	v_cmp_eq_u32_e32 vcc_lo, 0, v4
	s_or_not1_b32 s13, vcc_lo, exec_lo
.LBB8_1030:                             ;   in Loop: Header=BB8_959 Depth=2
	s_or_b32 exec_lo, exec_lo, s14
	s_and_saveexec_b32 s14, s12
	s_cbranch_execz .LBB8_1032
; %bb.1031:                             ;   in Loop: Header=BB8_959 Depth=2
	ds_load_b32 v4, v0 offset:784
	s_wait_dscnt 0x0
	v_and_b32_e32 v4, 15, v4
	s_delay_alu instid0(VALU_DEP_1) | instskip(SKIP_3) | instid1(SALU_CYCLE_1)
	v_cmp_eq_u32_e32 vcc_lo, 0, v4
	s_and_b32 s15, s13, vcc_lo
	s_and_not1_b32 s13, s13, exec_lo
	s_and_b32 s15, s15, exec_lo
	s_or_b32 s13, s13, s15
.LBB8_1032:                             ;   in Loop: Header=BB8_959 Depth=2
	s_or_b32 exec_lo, exec_lo, s14
	s_xor_b32 s13, s13, -1
	s_delay_alu instid0(SALU_CYCLE_1) | instskip(SKIP_1) | instid1(VALU_DEP_1)
	v_cndmask_b32_e64 v4, 0, 1, s13
	s_mov_b32 s13, -1
	v_cmp_ne_u32_e32 vcc_lo, 0, v4
	s_cbranch_vccz .LBB8_1172
; %bb.1033:                             ;   in Loop: Header=BB8_959 Depth=2
	s_mov_b32 s76, -1
	v_mov_b32_e32 v17, 0
	s_cbranch_execnz .LBB8_1173
.LBB8_1034:                             ;   in Loop: Header=BB8_959 Depth=2
	v_ashrrev_i32_e32 v4, 31, v73
	v_add_nc_u64_e32 v[94:95], v[88:89], v[46:47]
	v_add_nc_u64_e32 v[92:93], v[90:91], v[46:47]
	s_mov_b32 s14, 0
	s_mov_b32 s13, exec_lo
	v_lshrrev_b32_e32 v4, 22, v4
                                        ; implicit-def: $vgpr20_vgpr21
                                        ; implicit-def: $vgpr16_vgpr17
                                        ; implicit-def: $vgpr12_vgpr13
                                        ; implicit-def: $vgpr8_vgpr9
	s_delay_alu instid0(VALU_DEP_1) | instskip(NEXT) | instid1(VALU_DEP_1)
	v_add_nc_u32_e32 v4, v73, v4
	v_ashrrev_i32_e32 v126, 10, v4
	s_delay_alu instid0(VALU_DEP_1) | instskip(NEXT) | instid1(VALU_DEP_1)
	v_sub_nc_u32_e32 v75, v126, v124
	v_cmpx_lt_i32_e32 0, v75
	s_cbranch_execz .LBB8_1175
; %bb.1035:                             ;   in Loop: Header=BB8_959 Depth=2
	s_trap 2
	ds_load_b64 v[4:5], v0
	v_add_nc_u64_e32 v[104:105], v[78:79], v[46:47]
	s_mov_b32 s40, 0
                                        ; implicit-def: $sgpr15
                                        ; implicit-def: $vgpr10_vgpr11
                                        ; implicit-def: $vgpr14_vgpr15
                                        ; implicit-def: $vgpr18_vgpr19
                                        ; implicit-def: $vgpr22_vgpr23
	s_wait_dscnt 0x0
	v_add_nc_u64_e32 v[106:107], v[4:5], v[46:47]
	s_branch .LBB8_1037
.LBB8_1036:                             ;   in Loop: Header=BB8_1037 Depth=3
	s_or_b32 exec_lo, exec_lo, s41
	s_delay_alu instid0(VALU_DEP_1) | instskip(SKIP_3) | instid1(SALU_CYCLE_1)
	v_cmp_gt_i32_e32 vcc_lo, 1, v75
	s_or_b32 s14, vcc_lo, s14
	s_and_not1_b32 s15, s15, exec_lo
	s_and_b32 s41, s40, exec_lo
	s_or_b32 s15, s15, s41
	s_and_not1_b32 exec_lo, exec_lo, s14
	s_cbranch_execz .LBB8_1174
.LBB8_1037:                             ;   Parent Loop BB8_47 Depth=1
                                        ;     Parent Loop BB8_959 Depth=2
                                        ; =>    This Inner Loop Header: Depth=3
	s_clause 0x1
	global_load_b128 v[36:39], v[104:105], off th:TH_LOAD_NT
	global_load_b128 v[24:27], v[104:105], off offset:512 th:TH_LOAD_NT
	s_clause 0x1
	global_load_b128 v[48:51], v[106:107], off th:TH_LOAD_NT
	global_load_b128 v[32:35], v[106:107], off offset:512 th:TH_LOAD_NT
	s_wait_xcnt 0x0
	s_and_saveexec_b32 s41, s40
	s_cbranch_execz .LBB8_1103
; %bb.1038:                             ;   in Loop: Header=BB8_1037 Depth=3
	v_lshlrev_b32_e32 v4, 16, v20
	v_lshlrev_b32_e32 v5, 16, v16
	s_mov_b32 s40, exec_lo
                                        ; implicit-def: $vgpr52
	s_delay_alu instid0(VALU_DEP_1) | instskip(NEXT) | instid1(VALU_DEP_1)
	v_mul_f32_e32 v4, v4, v5
	v_and_b32_e32 v5, 0x7f800000, v4
	s_delay_alu instid0(VALU_DEP_1)
	v_cmpx_ne_u32_e32 0x7f800000, v5
	s_xor_b32 s40, exec_lo, s40
; %bb.1039:                             ;   in Loop: Header=BB8_1037 Depth=3
	v_bfe_u32 v5, v4, 16, 1
	s_delay_alu instid0(VALU_DEP_1)
	v_add3_u32 v52, v4, v5, 0x7fff
                                        ; implicit-def: $vgpr4
; %bb.1040:                             ;   in Loop: Header=BB8_1037 Depth=3
	s_and_not1_saveexec_b32 s40, s40
; %bb.1041:                             ;   in Loop: Header=BB8_1037 Depth=3
	v_and_b32_e32 v5, 0xffff, v4
	v_or_b32_e32 v28, 0x10000, v4
	s_delay_alu instid0(VALU_DEP_2) | instskip(NEXT) | instid1(VALU_DEP_2)
	v_cmp_eq_u32_e32 vcc_lo, 0, v5
	v_cndmask_b32_e32 v52, v28, v4, vcc_lo
; %bb.1042:                             ;   in Loop: Header=BB8_1037 Depth=3
	s_or_b32 exec_lo, exec_lo, s40
	v_and_b32_e32 v5, 0xffff0000, v20
	v_and_b32_e32 v4, 0xffff0000, v16
	s_mov_b32 s40, exec_lo
                                        ; implicit-def: $vgpr53
	s_delay_alu instid0(VALU_DEP_2) | instskip(NEXT) | instid1(VALU_DEP_1)
	v_mov_b32_e32 v20, v5
	v_pk_mul_f32 v[108:109], v[20:21], v[4:5]
	s_delay_alu instid0(VALU_DEP_1) | instskip(NEXT) | instid1(VALU_DEP_1)
	v_and_b32_e32 v4, 0x7f800000, v108
	v_cmpx_ne_u32_e32 0x7f800000, v4
	s_xor_b32 s40, exec_lo, s40
; %bb.1043:                             ;   in Loop: Header=BB8_1037 Depth=3
	v_bfe_u32 v4, v108, 16, 1
	s_delay_alu instid0(VALU_DEP_1)
	v_add3_u32 v53, v108, v4, 0x7fff
                                        ; implicit-def: $vgpr108_vgpr109
; %bb.1044:                             ;   in Loop: Header=BB8_1037 Depth=3
	s_and_not1_saveexec_b32 s40, s40
; %bb.1045:                             ;   in Loop: Header=BB8_1037 Depth=3
	v_and_b32_e32 v4, 0xffff, v108
	v_or_b32_e32 v5, 0x10000, v108
	s_delay_alu instid0(VALU_DEP_2) | instskip(NEXT) | instid1(VALU_DEP_2)
	v_cmp_eq_u32_e32 vcc_lo, 0, v4
	v_cndmask_b32_e32 v53, v5, v108, vcc_lo
; %bb.1046:                             ;   in Loop: Header=BB8_1037 Depth=3
	s_or_b32 exec_lo, exec_lo, s40
	v_lshlrev_b32_e32 v4, 16, v17
	v_lshlrev_b32_e32 v5, 16, v21
	s_mov_b32 s40, exec_lo
                                        ; implicit-def: $vgpr108
	s_delay_alu instid0(VALU_DEP_1) | instskip(NEXT) | instid1(VALU_DEP_1)
	v_mul_f32_e32 v4, v5, v4
	v_and_b32_e32 v5, 0x7f800000, v4
	s_delay_alu instid0(VALU_DEP_1)
	v_cmpx_ne_u32_e32 0x7f800000, v5
	s_xor_b32 s40, exec_lo, s40
; %bb.1047:                             ;   in Loop: Header=BB8_1037 Depth=3
	v_bfe_u32 v5, v4, 16, 1
	s_delay_alu instid0(VALU_DEP_1)
	v_add3_u32 v108, v4, v5, 0x7fff
                                        ; implicit-def: $vgpr4
; %bb.1048:                             ;   in Loop: Header=BB8_1037 Depth=3
	s_and_not1_saveexec_b32 s40, s40
; %bb.1049:                             ;   in Loop: Header=BB8_1037 Depth=3
	v_and_b32_e32 v5, 0xffff, v4
	v_or_b32_e32 v20, 0x10000, v4
	s_delay_alu instid0(VALU_DEP_2) | instskip(NEXT) | instid1(VALU_DEP_2)
	v_cmp_eq_u32_e32 vcc_lo, 0, v5
	v_cndmask_b32_e32 v108, v20, v4, vcc_lo
; %bb.1050:                             ;   in Loop: Header=BB8_1037 Depth=3
	s_or_b32 exec_lo, exec_lo, s40
	v_and_b32_e32 v5, 0xffff0000, v21
	v_and_b32_e32 v4, 0xffff0000, v17
	s_mov_b32 s40, exec_lo
                                        ; implicit-def: $vgpr109
	s_delay_alu instid0(VALU_DEP_2) | instskip(NEXT) | instid1(VALU_DEP_1)
	v_mov_b32_e32 v20, v5
	v_pk_mul_f32 v[20:21], v[20:21], v[4:5]
	s_delay_alu instid0(VALU_DEP_1) | instskip(NEXT) | instid1(VALU_DEP_1)
	v_and_b32_e32 v4, 0x7f800000, v20
	v_cmpx_ne_u32_e32 0x7f800000, v4
	s_xor_b32 s40, exec_lo, s40
; %bb.1051:                             ;   in Loop: Header=BB8_1037 Depth=3
	v_bfe_u32 v4, v20, 16, 1
	s_delay_alu instid0(VALU_DEP_1)
	v_add3_u32 v109, v20, v4, 0x7fff
                                        ; implicit-def: $vgpr20_vgpr21
; %bb.1052:                             ;   in Loop: Header=BB8_1037 Depth=3
	s_and_not1_saveexec_b32 s40, s40
; %bb.1053:                             ;   in Loop: Header=BB8_1037 Depth=3
	v_and_b32_e32 v4, 0xffff, v20
	v_or_b32_e32 v5, 0x10000, v20
	s_delay_alu instid0(VALU_DEP_2) | instskip(NEXT) | instid1(VALU_DEP_2)
	v_cmp_eq_u32_e32 vcc_lo, 0, v4
	v_cndmask_b32_e32 v109, v5, v20, vcc_lo
; %bb.1054:                             ;   in Loop: Header=BB8_1037 Depth=3
	s_or_b32 exec_lo, exec_lo, s40
	v_lshlrev_b32_e32 v4, 16, v22
	v_lshlrev_b32_e32 v5, 16, v18
	s_mov_b32 s40, exec_lo
                                        ; implicit-def: $vgpr110
	s_delay_alu instid0(VALU_DEP_1) | instskip(NEXT) | instid1(VALU_DEP_1)
	v_mul_f32_e32 v4, v4, v5
	v_and_b32_e32 v5, 0x7f800000, v4
	s_delay_alu instid0(VALU_DEP_1)
	v_cmpx_ne_u32_e32 0x7f800000, v5
	s_xor_b32 s40, exec_lo, s40
; %bb.1055:                             ;   in Loop: Header=BB8_1037 Depth=3
	v_bfe_u32 v5, v4, 16, 1
	s_delay_alu instid0(VALU_DEP_1)
	v_add3_u32 v110, v4, v5, 0x7fff
                                        ; implicit-def: $vgpr4
; %bb.1056:                             ;   in Loop: Header=BB8_1037 Depth=3
	s_and_not1_saveexec_b32 s40, s40
; %bb.1057:                             ;   in Loop: Header=BB8_1037 Depth=3
	v_and_b32_e32 v5, 0xffff, v4
	v_or_b32_e32 v20, 0x10000, v4
	s_delay_alu instid0(VALU_DEP_2) | instskip(NEXT) | instid1(VALU_DEP_2)
	v_cmp_eq_u32_e32 vcc_lo, 0, v5
	v_cndmask_b32_e32 v110, v20, v4, vcc_lo
; %bb.1058:                             ;   in Loop: Header=BB8_1037 Depth=3
	s_or_b32 exec_lo, exec_lo, s40
	v_and_b32_e32 v5, 0xffff0000, v22
	v_and_b32_e32 v4, 0xffff0000, v18
	s_mov_b32 s40, exec_lo
                                        ; implicit-def: $vgpr22
	s_delay_alu instid0(VALU_DEP_2) | instskip(NEXT) | instid1(VALU_DEP_1)
	v_mov_b32_e32 v20, v5
	v_pk_mul_f32 v[20:21], v[20:21], v[4:5]
	s_delay_alu instid0(VALU_DEP_1) | instskip(NEXT) | instid1(VALU_DEP_1)
	v_and_b32_e32 v4, 0x7f800000, v20
	v_cmpx_ne_u32_e32 0x7f800000, v4
	s_xor_b32 s40, exec_lo, s40
; %bb.1059:                             ;   in Loop: Header=BB8_1037 Depth=3
	v_bfe_u32 v4, v20, 16, 1
	s_delay_alu instid0(VALU_DEP_1)
	v_add3_u32 v22, v20, v4, 0x7fff
                                        ; implicit-def: $vgpr20_vgpr21
; %bb.1060:                             ;   in Loop: Header=BB8_1037 Depth=3
	s_and_not1_saveexec_b32 s40, s40
; %bb.1061:                             ;   in Loop: Header=BB8_1037 Depth=3
	v_and_b32_e32 v4, 0xffff, v20
	v_or_b32_e32 v5, 0x10000, v20
	s_delay_alu instid0(VALU_DEP_2) | instskip(NEXT) | instid1(VALU_DEP_2)
	v_cmp_eq_u32_e32 vcc_lo, 0, v4
	v_cndmask_b32_e32 v22, v5, v20, vcc_lo
; %bb.1062:                             ;   in Loop: Header=BB8_1037 Depth=3
	s_or_b32 exec_lo, exec_lo, s40
	v_lshlrev_b32_e32 v4, 16, v19
	v_lshlrev_b32_e32 v5, 16, v23
	s_mov_b32 s40, exec_lo
                                        ; implicit-def: $vgpr54
	s_delay_alu instid0(VALU_DEP_1) | instskip(NEXT) | instid1(VALU_DEP_1)
	v_mul_f32_e32 v4, v5, v4
	v_and_b32_e32 v5, 0x7f800000, v4
	s_delay_alu instid0(VALU_DEP_1)
	v_cmpx_ne_u32_e32 0x7f800000, v5
	s_xor_b32 s40, exec_lo, s40
; %bb.1063:                             ;   in Loop: Header=BB8_1037 Depth=3
	v_bfe_u32 v5, v4, 16, 1
	s_delay_alu instid0(VALU_DEP_1)
	v_add3_u32 v54, v4, v5, 0x7fff
                                        ; implicit-def: $vgpr4
; %bb.1064:                             ;   in Loop: Header=BB8_1037 Depth=3
	s_and_not1_saveexec_b32 s40, s40
; %bb.1065:                             ;   in Loop: Header=BB8_1037 Depth=3
	v_and_b32_e32 v5, 0xffff, v4
	v_or_b32_e32 v20, 0x10000, v4
	s_delay_alu instid0(VALU_DEP_2) | instskip(NEXT) | instid1(VALU_DEP_2)
	v_cmp_eq_u32_e32 vcc_lo, 0, v5
	v_cndmask_b32_e32 v54, v20, v4, vcc_lo
; %bb.1066:                             ;   in Loop: Header=BB8_1037 Depth=3
	s_or_b32 exec_lo, exec_lo, s40
	v_and_b32_e32 v5, 0xffff0000, v23
	v_and_b32_e32 v4, 0xffff0000, v19
	s_mov_b32 s40, exec_lo
                                        ; implicit-def: $vgpr23
	s_delay_alu instid0(VALU_DEP_2) | instskip(NEXT) | instid1(VALU_DEP_1)
	v_mov_b32_e32 v20, v5
	v_pk_mul_f32 v[20:21], v[20:21], v[4:5]
	s_delay_alu instid0(VALU_DEP_1) | instskip(NEXT) | instid1(VALU_DEP_1)
	v_and_b32_e32 v4, 0x7f800000, v20
	v_cmpx_ne_u32_e32 0x7f800000, v4
	s_xor_b32 s40, exec_lo, s40
; %bb.1067:                             ;   in Loop: Header=BB8_1037 Depth=3
	v_bfe_u32 v4, v20, 16, 1
	s_delay_alu instid0(VALU_DEP_1)
	v_add3_u32 v23, v20, v4, 0x7fff
                                        ; implicit-def: $vgpr20_vgpr21
; %bb.1068:                             ;   in Loop: Header=BB8_1037 Depth=3
	s_and_not1_saveexec_b32 s40, s40
; %bb.1069:                             ;   in Loop: Header=BB8_1037 Depth=3
	v_and_b32_e32 v4, 0xffff, v20
	v_or_b32_e32 v5, 0x10000, v20
	s_delay_alu instid0(VALU_DEP_2) | instskip(NEXT) | instid1(VALU_DEP_2)
	v_cmp_eq_u32_e32 vcc_lo, 0, v4
	v_cndmask_b32_e32 v23, v5, v20, vcc_lo
; %bb.1070:                             ;   in Loop: Header=BB8_1037 Depth=3
	s_or_b32 exec_lo, exec_lo, s40
	v_lshlrev_b32_e32 v4, 16, v12
	v_lshlrev_b32_e32 v5, 16, v8
	s_mov_b32 s40, exec_lo
                                        ; implicit-def: $vgpr55
	s_delay_alu instid0(VALU_DEP_1) | instskip(NEXT) | instid1(VALU_DEP_1)
	v_mul_f32_e32 v4, v4, v5
	v_and_b32_e32 v5, 0x7f800000, v4
	s_delay_alu instid0(VALU_DEP_1)
	v_cmpx_ne_u32_e32 0x7f800000, v5
	s_xor_b32 s40, exec_lo, s40
; %bb.1071:                             ;   in Loop: Header=BB8_1037 Depth=3
	v_bfe_u32 v5, v4, 16, 1
	s_delay_alu instid0(VALU_DEP_1)
	v_add3_u32 v55, v4, v5, 0x7fff
                                        ; implicit-def: $vgpr4
; %bb.1072:                             ;   in Loop: Header=BB8_1037 Depth=3
	s_and_not1_saveexec_b32 s40, s40
; %bb.1073:                             ;   in Loop: Header=BB8_1037 Depth=3
	v_and_b32_e32 v5, 0xffff, v4
	v_or_b32_e32 v20, 0x10000, v4
	s_delay_alu instid0(VALU_DEP_2) | instskip(NEXT) | instid1(VALU_DEP_2)
	v_cmp_eq_u32_e32 vcc_lo, 0, v5
	v_cndmask_b32_e32 v55, v20, v4, vcc_lo
; %bb.1074:                             ;   in Loop: Header=BB8_1037 Depth=3
	s_or_b32 exec_lo, exec_lo, s40
	v_and_b32_e32 v5, 0xffff0000, v12
	v_and_b32_e32 v4, 0xffff0000, v8
	s_mov_b32 s40, exec_lo
                                        ; implicit-def: $vgpr28
	s_delay_alu instid0(VALU_DEP_2) | instskip(NEXT) | instid1(VALU_DEP_1)
	v_mov_b32_e32 v12, v5
	v_pk_mul_f32 v[20:21], v[12:13], v[4:5]
	s_delay_alu instid0(VALU_DEP_1) | instskip(NEXT) | instid1(VALU_DEP_1)
	v_and_b32_e32 v4, 0x7f800000, v20
	v_cmpx_ne_u32_e32 0x7f800000, v4
	s_xor_b32 s40, exec_lo, s40
; %bb.1075:                             ;   in Loop: Header=BB8_1037 Depth=3
	v_bfe_u32 v4, v20, 16, 1
	s_delay_alu instid0(VALU_DEP_1)
	v_add3_u32 v28, v20, v4, 0x7fff
                                        ; implicit-def: $vgpr20_vgpr21
; %bb.1076:                             ;   in Loop: Header=BB8_1037 Depth=3
	s_and_not1_saveexec_b32 s40, s40
; %bb.1077:                             ;   in Loop: Header=BB8_1037 Depth=3
	v_and_b32_e32 v4, 0xffff, v20
	v_or_b32_e32 v5, 0x10000, v20
	s_delay_alu instid0(VALU_DEP_2) | instskip(NEXT) | instid1(VALU_DEP_2)
	v_cmp_eq_u32_e32 vcc_lo, 0, v4
	v_cndmask_b32_e32 v28, v5, v20, vcc_lo
; %bb.1078:                             ;   in Loop: Header=BB8_1037 Depth=3
	s_or_b32 exec_lo, exec_lo, s40
	v_lshlrev_b32_e32 v4, 16, v9
	v_lshlrev_b32_e32 v5, 16, v13
	s_mov_b32 s40, exec_lo
                                        ; implicit-def: $vgpr29
	s_delay_alu instid0(VALU_DEP_1) | instskip(NEXT) | instid1(VALU_DEP_1)
	v_mul_f32_e32 v4, v5, v4
	v_and_b32_e32 v5, 0x7f800000, v4
	s_delay_alu instid0(VALU_DEP_1)
	v_cmpx_ne_u32_e32 0x7f800000, v5
	s_xor_b32 s40, exec_lo, s40
; %bb.1079:                             ;   in Loop: Header=BB8_1037 Depth=3
	v_bfe_u32 v5, v4, 16, 1
	s_delay_alu instid0(VALU_DEP_1)
	v_add3_u32 v29, v4, v5, 0x7fff
                                        ; implicit-def: $vgpr4
; %bb.1080:                             ;   in Loop: Header=BB8_1037 Depth=3
	s_and_not1_saveexec_b32 s40, s40
; %bb.1081:                             ;   in Loop: Header=BB8_1037 Depth=3
	v_and_b32_e32 v5, 0xffff, v4
	v_or_b32_e32 v12, 0x10000, v4
	s_delay_alu instid0(VALU_DEP_2) | instskip(NEXT) | instid1(VALU_DEP_2)
	v_cmp_eq_u32_e32 vcc_lo, 0, v5
	v_cndmask_b32_e32 v29, v12, v4, vcc_lo
; %bb.1082:                             ;   in Loop: Header=BB8_1037 Depth=3
	s_or_b32 exec_lo, exec_lo, s40
	v_and_b32_e32 v5, 0xffff0000, v13
	v_and_b32_e32 v4, 0xffff0000, v9
	s_mov_b32 s40, exec_lo
                                        ; implicit-def: $vgpr98
	s_delay_alu instid0(VALU_DEP_2) | instskip(NEXT) | instid1(VALU_DEP_1)
	v_mov_b32_e32 v12, v5
	v_pk_mul_f32 v[12:13], v[12:13], v[4:5]
	s_delay_alu instid0(VALU_DEP_1) | instskip(NEXT) | instid1(VALU_DEP_1)
	v_and_b32_e32 v4, 0x7f800000, v12
	v_cmpx_ne_u32_e32 0x7f800000, v4
	s_xor_b32 s40, exec_lo, s40
; %bb.1083:                             ;   in Loop: Header=BB8_1037 Depth=3
	v_bfe_u32 v4, v12, 16, 1
	s_delay_alu instid0(VALU_DEP_1)
	v_add3_u32 v98, v12, v4, 0x7fff
                                        ; implicit-def: $vgpr12_vgpr13
; %bb.1084:                             ;   in Loop: Header=BB8_1037 Depth=3
	s_and_not1_saveexec_b32 s40, s40
; %bb.1085:                             ;   in Loop: Header=BB8_1037 Depth=3
	v_and_b32_e32 v4, 0xffff, v12
	v_or_b32_e32 v5, 0x10000, v12
	s_delay_alu instid0(VALU_DEP_2) | instskip(NEXT) | instid1(VALU_DEP_2)
	v_cmp_eq_u32_e32 vcc_lo, 0, v4
	v_cndmask_b32_e32 v98, v5, v12, vcc_lo
; %bb.1086:                             ;   in Loop: Header=BB8_1037 Depth=3
	s_or_b32 exec_lo, exec_lo, s40
	v_lshlrev_b32_e32 v4, 16, v14
	v_lshlrev_b32_e32 v5, 16, v10
	s_mov_b32 s40, exec_lo
                                        ; implicit-def: $vgpr99
	s_delay_alu instid0(VALU_DEP_1) | instskip(NEXT) | instid1(VALU_DEP_1)
	v_mul_f32_e32 v4, v4, v5
	v_and_b32_e32 v5, 0x7f800000, v4
	s_delay_alu instid0(VALU_DEP_1)
	v_cmpx_ne_u32_e32 0x7f800000, v5
	s_xor_b32 s40, exec_lo, s40
; %bb.1087:                             ;   in Loop: Header=BB8_1037 Depth=3
	v_bfe_u32 v5, v4, 16, 1
	s_delay_alu instid0(VALU_DEP_1)
	v_add3_u32 v99, v4, v5, 0x7fff
                                        ; implicit-def: $vgpr4
; %bb.1088:                             ;   in Loop: Header=BB8_1037 Depth=3
	s_and_not1_saveexec_b32 s40, s40
; %bb.1089:                             ;   in Loop: Header=BB8_1037 Depth=3
	v_and_b32_e32 v5, 0xffff, v4
	v_or_b32_e32 v12, 0x10000, v4
	s_delay_alu instid0(VALU_DEP_2) | instskip(NEXT) | instid1(VALU_DEP_2)
	v_cmp_eq_u32_e32 vcc_lo, 0, v5
	v_cndmask_b32_e32 v99, v12, v4, vcc_lo
; %bb.1090:                             ;   in Loop: Header=BB8_1037 Depth=3
	s_or_b32 exec_lo, exec_lo, s40
	v_and_b32_e32 v5, 0xffff0000, v14
	v_and_b32_e32 v4, 0xffff0000, v10
	s_mov_b32 s40, exec_lo
                                        ; implicit-def: $vgpr14
	s_delay_alu instid0(VALU_DEP_2) | instskip(NEXT) | instid1(VALU_DEP_1)
	v_mov_b32_e32 v12, v5
	v_pk_mul_f32 v[12:13], v[12:13], v[4:5]
	s_delay_alu instid0(VALU_DEP_1) | instskip(NEXT) | instid1(VALU_DEP_1)
	v_and_b32_e32 v4, 0x7f800000, v12
	v_cmpx_ne_u32_e32 0x7f800000, v4
	s_xor_b32 s40, exec_lo, s40
; %bb.1091:                             ;   in Loop: Header=BB8_1037 Depth=3
	v_bfe_u32 v4, v12, 16, 1
	s_delay_alu instid0(VALU_DEP_1)
	v_add3_u32 v14, v12, v4, 0x7fff
                                        ; implicit-def: $vgpr12_vgpr13
; %bb.1092:                             ;   in Loop: Header=BB8_1037 Depth=3
	s_and_not1_saveexec_b32 s40, s40
; %bb.1093:                             ;   in Loop: Header=BB8_1037 Depth=3
	v_and_b32_e32 v4, 0xffff, v12
	v_or_b32_e32 v5, 0x10000, v12
	s_delay_alu instid0(VALU_DEP_2) | instskip(NEXT) | instid1(VALU_DEP_2)
	v_cmp_eq_u32_e32 vcc_lo, 0, v4
	v_cndmask_b32_e32 v14, v5, v12, vcc_lo
; %bb.1094:                             ;   in Loop: Header=BB8_1037 Depth=3
	s_or_b32 exec_lo, exec_lo, s40
	v_lshlrev_b32_e32 v4, 16, v11
	v_lshlrev_b32_e32 v5, 16, v15
	s_delay_alu instid0(VALU_DEP_1) | instskip(NEXT) | instid1(VALU_DEP_1)
	v_mul_f32_e32 v5, v5, v4
	v_and_b32_e32 v4, 0x7f800000, v5
	s_delay_alu instid0(VALU_DEP_1) | instskip(SKIP_1) | instid1(SALU_CYCLE_1)
	v_cmp_ne_u32_e32 vcc_lo, 0x7f800000, v4
                                        ; implicit-def: $vgpr4
	s_and_saveexec_b32 s40, vcc_lo
	s_xor_b32 s40, exec_lo, s40
; %bb.1095:                             ;   in Loop: Header=BB8_1037 Depth=3
	v_bfe_u32 v4, v5, 16, 1
	s_delay_alu instid0(VALU_DEP_1)
	v_add3_u32 v4, v5, v4, 0x7fff
                                        ; implicit-def: $vgpr5
; %bb.1096:                             ;   in Loop: Header=BB8_1037 Depth=3
	s_and_not1_saveexec_b32 s40, s40
; %bb.1097:                             ;   in Loop: Header=BB8_1037 Depth=3
	v_and_b32_e32 v4, 0xffff, v5
	v_or_b32_e32 v12, 0x10000, v5
	s_delay_alu instid0(VALU_DEP_2) | instskip(NEXT) | instid1(VALU_DEP_2)
	v_cmp_eq_u32_e32 vcc_lo, 0, v4
	v_cndmask_b32_e32 v4, v12, v5, vcc_lo
; %bb.1098:                             ;   in Loop: Header=BB8_1037 Depth=3
	s_or_b32 exec_lo, exec_lo, s40
	v_and_b32_e32 v13, 0xffff0000, v15
	v_and_b32_e32 v12, 0xffff0000, v11
	s_delay_alu instid0(VALU_DEP_2) | instskip(NEXT) | instid1(VALU_DEP_1)
	v_mov_b32_e32 v20, v13
	v_pk_mul_f32 v[12:13], v[20:21], v[12:13]
	s_delay_alu instid0(VALU_DEP_1) | instskip(NEXT) | instid1(VALU_DEP_1)
	v_and_b32_e32 v5, 0x7f800000, v12
	v_cmp_ne_u32_e32 vcc_lo, 0x7f800000, v5
                                        ; implicit-def: $vgpr5
	s_and_saveexec_b32 s40, vcc_lo
	s_delay_alu instid0(SALU_CYCLE_1)
	s_xor_b32 s40, exec_lo, s40
; %bb.1099:                             ;   in Loop: Header=BB8_1037 Depth=3
	v_bfe_u32 v5, v12, 16, 1
	s_delay_alu instid0(VALU_DEP_1)
	v_add3_u32 v5, v12, v5, 0x7fff
                                        ; implicit-def: $vgpr12_vgpr13
; %bb.1100:                             ;   in Loop: Header=BB8_1037 Depth=3
	s_and_not1_saveexec_b32 s40, s40
; %bb.1101:                             ;   in Loop: Header=BB8_1037 Depth=3
	v_and_b32_e32 v5, 0xffff, v12
	v_or_b32_e32 v13, 0x10000, v12
	s_delay_alu instid0(VALU_DEP_2) | instskip(NEXT) | instid1(VALU_DEP_2)
	v_cmp_eq_u32_e32 vcc_lo, 0, v5
	v_cndmask_b32_e32 v5, v13, v12, vcc_lo
; %bb.1102:                             ;   in Loop: Header=BB8_1037 Depth=3
	s_or_b32 exec_lo, exec_lo, s40
	v_dual_lshrrev_b32 v12, 16, v108 :: v_dual_lshrrev_b32 v15, 16, v110
	v_lshrrev_b32_e32 v13, 16, v52
	v_lshrrev_b32_e32 v4, 16, v4
	s_delay_alu instid0(VALU_DEP_3) | instskip(SKIP_1) | instid1(VALU_DEP_4)
	v_and_or_b32 v21, 0xffff0000, v109, v12
	v_lshrrev_b32_e32 v12, 16, v54
	v_and_or_b32 v20, 0xffff0000, v53, v13
	v_and_or_b32 v22, 0xffff0000, v22, v15
	v_dual_lshrrev_b32 v13, 16, v29 :: v_dual_lshrrev_b32 v15, 16, v55
	v_lshrrev_b32_e32 v29, 16, v99
	v_and_or_b32 v23, 0xffff0000, v23, v12
	s_delay_alu instid0(VALU_DEP_3) | instskip(NEXT) | instid1(VALU_DEP_4)
	v_and_or_b32 v13, 0xffff0000, v98, v13
	v_and_or_b32 v12, 0xffff0000, v28, v15
	s_delay_alu instid0(VALU_DEP_4)
	v_and_or_b32 v14, 0xffff0000, v14, v29
	v_and_or_b32 v15, 0xffff0000, v5, v4
	s_clause 0x1
	global_store_b128 v[94:95], v[20:23], off th:TH_STORE_NT
	global_store_b128 v[94:95], v[12:15], off offset:512 th:TH_STORE_NT
	s_clause 0x1
	global_store_b128 v[92:93], v[20:23], off th:TH_STORE_NT
	global_store_b128 v[92:93], v[12:15], off offset:512 th:TH_STORE_NT
	s_wait_xcnt 0x2
	v_add_nc_u64_e32 v[94:95], v[94:95], v[118:119]
	s_wait_xcnt 0x0
	v_add_nc_u64_e32 v[92:93], v[92:93], v[118:119]
.LBB8_1103:                             ;   in Loop: Header=BB8_1037 Depth=3
	s_or_b32 exec_lo, exec_lo, s41
	v_sub_nc_u32_e32 v75, v75, v84
	v_add_nc_u64_e32 v[104:105], v[104:105], v[118:119]
	v_add_nc_u64_e32 v[106:107], v[106:107], v[118:119]
	s_delay_alu instid0(VALU_DEP_3)
	v_cmp_lt_i32_e64 s40, 0, v75
	s_and_saveexec_b32 s41, s40
	s_cbranch_execz .LBB8_1105
; %bb.1104:                             ;   in Loop: Header=BB8_1037 Depth=3
	s_clause 0x1
	global_load_b128 v[20:23], v[104:105], off th:TH_LOAD_NT
	global_load_b128 v[12:15], v[104:105], off offset:512 th:TH_LOAD_NT
	s_clause 0x1
	global_load_b128 v[16:19], v[106:107], off th:TH_LOAD_NT
	global_load_b128 v[8:11], v[106:107], off offset:512 th:TH_LOAD_NT
	s_wait_xcnt 0x2
	v_add_nc_u64_e32 v[104:105], 0x400, v[104:105]
	s_wait_xcnt 0x0
	v_add_nc_u64_e32 v[106:107], 0x400, v[106:107]
.LBB8_1105:                             ;   in Loop: Header=BB8_1037 Depth=3
	s_or_b32 exec_lo, exec_lo, s41
	s_wait_loadcnt 0x3
	v_lshlrev_b32_e32 v4, 16, v36
	s_wait_loadcnt 0x1
	v_lshlrev_b32_e32 v5, 16, v48
	s_mov_b32 s41, exec_lo
                                        ; implicit-def: $vgpr52
	s_delay_alu instid0(VALU_DEP_1) | instskip(NEXT) | instid1(VALU_DEP_1)
	v_mul_f32_e32 v4, v5, v4
	v_and_b32_e32 v5, 0x7f800000, v4
	s_delay_alu instid0(VALU_DEP_1)
	v_cmpx_ne_u32_e32 0x7f800000, v5
	s_xor_b32 s41, exec_lo, s41
; %bb.1106:                             ;   in Loop: Header=BB8_1037 Depth=3
	v_bfe_u32 v5, v4, 16, 1
	s_delay_alu instid0(VALU_DEP_1)
	v_add3_u32 v52, v4, v5, 0x7fff
                                        ; implicit-def: $vgpr4
; %bb.1107:                             ;   in Loop: Header=BB8_1037 Depth=3
	s_and_not1_saveexec_b32 s41, s41
; %bb.1108:                             ;   in Loop: Header=BB8_1037 Depth=3
	v_and_b32_e32 v5, 0xffff, v4
	v_or_b32_e32 v28, 0x10000, v4
	s_delay_alu instid0(VALU_DEP_2) | instskip(NEXT) | instid1(VALU_DEP_2)
	v_cmp_eq_u32_e32 vcc_lo, 0, v5
	v_cndmask_b32_e32 v52, v28, v4, vcc_lo
; %bb.1109:                             ;   in Loop: Header=BB8_1037 Depth=3
	s_or_b32 exec_lo, exec_lo, s41
	v_and_b32_e32 v5, 0xffff0000, v48
	v_and_b32_e32 v4, 0xffff0000, v36
	s_mov_b32 s41, exec_lo
                                        ; implicit-def: $vgpr48
	s_delay_alu instid0(VALU_DEP_2) | instskip(NEXT) | instid1(VALU_DEP_1)
	v_mov_b32_e32 v28, v5
	v_pk_mul_f32 v[108:109], v[28:29], v[4:5]
	s_delay_alu instid0(VALU_DEP_1) | instskip(NEXT) | instid1(VALU_DEP_1)
	v_and_b32_e32 v4, 0x7f800000, v108
	v_cmpx_ne_u32_e32 0x7f800000, v4
	s_xor_b32 s41, exec_lo, s41
; %bb.1110:                             ;   in Loop: Header=BB8_1037 Depth=3
	v_bfe_u32 v4, v108, 16, 1
	s_delay_alu instid0(VALU_DEP_1)
	v_add3_u32 v48, v108, v4, 0x7fff
                                        ; implicit-def: $vgpr108_vgpr109
; %bb.1111:                             ;   in Loop: Header=BB8_1037 Depth=3
	s_and_not1_saveexec_b32 s41, s41
; %bb.1112:                             ;   in Loop: Header=BB8_1037 Depth=3
	v_and_b32_e32 v4, 0xffff, v108
	v_or_b32_e32 v5, 0x10000, v108
	s_delay_alu instid0(VALU_DEP_2) | instskip(NEXT) | instid1(VALU_DEP_2)
	v_cmp_eq_u32_e32 vcc_lo, 0, v4
	v_cndmask_b32_e32 v48, v5, v108, vcc_lo
; %bb.1113:                             ;   in Loop: Header=BB8_1037 Depth=3
	s_or_b32 exec_lo, exec_lo, s41
	v_lshlrev_b32_e32 v4, 16, v37
	v_lshlrev_b32_e32 v5, 16, v49
	s_mov_b32 s41, exec_lo
                                        ; implicit-def: $vgpr53
	s_delay_alu instid0(VALU_DEP_1) | instskip(NEXT) | instid1(VALU_DEP_1)
	v_mul_f32_e32 v4, v5, v4
	v_and_b32_e32 v5, 0x7f800000, v4
	s_delay_alu instid0(VALU_DEP_1)
	v_cmpx_ne_u32_e32 0x7f800000, v5
	s_xor_b32 s41, exec_lo, s41
; %bb.1114:                             ;   in Loop: Header=BB8_1037 Depth=3
	v_bfe_u32 v5, v4, 16, 1
	s_delay_alu instid0(VALU_DEP_1)
	v_add3_u32 v53, v4, v5, 0x7fff
                                        ; implicit-def: $vgpr4
; %bb.1115:                             ;   in Loop: Header=BB8_1037 Depth=3
	s_and_not1_saveexec_b32 s41, s41
; %bb.1116:                             ;   in Loop: Header=BB8_1037 Depth=3
	v_and_b32_e32 v5, 0xffff, v4
	v_or_b32_e32 v28, 0x10000, v4
	s_delay_alu instid0(VALU_DEP_2) | instskip(NEXT) | instid1(VALU_DEP_2)
	v_cmp_eq_u32_e32 vcc_lo, 0, v5
	v_cndmask_b32_e32 v53, v28, v4, vcc_lo
; %bb.1117:                             ;   in Loop: Header=BB8_1037 Depth=3
	s_or_b32 exec_lo, exec_lo, s41
	v_and_b32_e32 v5, 0xffff0000, v49
	v_and_b32_e32 v4, 0xffff0000, v37
	s_mov_b32 s41, exec_lo
                                        ; implicit-def: $vgpr49
	s_delay_alu instid0(VALU_DEP_2) | instskip(NEXT) | instid1(VALU_DEP_1)
	v_mov_b32_e32 v28, v5
	v_pk_mul_f32 v[36:37], v[28:29], v[4:5]
	s_delay_alu instid0(VALU_DEP_1) | instskip(NEXT) | instid1(VALU_DEP_1)
	v_and_b32_e32 v4, 0x7f800000, v36
	v_cmpx_ne_u32_e32 0x7f800000, v4
	s_xor_b32 s41, exec_lo, s41
; %bb.1118:                             ;   in Loop: Header=BB8_1037 Depth=3
	v_bfe_u32 v4, v36, 16, 1
	s_delay_alu instid0(VALU_DEP_1)
	v_add3_u32 v49, v36, v4, 0x7fff
                                        ; implicit-def: $vgpr36_vgpr37
; %bb.1119:                             ;   in Loop: Header=BB8_1037 Depth=3
	s_and_not1_saveexec_b32 s41, s41
; %bb.1120:                             ;   in Loop: Header=BB8_1037 Depth=3
	v_and_b32_e32 v4, 0xffff, v36
	v_or_b32_e32 v5, 0x10000, v36
	s_delay_alu instid0(VALU_DEP_2) | instskip(NEXT) | instid1(VALU_DEP_2)
	v_cmp_eq_u32_e32 vcc_lo, 0, v4
	v_cndmask_b32_e32 v49, v5, v36, vcc_lo
; %bb.1121:                             ;   in Loop: Header=BB8_1037 Depth=3
	s_or_b32 exec_lo, exec_lo, s41
	v_lshlrev_b32_e32 v4, 16, v38
	v_lshlrev_b32_e32 v5, 16, v50
	s_mov_b32 s41, exec_lo
                                        ; implicit-def: $vgpr108
	s_delay_alu instid0(VALU_DEP_1) | instskip(NEXT) | instid1(VALU_DEP_1)
	v_mul_f32_e32 v4, v5, v4
	v_and_b32_e32 v5, 0x7f800000, v4
	s_delay_alu instid0(VALU_DEP_1)
	v_cmpx_ne_u32_e32 0x7f800000, v5
	s_xor_b32 s41, exec_lo, s41
; %bb.1122:                             ;   in Loop: Header=BB8_1037 Depth=3
	v_bfe_u32 v5, v4, 16, 1
	s_delay_alu instid0(VALU_DEP_1)
	v_add3_u32 v108, v4, v5, 0x7fff
                                        ; implicit-def: $vgpr4
; %bb.1123:                             ;   in Loop: Header=BB8_1037 Depth=3
	s_and_not1_saveexec_b32 s41, s41
; %bb.1124:                             ;   in Loop: Header=BB8_1037 Depth=3
	v_and_b32_e32 v5, 0xffff, v4
	v_or_b32_e32 v28, 0x10000, v4
	s_delay_alu instid0(VALU_DEP_2) | instskip(NEXT) | instid1(VALU_DEP_2)
	v_cmp_eq_u32_e32 vcc_lo, 0, v5
	v_cndmask_b32_e32 v108, v28, v4, vcc_lo
; %bb.1125:                             ;   in Loop: Header=BB8_1037 Depth=3
	s_or_b32 exec_lo, exec_lo, s41
	v_and_b32_e32 v5, 0xffff0000, v50
	v_and_b32_e32 v4, 0xffff0000, v38
	s_mov_b32 s41, exec_lo
                                        ; implicit-def: $vgpr38
	s_delay_alu instid0(VALU_DEP_2) | instskip(NEXT) | instid1(VALU_DEP_1)
	v_mov_b32_e32 v28, v5
	v_pk_mul_f32 v[36:37], v[28:29], v[4:5]
	s_delay_alu instid0(VALU_DEP_1) | instskip(NEXT) | instid1(VALU_DEP_1)
	v_and_b32_e32 v4, 0x7f800000, v36
	v_cmpx_ne_u32_e32 0x7f800000, v4
	s_xor_b32 s41, exec_lo, s41
; %bb.1126:                             ;   in Loop: Header=BB8_1037 Depth=3
	v_bfe_u32 v4, v36, 16, 1
	s_delay_alu instid0(VALU_DEP_1)
	v_add3_u32 v38, v36, v4, 0x7fff
                                        ; implicit-def: $vgpr36_vgpr37
; %bb.1127:                             ;   in Loop: Header=BB8_1037 Depth=3
	s_and_not1_saveexec_b32 s41, s41
; %bb.1128:                             ;   in Loop: Header=BB8_1037 Depth=3
	v_and_b32_e32 v4, 0xffff, v36
	v_or_b32_e32 v5, 0x10000, v36
	s_delay_alu instid0(VALU_DEP_2) | instskip(NEXT) | instid1(VALU_DEP_2)
	v_cmp_eq_u32_e32 vcc_lo, 0, v4
	v_cndmask_b32_e32 v38, v5, v36, vcc_lo
; %bb.1129:                             ;   in Loop: Header=BB8_1037 Depth=3
	s_or_b32 exec_lo, exec_lo, s41
	v_lshlrev_b32_e32 v4, 16, v39
	v_lshlrev_b32_e32 v5, 16, v51
	s_mov_b32 s41, exec_lo
                                        ; implicit-def: $vgpr50
	s_delay_alu instid0(VALU_DEP_1) | instskip(NEXT) | instid1(VALU_DEP_1)
	v_mul_f32_e32 v4, v5, v4
	v_and_b32_e32 v5, 0x7f800000, v4
	s_delay_alu instid0(VALU_DEP_1)
	v_cmpx_ne_u32_e32 0x7f800000, v5
	s_xor_b32 s41, exec_lo, s41
; %bb.1130:                             ;   in Loop: Header=BB8_1037 Depth=3
	v_bfe_u32 v5, v4, 16, 1
	s_delay_alu instid0(VALU_DEP_1)
	v_add3_u32 v50, v4, v5, 0x7fff
                                        ; implicit-def: $vgpr4
; %bb.1131:                             ;   in Loop: Header=BB8_1037 Depth=3
	s_and_not1_saveexec_b32 s41, s41
; %bb.1132:                             ;   in Loop: Header=BB8_1037 Depth=3
	v_and_b32_e32 v5, 0xffff, v4
	v_or_b32_e32 v28, 0x10000, v4
	s_delay_alu instid0(VALU_DEP_2) | instskip(NEXT) | instid1(VALU_DEP_2)
	v_cmp_eq_u32_e32 vcc_lo, 0, v5
	v_cndmask_b32_e32 v50, v28, v4, vcc_lo
; %bb.1133:                             ;   in Loop: Header=BB8_1037 Depth=3
	s_or_b32 exec_lo, exec_lo, s41
	v_and_b32_e32 v5, 0xffff0000, v51
	v_and_b32_e32 v4, 0xffff0000, v39
	s_mov_b32 s41, exec_lo
                                        ; implicit-def: $vgpr39
	s_delay_alu instid0(VALU_DEP_2) | instskip(NEXT) | instid1(VALU_DEP_1)
	v_mov_b32_e32 v28, v5
	v_pk_mul_f32 v[36:37], v[28:29], v[4:5]
	s_delay_alu instid0(VALU_DEP_1) | instskip(NEXT) | instid1(VALU_DEP_1)
	v_and_b32_e32 v4, 0x7f800000, v36
	v_cmpx_ne_u32_e32 0x7f800000, v4
	s_xor_b32 s41, exec_lo, s41
; %bb.1134:                             ;   in Loop: Header=BB8_1037 Depth=3
	v_bfe_u32 v4, v36, 16, 1
	s_delay_alu instid0(VALU_DEP_1)
	v_add3_u32 v39, v36, v4, 0x7fff
                                        ; implicit-def: $vgpr36_vgpr37
; %bb.1135:                             ;   in Loop: Header=BB8_1037 Depth=3
	s_and_not1_saveexec_b32 s41, s41
; %bb.1136:                             ;   in Loop: Header=BB8_1037 Depth=3
	v_and_b32_e32 v4, 0xffff, v36
	v_or_b32_e32 v5, 0x10000, v36
	s_delay_alu instid0(VALU_DEP_2) | instskip(NEXT) | instid1(VALU_DEP_2)
	v_cmp_eq_u32_e32 vcc_lo, 0, v4
	v_cndmask_b32_e32 v39, v5, v36, vcc_lo
; %bb.1137:                             ;   in Loop: Header=BB8_1037 Depth=3
	s_or_b32 exec_lo, exec_lo, s41
	v_lshlrev_b32_e32 v4, 16, v24
	s_wait_loadcnt 0x0
	v_lshlrev_b32_e32 v5, 16, v32
	s_mov_b32 s41, exec_lo
                                        ; implicit-def: $vgpr51
	s_delay_alu instid0(VALU_DEP_1) | instskip(NEXT) | instid1(VALU_DEP_1)
	v_mul_f32_e32 v4, v5, v4
	v_and_b32_e32 v5, 0x7f800000, v4
	s_delay_alu instid0(VALU_DEP_1)
	v_cmpx_ne_u32_e32 0x7f800000, v5
	s_xor_b32 s41, exec_lo, s41
; %bb.1138:                             ;   in Loop: Header=BB8_1037 Depth=3
	v_bfe_u32 v5, v4, 16, 1
	s_delay_alu instid0(VALU_DEP_1)
	v_add3_u32 v51, v4, v5, 0x7fff
                                        ; implicit-def: $vgpr4
; %bb.1139:                             ;   in Loop: Header=BB8_1037 Depth=3
	s_and_not1_saveexec_b32 s41, s41
; %bb.1140:                             ;   in Loop: Header=BB8_1037 Depth=3
	v_and_b32_e32 v5, 0xffff, v4
	v_or_b32_e32 v28, 0x10000, v4
	s_delay_alu instid0(VALU_DEP_2) | instskip(NEXT) | instid1(VALU_DEP_2)
	v_cmp_eq_u32_e32 vcc_lo, 0, v5
	v_cndmask_b32_e32 v51, v28, v4, vcc_lo
; %bb.1141:                             ;   in Loop: Header=BB8_1037 Depth=3
	s_or_b32 exec_lo, exec_lo, s41
	v_and_b32_e32 v5, 0xffff0000, v32
	v_and_b32_e32 v4, 0xffff0000, v24
	s_mov_b32 s41, exec_lo
                                        ; implicit-def: $vgpr28
	s_delay_alu instid0(VALU_DEP_2) | instskip(NEXT) | instid1(VALU_DEP_1)
	v_mov_b32_e32 v24, v5
	v_pk_mul_f32 v[36:37], v[24:25], v[4:5]
	s_delay_alu instid0(VALU_DEP_1) | instskip(NEXT) | instid1(VALU_DEP_1)
	v_and_b32_e32 v4, 0x7f800000, v36
	v_cmpx_ne_u32_e32 0x7f800000, v4
	s_xor_b32 s41, exec_lo, s41
; %bb.1142:                             ;   in Loop: Header=BB8_1037 Depth=3
	v_bfe_u32 v4, v36, 16, 1
	s_delay_alu instid0(VALU_DEP_1)
	v_add3_u32 v28, v36, v4, 0x7fff
                                        ; implicit-def: $vgpr36_vgpr37
; %bb.1143:                             ;   in Loop: Header=BB8_1037 Depth=3
	s_and_not1_saveexec_b32 s41, s41
; %bb.1144:                             ;   in Loop: Header=BB8_1037 Depth=3
	v_and_b32_e32 v4, 0xffff, v36
	v_or_b32_e32 v5, 0x10000, v36
	s_delay_alu instid0(VALU_DEP_2) | instskip(NEXT) | instid1(VALU_DEP_2)
	v_cmp_eq_u32_e32 vcc_lo, 0, v4
	v_cndmask_b32_e32 v28, v5, v36, vcc_lo
; %bb.1145:                             ;   in Loop: Header=BB8_1037 Depth=3
	s_or_b32 exec_lo, exec_lo, s41
	v_lshlrev_b32_e32 v4, 16, v25
	v_lshlrev_b32_e32 v5, 16, v33
	s_mov_b32 s41, exec_lo
                                        ; implicit-def: $vgpr29
	s_delay_alu instid0(VALU_DEP_1) | instskip(NEXT) | instid1(VALU_DEP_1)
	v_mul_f32_e32 v4, v5, v4
	v_and_b32_e32 v5, 0x7f800000, v4
	s_delay_alu instid0(VALU_DEP_1)
	v_cmpx_ne_u32_e32 0x7f800000, v5
	s_xor_b32 s41, exec_lo, s41
; %bb.1146:                             ;   in Loop: Header=BB8_1037 Depth=3
	v_bfe_u32 v5, v4, 16, 1
	s_delay_alu instid0(VALU_DEP_1)
	v_add3_u32 v29, v4, v5, 0x7fff
                                        ; implicit-def: $vgpr4
; %bb.1147:                             ;   in Loop: Header=BB8_1037 Depth=3
	s_and_not1_saveexec_b32 s41, s41
; %bb.1148:                             ;   in Loop: Header=BB8_1037 Depth=3
	v_and_b32_e32 v5, 0xffff, v4
	v_or_b32_e32 v24, 0x10000, v4
	s_delay_alu instid0(VALU_DEP_2) | instskip(NEXT) | instid1(VALU_DEP_2)
	v_cmp_eq_u32_e32 vcc_lo, 0, v5
	v_cndmask_b32_e32 v29, v24, v4, vcc_lo
; %bb.1149:                             ;   in Loop: Header=BB8_1037 Depth=3
	s_or_b32 exec_lo, exec_lo, s41
	v_and_b32_e32 v5, 0xffff0000, v33
	v_and_b32_e32 v4, 0xffff0000, v25
	s_mov_b32 s41, exec_lo
                                        ; implicit-def: $vgpr32
	s_delay_alu instid0(VALU_DEP_2) | instskip(NEXT) | instid1(VALU_DEP_1)
	v_mov_b32_e32 v24, v5
	v_pk_mul_f32 v[24:25], v[24:25], v[4:5]
	s_delay_alu instid0(VALU_DEP_1) | instskip(NEXT) | instid1(VALU_DEP_1)
	v_and_b32_e32 v4, 0x7f800000, v24
	v_cmpx_ne_u32_e32 0x7f800000, v4
	s_xor_b32 s41, exec_lo, s41
; %bb.1150:                             ;   in Loop: Header=BB8_1037 Depth=3
	v_bfe_u32 v4, v24, 16, 1
	s_delay_alu instid0(VALU_DEP_1)
	v_add3_u32 v32, v24, v4, 0x7fff
                                        ; implicit-def: $vgpr24_vgpr25
; %bb.1151:                             ;   in Loop: Header=BB8_1037 Depth=3
	s_and_not1_saveexec_b32 s41, s41
; %bb.1152:                             ;   in Loop: Header=BB8_1037 Depth=3
	v_and_b32_e32 v4, 0xffff, v24
	v_or_b32_e32 v5, 0x10000, v24
	s_delay_alu instid0(VALU_DEP_2) | instskip(NEXT) | instid1(VALU_DEP_2)
	v_cmp_eq_u32_e32 vcc_lo, 0, v4
	v_cndmask_b32_e32 v32, v5, v24, vcc_lo
; %bb.1153:                             ;   in Loop: Header=BB8_1037 Depth=3
	s_or_b32 exec_lo, exec_lo, s41
	v_lshlrev_b32_e32 v4, 16, v26
	v_lshlrev_b32_e32 v5, 16, v34
	s_mov_b32 s41, exec_lo
                                        ; implicit-def: $vgpr33
	s_delay_alu instid0(VALU_DEP_1) | instskip(NEXT) | instid1(VALU_DEP_1)
	v_mul_f32_e32 v4, v5, v4
	v_and_b32_e32 v5, 0x7f800000, v4
	s_delay_alu instid0(VALU_DEP_1)
	v_cmpx_ne_u32_e32 0x7f800000, v5
	s_xor_b32 s41, exec_lo, s41
; %bb.1154:                             ;   in Loop: Header=BB8_1037 Depth=3
	v_bfe_u32 v5, v4, 16, 1
	s_delay_alu instid0(VALU_DEP_1)
	v_add3_u32 v33, v4, v5, 0x7fff
                                        ; implicit-def: $vgpr4
; %bb.1155:                             ;   in Loop: Header=BB8_1037 Depth=3
	s_and_not1_saveexec_b32 s41, s41
; %bb.1156:                             ;   in Loop: Header=BB8_1037 Depth=3
	v_and_b32_e32 v5, 0xffff, v4
	v_or_b32_e32 v24, 0x10000, v4
	s_delay_alu instid0(VALU_DEP_2) | instskip(NEXT) | instid1(VALU_DEP_2)
	v_cmp_eq_u32_e32 vcc_lo, 0, v5
	v_cndmask_b32_e32 v33, v24, v4, vcc_lo
; %bb.1157:                             ;   in Loop: Header=BB8_1037 Depth=3
	s_or_b32 exec_lo, exec_lo, s41
	v_and_b32_e32 v5, 0xffff0000, v34
	v_and_b32_e32 v4, 0xffff0000, v26
	s_mov_b32 s41, exec_lo
                                        ; implicit-def: $vgpr26
	s_delay_alu instid0(VALU_DEP_2) | instskip(NEXT) | instid1(VALU_DEP_1)
	v_mov_b32_e32 v24, v5
	v_pk_mul_f32 v[24:25], v[24:25], v[4:5]
	s_delay_alu instid0(VALU_DEP_1) | instskip(NEXT) | instid1(VALU_DEP_1)
	v_and_b32_e32 v4, 0x7f800000, v24
	v_cmpx_ne_u32_e32 0x7f800000, v4
	s_xor_b32 s41, exec_lo, s41
; %bb.1158:                             ;   in Loop: Header=BB8_1037 Depth=3
	v_bfe_u32 v4, v24, 16, 1
	s_delay_alu instid0(VALU_DEP_1)
	v_add3_u32 v26, v24, v4, 0x7fff
                                        ; implicit-def: $vgpr24_vgpr25
; %bb.1159:                             ;   in Loop: Header=BB8_1037 Depth=3
	s_and_not1_saveexec_b32 s41, s41
; %bb.1160:                             ;   in Loop: Header=BB8_1037 Depth=3
	v_and_b32_e32 v4, 0xffff, v24
	v_or_b32_e32 v5, 0x10000, v24
	s_delay_alu instid0(VALU_DEP_2) | instskip(NEXT) | instid1(VALU_DEP_2)
	v_cmp_eq_u32_e32 vcc_lo, 0, v4
	v_cndmask_b32_e32 v26, v5, v24, vcc_lo
; %bb.1161:                             ;   in Loop: Header=BB8_1037 Depth=3
	s_or_b32 exec_lo, exec_lo, s41
	v_lshlrev_b32_e32 v4, 16, v27
	v_lshlrev_b32_e32 v5, 16, v35
	s_delay_alu instid0(VALU_DEP_1) | instskip(NEXT) | instid1(VALU_DEP_1)
	v_mul_f32_e32 v5, v5, v4
	v_and_b32_e32 v4, 0x7f800000, v5
	s_delay_alu instid0(VALU_DEP_1) | instskip(SKIP_1) | instid1(SALU_CYCLE_1)
	v_cmp_ne_u32_e32 vcc_lo, 0x7f800000, v4
                                        ; implicit-def: $vgpr4
	s_and_saveexec_b32 s41, vcc_lo
	s_xor_b32 s41, exec_lo, s41
; %bb.1162:                             ;   in Loop: Header=BB8_1037 Depth=3
	v_bfe_u32 v4, v5, 16, 1
	s_delay_alu instid0(VALU_DEP_1)
	v_add3_u32 v4, v5, v4, 0x7fff
                                        ; implicit-def: $vgpr5
; %bb.1163:                             ;   in Loop: Header=BB8_1037 Depth=3
	s_and_not1_saveexec_b32 s41, s41
; %bb.1164:                             ;   in Loop: Header=BB8_1037 Depth=3
	v_and_b32_e32 v4, 0xffff, v5
	v_or_b32_e32 v24, 0x10000, v5
	s_delay_alu instid0(VALU_DEP_2) | instskip(NEXT) | instid1(VALU_DEP_2)
	v_cmp_eq_u32_e32 vcc_lo, 0, v4
	v_cndmask_b32_e32 v4, v24, v5, vcc_lo
; %bb.1165:                             ;   in Loop: Header=BB8_1037 Depth=3
	s_or_b32 exec_lo, exec_lo, s41
	v_and_b32_e32 v25, 0xffff0000, v35
	v_and_b32_e32 v24, 0xffff0000, v27
	s_delay_alu instid0(VALU_DEP_2) | instskip(NEXT) | instid1(VALU_DEP_1)
	v_mov_b32_e32 v34, v25
	v_pk_mul_f32 v[24:25], v[34:35], v[24:25]
	s_delay_alu instid0(VALU_DEP_1) | instskip(NEXT) | instid1(VALU_DEP_1)
	v_and_b32_e32 v5, 0x7f800000, v24
	v_cmp_ne_u32_e32 vcc_lo, 0x7f800000, v5
                                        ; implicit-def: $vgpr5
	s_and_saveexec_b32 s41, vcc_lo
	s_delay_alu instid0(SALU_CYCLE_1)
	s_xor_b32 s41, exec_lo, s41
; %bb.1166:                             ;   in Loop: Header=BB8_1037 Depth=3
	v_bfe_u32 v5, v24, 16, 1
	s_delay_alu instid0(VALU_DEP_1)
	v_add3_u32 v5, v24, v5, 0x7fff
                                        ; implicit-def: $vgpr24_vgpr25
; %bb.1167:                             ;   in Loop: Header=BB8_1037 Depth=3
	s_and_not1_saveexec_b32 s41, s41
; %bb.1168:                             ;   in Loop: Header=BB8_1037 Depth=3
	v_and_b32_e32 v5, 0xffff, v24
	v_or_b32_e32 v25, 0x10000, v24
	s_delay_alu instid0(VALU_DEP_2) | instskip(NEXT) | instid1(VALU_DEP_2)
	v_cmp_eq_u32_e32 vcc_lo, 0, v5
	v_cndmask_b32_e32 v5, v25, v24, vcc_lo
; %bb.1169:                             ;   in Loop: Header=BB8_1037 Depth=3
	s_or_b32 exec_lo, exec_lo, s41
	v_dual_lshrrev_b32 v24, 16, v53 :: v_dual_lshrrev_b32 v25, 16, v52
	v_lshrrev_b32_e32 v27, 16, v108
	v_lshrrev_b32_e32 v4, 16, v4
	s_delay_alu instid0(VALU_DEP_3)
	v_and_or_b32 v35, 0xffff0000, v49, v24
	v_lshrrev_b32_e32 v24, 16, v50
	v_and_or_b32 v34, 0xffff0000, v48, v25
	v_and_or_b32 v36, 0xffff0000, v38, v27
	v_dual_lshrrev_b32 v25, 16, v29 :: v_dual_lshrrev_b32 v27, 16, v51
	v_lshrrev_b32_e32 v29, 16, v33
	v_and_or_b32 v37, 0xffff0000, v39, v24
	s_delay_alu instid0(VALU_DEP_3) | instskip(NEXT) | instid1(VALU_DEP_4)
	v_and_or_b32 v25, 0xffff0000, v32, v25
	v_and_or_b32 v24, 0xffff0000, v28, v27
	s_delay_alu instid0(VALU_DEP_4)
	v_and_or_b32 v26, 0xffff0000, v26, v29
	v_and_or_b32 v27, 0xffff0000, v5, v4
	s_clause 0x1
	global_store_b128 v[94:95], v[34:37], off th:TH_STORE_NT
	global_store_b128 v[94:95], v[24:27], off offset:512 th:TH_STORE_NT
	s_wait_xcnt 0x0
	v_add_nc_u64_e32 v[94:95], 0x400, v[94:95]
	s_clause 0x1
	global_store_b128 v[92:93], v[34:37], off th:TH_STORE_NT
	global_store_b128 v[92:93], v[24:27], off offset:512 th:TH_STORE_NT
	s_wait_xcnt 0x0
	v_add_nc_u64_e32 v[92:93], 0x400, v[92:93]
	s_and_saveexec_b32 s41, s40
	s_cbranch_execz .LBB8_1036
; %bb.1170:                             ;   in Loop: Header=BB8_1037 Depth=3
	v_add_nc_u64_e32 v[94:95], v[94:95], v[102:103]
	s_delay_alu instid0(VALU_DEP_2)
	v_add_nc_u64_e32 v[92:93], v[92:93], v[102:103]
	v_add_nc_u64_e32 v[104:105], v[104:105], v[102:103]
	v_add_nc_u64_e32 v[106:107], v[106:107], v[102:103]
	v_sub_nc_u32_e32 v75, v75, v84
	s_branch .LBB8_1036
.LBB8_1171:                             ;   in Loop: Header=BB8_959 Depth=2
	s_mov_b32 s13, 0
	s_and_saveexec_b32 s14, s2
	s_cbranch_execnz .LBB8_1963
	s_branch .LBB8_1981
.LBB8_1172:                             ;   in Loop: Header=BB8_959 Depth=2
	s_mov_b32 s76, 0
	v_mov_b32_e32 v17, 0
	s_and_not1_b32 vcc_lo, exec_lo, s13
	s_cbranch_vccz .LBB8_1034
.LBB8_1173:                             ;   in Loop: Header=BB8_959 Depth=2
	v_dual_mov_b32 v16, v73 :: v_dual_mov_b32 v18, v0
	v_mov_b32_e32 v8, v124
	s_and_saveexec_b32 s15, s76
	s_cbranch_execnz .LBB8_1362
	s_branch .LBB8_1502
.LBB8_1174:                             ;   in Loop: Header=BB8_959 Depth=2
	s_or_b32 exec_lo, exec_lo, s14
	s_delay_alu instid0(SALU_CYCLE_1)
	s_and_b32 s14, s15, exec_lo
.LBB8_1175:                             ;   in Loop: Header=BB8_959 Depth=2
	s_or_b32 exec_lo, exec_lo, s13
	s_and_saveexec_b32 s13, s14
	s_cbranch_execz .LBB8_1241
; %bb.1176:                             ;   in Loop: Header=BB8_959 Depth=2
	v_lshlrev_b32_e32 v4, 16, v20
	v_lshlrev_b32_e32 v5, 16, v16
	s_mov_b32 s14, exec_lo
                                        ; implicit-def: $vgpr26
	s_delay_alu instid0(VALU_DEP_1) | instskip(NEXT) | instid1(VALU_DEP_1)
	v_mul_f32_e32 v4, v5, v4
	v_and_b32_e32 v5, 0x7f800000, v4
	s_delay_alu instid0(VALU_DEP_1)
	v_cmpx_ne_u32_e32 0x7f800000, v5
	s_xor_b32 s14, exec_lo, s14
; %bb.1177:                             ;   in Loop: Header=BB8_959 Depth=2
	v_bfe_u32 v5, v4, 16, 1
	s_delay_alu instid0(VALU_DEP_1)
	v_add3_u32 v26, v4, v5, 0x7fff
                                        ; implicit-def: $vgpr4
; %bb.1178:                             ;   in Loop: Header=BB8_959 Depth=2
	s_and_not1_saveexec_b32 s14, s14
; %bb.1179:                             ;   in Loop: Header=BB8_959 Depth=2
	v_and_b32_e32 v5, 0xffff, v4
	v_or_b32_e32 v24, 0x10000, v4
	s_delay_alu instid0(VALU_DEP_2) | instskip(NEXT) | instid1(VALU_DEP_2)
	v_cmp_eq_u32_e32 vcc_lo, 0, v5
	v_cndmask_b32_e32 v26, v24, v4, vcc_lo
; %bb.1180:                             ;   in Loop: Header=BB8_959 Depth=2
	s_or_b32 exec_lo, exec_lo, s14
	v_and_b32_e32 v5, 0xffff0000, v20
	v_and_b32_e32 v4, 0xffff0000, v16
	s_mov_b32 s14, exec_lo
                                        ; implicit-def: $vgpr20
	s_delay_alu instid0(VALU_DEP_2) | instskip(NEXT) | instid1(VALU_DEP_1)
	v_mov_b32_e32 v16, v5
	v_pk_mul_f32 v[24:25], v[16:17], v[4:5]
	s_delay_alu instid0(VALU_DEP_1) | instskip(NEXT) | instid1(VALU_DEP_1)
	v_and_b32_e32 v4, 0x7f800000, v24
	v_cmpx_ne_u32_e32 0x7f800000, v4
	s_xor_b32 s14, exec_lo, s14
; %bb.1181:                             ;   in Loop: Header=BB8_959 Depth=2
	v_bfe_u32 v4, v24, 16, 1
	s_delay_alu instid0(VALU_DEP_1)
	v_add3_u32 v20, v24, v4, 0x7fff
                                        ; implicit-def: $vgpr24_vgpr25
; %bb.1182:                             ;   in Loop: Header=BB8_959 Depth=2
	s_and_not1_saveexec_b32 s14, s14
; %bb.1183:                             ;   in Loop: Header=BB8_959 Depth=2
	v_and_b32_e32 v4, 0xffff, v24
	v_or_b32_e32 v5, 0x10000, v24
	s_delay_alu instid0(VALU_DEP_2) | instskip(NEXT) | instid1(VALU_DEP_2)
	v_cmp_eq_u32_e32 vcc_lo, 0, v4
	v_cndmask_b32_e32 v20, v5, v24, vcc_lo
; %bb.1184:                             ;   in Loop: Header=BB8_959 Depth=2
	s_or_b32 exec_lo, exec_lo, s14
	v_lshlrev_b32_e32 v4, 16, v17
	v_lshlrev_b32_e32 v5, 16, v21
	s_mov_b32 s14, exec_lo
                                        ; implicit-def: $vgpr24
	s_delay_alu instid0(VALU_DEP_1) | instskip(NEXT) | instid1(VALU_DEP_1)
	v_mul_f32_e32 v4, v5, v4
	v_and_b32_e32 v5, 0x7f800000, v4
	s_delay_alu instid0(VALU_DEP_1)
	v_cmpx_ne_u32_e32 0x7f800000, v5
	s_xor_b32 s14, exec_lo, s14
; %bb.1185:                             ;   in Loop: Header=BB8_959 Depth=2
	v_bfe_u32 v5, v4, 16, 1
	s_delay_alu instid0(VALU_DEP_1)
	v_add3_u32 v24, v4, v5, 0x7fff
                                        ; implicit-def: $vgpr4
; %bb.1186:                             ;   in Loop: Header=BB8_959 Depth=2
	s_and_not1_saveexec_b32 s14, s14
; %bb.1187:                             ;   in Loop: Header=BB8_959 Depth=2
	v_and_b32_e32 v5, 0xffff, v4
	v_or_b32_e32 v16, 0x10000, v4
	s_delay_alu instid0(VALU_DEP_2) | instskip(NEXT) | instid1(VALU_DEP_2)
	v_cmp_eq_u32_e32 vcc_lo, 0, v5
	v_cndmask_b32_e32 v24, v16, v4, vcc_lo
; %bb.1188:                             ;   in Loop: Header=BB8_959 Depth=2
	s_or_b32 exec_lo, exec_lo, s14
	v_and_b32_e32 v5, 0xffff0000, v21
	v_and_b32_e32 v4, 0xffff0000, v17
	s_mov_b32 s14, exec_lo
                                        ; implicit-def: $vgpr21
	s_delay_alu instid0(VALU_DEP_2) | instskip(NEXT) | instid1(VALU_DEP_1)
	v_mov_b32_e32 v16, v5
	v_pk_mul_f32 v[16:17], v[16:17], v[4:5]
	s_delay_alu instid0(VALU_DEP_1) | instskip(NEXT) | instid1(VALU_DEP_1)
	v_and_b32_e32 v4, 0x7f800000, v16
	v_cmpx_ne_u32_e32 0x7f800000, v4
	s_xor_b32 s14, exec_lo, s14
; %bb.1189:                             ;   in Loop: Header=BB8_959 Depth=2
	v_bfe_u32 v4, v16, 16, 1
	s_delay_alu instid0(VALU_DEP_1)
	v_add3_u32 v21, v16, v4, 0x7fff
                                        ; implicit-def: $vgpr16_vgpr17
; %bb.1190:                             ;   in Loop: Header=BB8_959 Depth=2
	s_and_not1_saveexec_b32 s14, s14
; %bb.1191:                             ;   in Loop: Header=BB8_959 Depth=2
	v_and_b32_e32 v4, 0xffff, v16
	v_or_b32_e32 v5, 0x10000, v16
	s_delay_alu instid0(VALU_DEP_2) | instskip(NEXT) | instid1(VALU_DEP_2)
	v_cmp_eq_u32_e32 vcc_lo, 0, v4
	v_cndmask_b32_e32 v21, v5, v16, vcc_lo
; %bb.1192:                             ;   in Loop: Header=BB8_959 Depth=2
	s_or_b32 exec_lo, exec_lo, s14
	v_lshlrev_b32_e32 v4, 16, v22
	v_lshlrev_b32_e32 v5, 16, v18
	s_mov_b32 s14, exec_lo
                                        ; implicit-def: $vgpr25
	s_delay_alu instid0(VALU_DEP_1) | instskip(NEXT) | instid1(VALU_DEP_1)
	v_mul_f32_e32 v4, v5, v4
	v_and_b32_e32 v5, 0x7f800000, v4
	s_delay_alu instid0(VALU_DEP_1)
	v_cmpx_ne_u32_e32 0x7f800000, v5
	s_xor_b32 s14, exec_lo, s14
; %bb.1193:                             ;   in Loop: Header=BB8_959 Depth=2
	v_bfe_u32 v5, v4, 16, 1
	s_delay_alu instid0(VALU_DEP_1)
	v_add3_u32 v25, v4, v5, 0x7fff
                                        ; implicit-def: $vgpr4
; %bb.1194:                             ;   in Loop: Header=BB8_959 Depth=2
	s_and_not1_saveexec_b32 s14, s14
; %bb.1195:                             ;   in Loop: Header=BB8_959 Depth=2
	v_and_b32_e32 v5, 0xffff, v4
	v_or_b32_e32 v16, 0x10000, v4
	s_delay_alu instid0(VALU_DEP_2) | instskip(NEXT) | instid1(VALU_DEP_2)
	v_cmp_eq_u32_e32 vcc_lo, 0, v5
	v_cndmask_b32_e32 v25, v16, v4, vcc_lo
; %bb.1196:                             ;   in Loop: Header=BB8_959 Depth=2
	s_or_b32 exec_lo, exec_lo, s14
	v_and_b32_e32 v5, 0xffff0000, v22
	v_and_b32_e32 v4, 0xffff0000, v18
	s_mov_b32 s14, exec_lo
                                        ; implicit-def: $vgpr18
	s_delay_alu instid0(VALU_DEP_2) | instskip(NEXT) | instid1(VALU_DEP_1)
	v_mov_b32_e32 v16, v5
	v_pk_mul_f32 v[16:17], v[16:17], v[4:5]
	s_delay_alu instid0(VALU_DEP_1) | instskip(NEXT) | instid1(VALU_DEP_1)
	v_and_b32_e32 v4, 0x7f800000, v16
	v_cmpx_ne_u32_e32 0x7f800000, v4
	s_xor_b32 s14, exec_lo, s14
; %bb.1197:                             ;   in Loop: Header=BB8_959 Depth=2
	v_bfe_u32 v4, v16, 16, 1
	s_delay_alu instid0(VALU_DEP_1)
	v_add3_u32 v18, v16, v4, 0x7fff
                                        ; implicit-def: $vgpr16_vgpr17
; %bb.1198:                             ;   in Loop: Header=BB8_959 Depth=2
	s_and_not1_saveexec_b32 s14, s14
; %bb.1199:                             ;   in Loop: Header=BB8_959 Depth=2
	v_and_b32_e32 v4, 0xffff, v16
	v_or_b32_e32 v5, 0x10000, v16
	s_delay_alu instid0(VALU_DEP_2) | instskip(NEXT) | instid1(VALU_DEP_2)
	v_cmp_eq_u32_e32 vcc_lo, 0, v4
	v_cndmask_b32_e32 v18, v5, v16, vcc_lo
; %bb.1200:                             ;   in Loop: Header=BB8_959 Depth=2
	s_or_b32 exec_lo, exec_lo, s14
	v_lshlrev_b32_e32 v4, 16, v19
	v_lshlrev_b32_e32 v5, 16, v23
	s_mov_b32 s14, exec_lo
                                        ; implicit-def: $vgpr22
	s_delay_alu instid0(VALU_DEP_1) | instskip(NEXT) | instid1(VALU_DEP_1)
	v_mul_f32_e32 v4, v5, v4
	v_and_b32_e32 v5, 0x7f800000, v4
	s_delay_alu instid0(VALU_DEP_1)
	v_cmpx_ne_u32_e32 0x7f800000, v5
	s_xor_b32 s14, exec_lo, s14
; %bb.1201:                             ;   in Loop: Header=BB8_959 Depth=2
	v_bfe_u32 v5, v4, 16, 1
	s_delay_alu instid0(VALU_DEP_1)
	v_add3_u32 v22, v4, v5, 0x7fff
                                        ; implicit-def: $vgpr4
; %bb.1202:                             ;   in Loop: Header=BB8_959 Depth=2
	s_and_not1_saveexec_b32 s14, s14
; %bb.1203:                             ;   in Loop: Header=BB8_959 Depth=2
	v_and_b32_e32 v5, 0xffff, v4
	v_or_b32_e32 v16, 0x10000, v4
	s_delay_alu instid0(VALU_DEP_2) | instskip(NEXT) | instid1(VALU_DEP_2)
	v_cmp_eq_u32_e32 vcc_lo, 0, v5
	v_cndmask_b32_e32 v22, v16, v4, vcc_lo
; %bb.1204:                             ;   in Loop: Header=BB8_959 Depth=2
	s_or_b32 exec_lo, exec_lo, s14
	v_and_b32_e32 v5, 0xffff0000, v23
	v_and_b32_e32 v4, 0xffff0000, v19
	s_mov_b32 s14, exec_lo
                                        ; implicit-def: $vgpr19
	s_delay_alu instid0(VALU_DEP_2) | instskip(NEXT) | instid1(VALU_DEP_1)
	v_mov_b32_e32 v16, v5
	v_pk_mul_f32 v[16:17], v[16:17], v[4:5]
	s_delay_alu instid0(VALU_DEP_1) | instskip(NEXT) | instid1(VALU_DEP_1)
	v_and_b32_e32 v4, 0x7f800000, v16
	v_cmpx_ne_u32_e32 0x7f800000, v4
	s_xor_b32 s14, exec_lo, s14
; %bb.1205:                             ;   in Loop: Header=BB8_959 Depth=2
	v_bfe_u32 v4, v16, 16, 1
	s_delay_alu instid0(VALU_DEP_1)
	v_add3_u32 v19, v16, v4, 0x7fff
                                        ; implicit-def: $vgpr16_vgpr17
; %bb.1206:                             ;   in Loop: Header=BB8_959 Depth=2
	s_and_not1_saveexec_b32 s14, s14
; %bb.1207:                             ;   in Loop: Header=BB8_959 Depth=2
	v_and_b32_e32 v4, 0xffff, v16
	v_or_b32_e32 v5, 0x10000, v16
	s_delay_alu instid0(VALU_DEP_2) | instskip(NEXT) | instid1(VALU_DEP_2)
	v_cmp_eq_u32_e32 vcc_lo, 0, v4
	v_cndmask_b32_e32 v19, v5, v16, vcc_lo
; %bb.1208:                             ;   in Loop: Header=BB8_959 Depth=2
	s_or_b32 exec_lo, exec_lo, s14
	v_lshlrev_b32_e32 v4, 16, v12
	v_lshlrev_b32_e32 v5, 16, v8
	s_mov_b32 s14, exec_lo
                                        ; implicit-def: $vgpr23
	s_delay_alu instid0(VALU_DEP_1) | instskip(NEXT) | instid1(VALU_DEP_1)
	v_mul_f32_e32 v4, v5, v4
	v_and_b32_e32 v5, 0x7f800000, v4
	s_delay_alu instid0(VALU_DEP_1)
	v_cmpx_ne_u32_e32 0x7f800000, v5
	s_xor_b32 s14, exec_lo, s14
; %bb.1209:                             ;   in Loop: Header=BB8_959 Depth=2
	v_bfe_u32 v5, v4, 16, 1
	s_delay_alu instid0(VALU_DEP_1)
	v_add3_u32 v23, v4, v5, 0x7fff
                                        ; implicit-def: $vgpr4
; %bb.1210:                             ;   in Loop: Header=BB8_959 Depth=2
	s_and_not1_saveexec_b32 s14, s14
; %bb.1211:                             ;   in Loop: Header=BB8_959 Depth=2
	v_and_b32_e32 v5, 0xffff, v4
	v_or_b32_e32 v16, 0x10000, v4
	s_delay_alu instid0(VALU_DEP_2) | instskip(NEXT) | instid1(VALU_DEP_2)
	v_cmp_eq_u32_e32 vcc_lo, 0, v5
	v_cndmask_b32_e32 v23, v16, v4, vcc_lo
; %bb.1212:                             ;   in Loop: Header=BB8_959 Depth=2
	s_or_b32 exec_lo, exec_lo, s14
	v_and_b32_e32 v5, 0xffff0000, v12
	v_and_b32_e32 v4, 0xffff0000, v8
	s_mov_b32 s14, exec_lo
                                        ; implicit-def: $vgpr12
	s_delay_alu instid0(VALU_DEP_2) | instskip(NEXT) | instid1(VALU_DEP_1)
	v_mov_b32_e32 v8, v5
	v_pk_mul_f32 v[16:17], v[8:9], v[4:5]
	s_delay_alu instid0(VALU_DEP_1) | instskip(NEXT) | instid1(VALU_DEP_1)
	v_and_b32_e32 v4, 0x7f800000, v16
	v_cmpx_ne_u32_e32 0x7f800000, v4
	s_xor_b32 s14, exec_lo, s14
; %bb.1213:                             ;   in Loop: Header=BB8_959 Depth=2
	v_bfe_u32 v4, v16, 16, 1
	s_delay_alu instid0(VALU_DEP_1)
	v_add3_u32 v12, v16, v4, 0x7fff
                                        ; implicit-def: $vgpr16_vgpr17
; %bb.1214:                             ;   in Loop: Header=BB8_959 Depth=2
	s_and_not1_saveexec_b32 s14, s14
; %bb.1215:                             ;   in Loop: Header=BB8_959 Depth=2
	v_and_b32_e32 v4, 0xffff, v16
	v_or_b32_e32 v5, 0x10000, v16
	s_delay_alu instid0(VALU_DEP_2) | instskip(NEXT) | instid1(VALU_DEP_2)
	v_cmp_eq_u32_e32 vcc_lo, 0, v4
	v_cndmask_b32_e32 v12, v5, v16, vcc_lo
; %bb.1216:                             ;   in Loop: Header=BB8_959 Depth=2
	s_or_b32 exec_lo, exec_lo, s14
	v_lshlrev_b32_e32 v4, 16, v9
	v_lshlrev_b32_e32 v5, 16, v13
	s_mov_b32 s14, exec_lo
                                        ; implicit-def: $vgpr16
	s_delay_alu instid0(VALU_DEP_1) | instskip(NEXT) | instid1(VALU_DEP_1)
	v_mul_f32_e32 v4, v5, v4
	v_and_b32_e32 v5, 0x7f800000, v4
	s_delay_alu instid0(VALU_DEP_1)
	v_cmpx_ne_u32_e32 0x7f800000, v5
	s_xor_b32 s14, exec_lo, s14
; %bb.1217:                             ;   in Loop: Header=BB8_959 Depth=2
	v_bfe_u32 v5, v4, 16, 1
	s_delay_alu instid0(VALU_DEP_1)
	v_add3_u32 v16, v4, v5, 0x7fff
                                        ; implicit-def: $vgpr4
; %bb.1218:                             ;   in Loop: Header=BB8_959 Depth=2
	s_and_not1_saveexec_b32 s14, s14
; %bb.1219:                             ;   in Loop: Header=BB8_959 Depth=2
	v_and_b32_e32 v5, 0xffff, v4
	v_or_b32_e32 v8, 0x10000, v4
	s_delay_alu instid0(VALU_DEP_2) | instskip(NEXT) | instid1(VALU_DEP_2)
	v_cmp_eq_u32_e32 vcc_lo, 0, v5
	v_cndmask_b32_e32 v16, v8, v4, vcc_lo
; %bb.1220:                             ;   in Loop: Header=BB8_959 Depth=2
	s_or_b32 exec_lo, exec_lo, s14
	v_and_b32_e32 v5, 0xffff0000, v13
	v_and_b32_e32 v4, 0xffff0000, v9
	s_mov_b32 s14, exec_lo
                                        ; implicit-def: $vgpr13
	s_delay_alu instid0(VALU_DEP_2) | instskip(NEXT) | instid1(VALU_DEP_1)
	v_mov_b32_e32 v8, v5
	v_pk_mul_f32 v[8:9], v[8:9], v[4:5]
	s_delay_alu instid0(VALU_DEP_1) | instskip(NEXT) | instid1(VALU_DEP_1)
	v_and_b32_e32 v4, 0x7f800000, v8
	v_cmpx_ne_u32_e32 0x7f800000, v4
	s_xor_b32 s14, exec_lo, s14
; %bb.1221:                             ;   in Loop: Header=BB8_959 Depth=2
	v_bfe_u32 v4, v8, 16, 1
	s_delay_alu instid0(VALU_DEP_1)
	v_add3_u32 v13, v8, v4, 0x7fff
                                        ; implicit-def: $vgpr8_vgpr9
; %bb.1222:                             ;   in Loop: Header=BB8_959 Depth=2
	s_and_not1_saveexec_b32 s14, s14
; %bb.1223:                             ;   in Loop: Header=BB8_959 Depth=2
	v_and_b32_e32 v4, 0xffff, v8
	v_or_b32_e32 v5, 0x10000, v8
	s_delay_alu instid0(VALU_DEP_2) | instskip(NEXT) | instid1(VALU_DEP_2)
	v_cmp_eq_u32_e32 vcc_lo, 0, v4
	v_cndmask_b32_e32 v13, v5, v8, vcc_lo
; %bb.1224:                             ;   in Loop: Header=BB8_959 Depth=2
	s_or_b32 exec_lo, exec_lo, s14
	v_lshlrev_b32_e32 v4, 16, v14
	v_lshlrev_b32_e32 v5, 16, v10
	s_mov_b32 s14, exec_lo
                                        ; implicit-def: $vgpr17
	s_delay_alu instid0(VALU_DEP_1) | instskip(NEXT) | instid1(VALU_DEP_1)
	v_mul_f32_e32 v4, v5, v4
	v_and_b32_e32 v5, 0x7f800000, v4
	s_delay_alu instid0(VALU_DEP_1)
	v_cmpx_ne_u32_e32 0x7f800000, v5
	s_xor_b32 s14, exec_lo, s14
; %bb.1225:                             ;   in Loop: Header=BB8_959 Depth=2
	v_bfe_u32 v5, v4, 16, 1
	s_delay_alu instid0(VALU_DEP_1)
	v_add3_u32 v17, v4, v5, 0x7fff
                                        ; implicit-def: $vgpr4
; %bb.1226:                             ;   in Loop: Header=BB8_959 Depth=2
	s_and_not1_saveexec_b32 s14, s14
; %bb.1227:                             ;   in Loop: Header=BB8_959 Depth=2
	v_and_b32_e32 v5, 0xffff, v4
	v_or_b32_e32 v8, 0x10000, v4
	s_delay_alu instid0(VALU_DEP_2) | instskip(NEXT) | instid1(VALU_DEP_2)
	v_cmp_eq_u32_e32 vcc_lo, 0, v5
	v_cndmask_b32_e32 v17, v8, v4, vcc_lo
; %bb.1228:                             ;   in Loop: Header=BB8_959 Depth=2
	s_or_b32 exec_lo, exec_lo, s14
	v_and_b32_e32 v5, 0xffff0000, v14
	v_and_b32_e32 v4, 0xffff0000, v10
	s_mov_b32 s14, exec_lo
                                        ; implicit-def: $vgpr10
	s_delay_alu instid0(VALU_DEP_2) | instskip(NEXT) | instid1(VALU_DEP_1)
	v_mov_b32_e32 v8, v5
	v_pk_mul_f32 v[8:9], v[8:9], v[4:5]
	s_delay_alu instid0(VALU_DEP_1) | instskip(NEXT) | instid1(VALU_DEP_1)
	v_and_b32_e32 v4, 0x7f800000, v8
	v_cmpx_ne_u32_e32 0x7f800000, v4
	s_xor_b32 s14, exec_lo, s14
; %bb.1229:                             ;   in Loop: Header=BB8_959 Depth=2
	v_bfe_u32 v4, v8, 16, 1
	s_delay_alu instid0(VALU_DEP_1)
	v_add3_u32 v10, v8, v4, 0x7fff
                                        ; implicit-def: $vgpr8_vgpr9
; %bb.1230:                             ;   in Loop: Header=BB8_959 Depth=2
	s_and_not1_saveexec_b32 s14, s14
; %bb.1231:                             ;   in Loop: Header=BB8_959 Depth=2
	v_and_b32_e32 v4, 0xffff, v8
	v_or_b32_e32 v5, 0x10000, v8
	s_delay_alu instid0(VALU_DEP_2) | instskip(NEXT) | instid1(VALU_DEP_2)
	v_cmp_eq_u32_e32 vcc_lo, 0, v4
	v_cndmask_b32_e32 v10, v5, v8, vcc_lo
; %bb.1232:                             ;   in Loop: Header=BB8_959 Depth=2
	s_or_b32 exec_lo, exec_lo, s14
	v_lshlrev_b32_e32 v4, 16, v11
	v_lshlrev_b32_e32 v5, 16, v15
	s_delay_alu instid0(VALU_DEP_1) | instskip(NEXT) | instid1(VALU_DEP_1)
	v_mul_f32_e32 v5, v5, v4
	v_and_b32_e32 v4, 0x7f800000, v5
	s_delay_alu instid0(VALU_DEP_1) | instskip(SKIP_1) | instid1(SALU_CYCLE_1)
	v_cmp_ne_u32_e32 vcc_lo, 0x7f800000, v4
                                        ; implicit-def: $vgpr4
	s_and_saveexec_b32 s14, vcc_lo
	s_xor_b32 s14, exec_lo, s14
; %bb.1233:                             ;   in Loop: Header=BB8_959 Depth=2
	v_bfe_u32 v4, v5, 16, 1
	s_delay_alu instid0(VALU_DEP_1)
	v_add3_u32 v4, v5, v4, 0x7fff
                                        ; implicit-def: $vgpr5
; %bb.1234:                             ;   in Loop: Header=BB8_959 Depth=2
	s_and_not1_saveexec_b32 s14, s14
; %bb.1235:                             ;   in Loop: Header=BB8_959 Depth=2
	v_and_b32_e32 v4, 0xffff, v5
	v_or_b32_e32 v8, 0x10000, v5
	s_delay_alu instid0(VALU_DEP_2) | instskip(NEXT) | instid1(VALU_DEP_2)
	v_cmp_eq_u32_e32 vcc_lo, 0, v4
	v_cndmask_b32_e32 v4, v8, v5, vcc_lo
; %bb.1236:                             ;   in Loop: Header=BB8_959 Depth=2
	s_or_b32 exec_lo, exec_lo, s14
	v_and_b32_e32 v9, 0xffff0000, v15
	v_and_b32_e32 v8, 0xffff0000, v11
	s_delay_alu instid0(VALU_DEP_2) | instskip(NEXT) | instid1(VALU_DEP_1)
	v_mov_b32_e32 v14, v9
	v_pk_mul_f32 v[8:9], v[14:15], v[8:9]
	s_delay_alu instid0(VALU_DEP_1) | instskip(NEXT) | instid1(VALU_DEP_1)
	v_and_b32_e32 v5, 0x7f800000, v8
	v_cmp_ne_u32_e32 vcc_lo, 0x7f800000, v5
                                        ; implicit-def: $vgpr5
	s_and_saveexec_b32 s14, vcc_lo
	s_delay_alu instid0(SALU_CYCLE_1)
	s_xor_b32 s14, exec_lo, s14
; %bb.1237:                             ;   in Loop: Header=BB8_959 Depth=2
	v_bfe_u32 v5, v8, 16, 1
	s_delay_alu instid0(VALU_DEP_1)
	v_add3_u32 v5, v8, v5, 0x7fff
                                        ; implicit-def: $vgpr8_vgpr9
; %bb.1238:                             ;   in Loop: Header=BB8_959 Depth=2
	s_and_not1_saveexec_b32 s14, s14
; %bb.1239:                             ;   in Loop: Header=BB8_959 Depth=2
	v_and_b32_e32 v5, 0xffff, v8
	v_or_b32_e32 v9, 0x10000, v8
	s_delay_alu instid0(VALU_DEP_2) | instskip(NEXT) | instid1(VALU_DEP_2)
	v_cmp_eq_u32_e32 vcc_lo, 0, v5
	v_cndmask_b32_e32 v5, v9, v8, vcc_lo
; %bb.1240:                             ;   in Loop: Header=BB8_959 Depth=2
	s_or_b32 exec_lo, exec_lo, s14
	v_dual_lshrrev_b32 v8, 16, v24 :: v_dual_lshrrev_b32 v9, 16, v26
	v_lshrrev_b32_e32 v11, 16, v25
	v_dual_lshrrev_b32 v14, 16, v17 :: v_dual_lshrrev_b32 v4, 16, v4
	s_delay_alu instid0(VALU_DEP_3) | instskip(SKIP_4) | instid1(VALU_DEP_4)
	v_and_or_b32 v25, 0xffff0000, v21, v8
	v_lshrrev_b32_e32 v8, 16, v22
	v_and_or_b32 v24, 0xffff0000, v20, v9
	v_and_or_b32 v26, 0xffff0000, v18, v11
	v_dual_lshrrev_b32 v9, 16, v16 :: v_dual_lshrrev_b32 v11, 16, v23
	v_and_or_b32 v27, 0xffff0000, v19, v8
	v_and_or_b32 v10, 0xffff0000, v10, v14
	s_delay_alu instid0(VALU_DEP_3) | instskip(NEXT) | instid1(VALU_DEP_4)
	v_and_or_b32 v9, 0xffff0000, v13, v9
	v_and_or_b32 v8, 0xffff0000, v12, v11
	;; [unrolled: 1-line block ×3, first 2 shown]
	s_clause 0x1
	global_store_b128 v[94:95], v[24:27], off th:TH_STORE_NT
	global_store_b128 v[94:95], v[8:11], off offset:512 th:TH_STORE_NT
	s_clause 0x1
	global_store_b128 v[92:93], v[24:27], off th:TH_STORE_NT
	global_store_b128 v[92:93], v[8:11], off offset:512 th:TH_STORE_NT
.LBB8_1241:                             ;   in Loop: Header=BB8_959 Depth=2
	s_wait_xcnt 0x0
	s_or_b32 exec_lo, exec_lo, s13
	v_lshlrev_b32_e32 v26, 10, v126
	s_mov_b32 s77, exec_lo
                                        ; implicit-def: $vgpr16
                                        ; implicit-def: $vgpr17
                                        ; implicit-def: $vgpr18
                                        ; implicit-def: $vgpr8
	s_delay_alu instid0(VALU_DEP_1)
	v_cmpx_ne_u32_e64 v73, v26
	s_cbranch_execz .LBB8_1361
; %bb.1242:                             ;   in Loop: Header=BB8_959 Depth=2
	v_lshlrev_b32_e32 v4, 5, v75
	s_mov_b32 s14, 0
	s_mov_b32 s78, exec_lo
	s_delay_alu instid0(VALU_DEP_1) | instskip(NEXT) | instid1(VALU_DEP_1)
	v_dual_sub_nc_u32 v10, v73, v26 :: v_dual_sub_nc_u32 v4, v0, v4
	v_dual_ashrrev_i32 v9, 31, v10 :: v_dual_ashrrev_i32 v5, 31, v4
	s_delay_alu instid0(VALU_DEP_1) | instskip(NEXT) | instid1(VALU_DEP_1)
	v_lshrrev_b32_e32 v5, 27, v5
	v_add_nc_u32_e32 v5, v4, v5
	s_delay_alu instid0(VALU_DEP_1) | instskip(NEXT) | instid1(VALU_DEP_1)
	v_and_b32_e32 v8, 0xffffffe0, v5
	v_dual_sub_nc_u32 v32, v4, v8 :: v_dual_lshrrev_b32 v4, 23, v9
	s_delay_alu instid0(VALU_DEP_1) | instskip(NEXT) | instid1(VALU_DEP_2)
	v_dual_lshlrev_b32 v8, 4, v32 :: v_dual_ashrrev_i32 v5, 5, v5
	v_add_nc_u32_e32 v4, v10, v4
	s_delay_alu instid0(VALU_DEP_2) | instskip(NEXT) | instid1(VALU_DEP_2)
	v_lshl_add_u32 v11, v5, 9, v8
	v_and_b32_e32 v27, 0xfffffe00, v4
	s_delay_alu instid0(VALU_DEP_2) | instskip(NEXT) | instid1(VALU_DEP_2)
	v_dual_ashrrev_i32 v4, 9, v4 :: v_dual_sub_nc_u32 v35, v10, v11
	v_dual_add_nc_u32 v8, v11, v26 :: v_dual_sub_nc_u32 v33, v10, v27
	s_delay_alu instid0(VALU_DEP_1) | instskip(NEXT) | instid1(VALU_DEP_1)
	v_cmp_lt_i32_e64 s13, 15, v33
	v_add_co_ci_u32_e64 v4, null, 0, v4, s13
	s_delay_alu instid0(VALU_DEP_1) | instskip(NEXT) | instid1(VALU_DEP_1)
	v_dual_ashrrev_i32 v9, 31, v8 :: v_dual_sub_nc_u32 v34, v4, v5
	v_add_nc_u64_e32 v[16:17], v[8:9], v[88:89]
	v_add_nc_u64_e32 v[18:19], v[8:9], v[90:91]
	v_cmpx_lt_i32_e32 15, v35
	s_cbranch_execz .LBB8_1323
; %bb.1243:                             ;   in Loop: Header=BB8_959 Depth=2
	s_trap 2
	ds_load_b64 v[4:5], v0
	v_add_nc_u64_e32 v[20:21], v[8:9], v[78:79]
	s_mov_b32 s89, 0
	s_mov_b32 s79, 0
                                        ; implicit-def: $sgpr88
	s_wait_dscnt 0x0
	v_add_nc_u64_e32 v[22:23], v[4:5], v[8:9]
	s_branch .LBB8_1245
.LBB8_1244:                             ;   in Loop: Header=BB8_1245 Depth=3
	s_or_b32 exec_lo, exec_lo, s14
	s_delay_alu instid0(VALU_DEP_1) | instskip(SKIP_3) | instid1(SALU_CYCLE_1)
	v_cmp_gt_i32_e32 vcc_lo, 16, v35
	s_or_b32 s79, vcc_lo, s79
	s_and_not1_b32 s14, s88, exec_lo
	s_and_b32 s15, s89, exec_lo
	s_or_b32 s88, s14, s15
	s_and_not1_b32 exec_lo, exec_lo, s79
	s_cbranch_execz .LBB8_1322
.LBB8_1245:                             ;   Parent Loop BB8_47 Depth=1
                                        ;     Parent Loop BB8_959 Depth=2
                                        ; =>    This Loop Header: Depth=3
                                        ;         Child Loop BB8_1246 Depth 4
                                        ;         Child Loop BB8_1281 Depth 4
	;; [unrolled: 1-line block ×4, first 2 shown]
	s_add_co_i32 s14, s33, 0xc0
	s_mov_b64 s[40:41], 0
	s_mov_b32 s90, s14
	s_mov_b32 s91, -1
.LBB8_1246:                             ;   Parent Loop BB8_47 Depth=1
                                        ;     Parent Loop BB8_959 Depth=2
                                        ;       Parent Loop BB8_1245 Depth=3
                                        ; =>      This Inner Loop Header: Depth=4
	s_cmp_eq_u32 s40, 1
	s_cselect_b32 vcc_lo, -1, 0
	s_cmp_eq_u32 s40, 0
	v_dual_cndmask_b32 v5, v21, v23 :: v_dual_cndmask_b32 v4, v20, v22
	s_cselect_b32 s14, -1, 0
	s_and_b32 s15, exec_lo, s91
	s_mov_b64 s[40:41], 1
	s_mov_b32 s91, 0
	global_load_b128 v[8:11], v[4:5], off th:TH_LOAD_NT
	s_wait_xcnt 0x0
	v_add_nc_u64_e32 v[4:5], 0x200, v[4:5]
	s_delay_alu instid0(VALU_DEP_1)
	v_dual_cndmask_b32 v21, v21, v5, s14 :: v_dual_cndmask_b32 v20, v20, v4, s14
	v_dual_cndmask_b32 v23, v23, v5 :: v_dual_cndmask_b32 v22, v22, v4
	s_mov_b32 vcc_lo, s15
	s_wait_loadcnt 0x0
	scratch_store_b128 off, v[8:11], s90
	s_wait_xcnt 0x0
	s_mov_b32 s90, s58
	s_cbranch_vccnz .LBB8_1246
; %bb.1247:                             ;   in Loop: Header=BB8_1245 Depth=3
	s_and_saveexec_b32 s90, s89
	s_cbranch_execz .LBB8_1283
; %bb.1248:                             ;   in Loop: Header=BB8_1245 Depth=3
	s_clause 0x1
	scratch_load_b128 v[8:11], off, s33 offset:224
	scratch_load_b128 v[12:15], off, s33 offset:240
	s_mov_b32 s14, exec_lo
                                        ; implicit-def: $vgpr36
	s_wait_loadcnt 0x1
	v_lshlrev_b32_e32 v4, 16, v8
	s_wait_loadcnt 0x0
	v_lshlrev_b32_e32 v5, 16, v12
	s_delay_alu instid0(VALU_DEP_1) | instskip(NEXT) | instid1(VALU_DEP_1)
	v_mul_f32_e32 v4, v4, v5
	v_and_b32_e32 v5, 0x7f800000, v4
	s_wait_xcnt 0x0
	s_delay_alu instid0(VALU_DEP_1)
	v_cmpx_ne_u32_e32 0x7f800000, v5
	s_xor_b32 s14, exec_lo, s14
; %bb.1249:                             ;   in Loop: Header=BB8_1245 Depth=3
	v_bfe_u32 v5, v4, 16, 1
	s_delay_alu instid0(VALU_DEP_1)
	v_add3_u32 v36, v4, v5, 0x7fff
                                        ; implicit-def: $vgpr4
; %bb.1250:                             ;   in Loop: Header=BB8_1245 Depth=3
	s_and_not1_saveexec_b32 s14, s14
; %bb.1251:                             ;   in Loop: Header=BB8_1245 Depth=3
	v_and_b32_e32 v5, 0xffff, v4
	v_or_b32_e32 v24, 0x10000, v4
	s_delay_alu instid0(VALU_DEP_2) | instskip(NEXT) | instid1(VALU_DEP_2)
	v_cmp_eq_u32_e32 vcc_lo, 0, v5
	v_cndmask_b32_e32 v36, v24, v4, vcc_lo
; %bb.1252:                             ;   in Loop: Header=BB8_1245 Depth=3
	s_or_b32 exec_lo, exec_lo, s14
	v_and_b32_e32 v5, 0xffff0000, v12
	v_and_b32_e32 v4, 0xffff0000, v8
	s_mov_b32 s14, exec_lo
                                        ; implicit-def: $vgpr12
	s_delay_alu instid0(VALU_DEP_2) | instskip(NEXT) | instid1(VALU_DEP_1)
	v_mov_b32_e32 v8, v5
	v_pk_mul_f32 v[24:25], v[8:9], v[4:5]
	s_delay_alu instid0(VALU_DEP_1) | instskip(NEXT) | instid1(VALU_DEP_1)
	v_and_b32_e32 v4, 0x7f800000, v24
	v_cmpx_ne_u32_e32 0x7f800000, v4
	s_xor_b32 s14, exec_lo, s14
; %bb.1253:                             ;   in Loop: Header=BB8_1245 Depth=3
	v_bfe_u32 v4, v24, 16, 1
	s_delay_alu instid0(VALU_DEP_1)
	v_add3_u32 v12, v24, v4, 0x7fff
                                        ; implicit-def: $vgpr24_vgpr25
; %bb.1254:                             ;   in Loop: Header=BB8_1245 Depth=3
	s_and_not1_saveexec_b32 s14, s14
; %bb.1255:                             ;   in Loop: Header=BB8_1245 Depth=3
	v_and_b32_e32 v4, 0xffff, v24
	v_or_b32_e32 v5, 0x10000, v24
	s_delay_alu instid0(VALU_DEP_2) | instskip(NEXT) | instid1(VALU_DEP_2)
	v_cmp_eq_u32_e32 vcc_lo, 0, v4
	v_cndmask_b32_e32 v12, v5, v24, vcc_lo
; %bb.1256:                             ;   in Loop: Header=BB8_1245 Depth=3
	s_or_b32 exec_lo, exec_lo, s14
	v_lshlrev_b32_e32 v4, 16, v9
	v_lshlrev_b32_e32 v5, 16, v13
	s_mov_b32 s14, exec_lo
                                        ; implicit-def: $vgpr24
	s_delay_alu instid0(VALU_DEP_1) | instskip(NEXT) | instid1(VALU_DEP_1)
	v_mul_f32_e32 v4, v5, v4
	v_and_b32_e32 v5, 0x7f800000, v4
	s_delay_alu instid0(VALU_DEP_1)
	v_cmpx_ne_u32_e32 0x7f800000, v5
	s_xor_b32 s14, exec_lo, s14
; %bb.1257:                             ;   in Loop: Header=BB8_1245 Depth=3
	v_bfe_u32 v5, v4, 16, 1
	s_delay_alu instid0(VALU_DEP_1)
	v_add3_u32 v24, v4, v5, 0x7fff
                                        ; implicit-def: $vgpr4
; %bb.1258:                             ;   in Loop: Header=BB8_1245 Depth=3
	s_and_not1_saveexec_b32 s14, s14
; %bb.1259:                             ;   in Loop: Header=BB8_1245 Depth=3
	v_and_b32_e32 v5, 0xffff, v4
	v_or_b32_e32 v8, 0x10000, v4
	s_delay_alu instid0(VALU_DEP_2) | instskip(NEXT) | instid1(VALU_DEP_2)
	v_cmp_eq_u32_e32 vcc_lo, 0, v5
	v_cndmask_b32_e32 v24, v8, v4, vcc_lo
; %bb.1260:                             ;   in Loop: Header=BB8_1245 Depth=3
	s_or_b32 exec_lo, exec_lo, s14
	v_and_b32_e32 v5, 0xffff0000, v13
	v_and_b32_e32 v4, 0xffff0000, v9
	s_mov_b32 s14, exec_lo
                                        ; implicit-def: $vgpr13
	s_delay_alu instid0(VALU_DEP_2) | instskip(NEXT) | instid1(VALU_DEP_1)
	v_mov_b32_e32 v8, v5
	v_pk_mul_f32 v[8:9], v[8:9], v[4:5]
	s_delay_alu instid0(VALU_DEP_1) | instskip(NEXT) | instid1(VALU_DEP_1)
	v_and_b32_e32 v4, 0x7f800000, v8
	v_cmpx_ne_u32_e32 0x7f800000, v4
	s_xor_b32 s14, exec_lo, s14
; %bb.1261:                             ;   in Loop: Header=BB8_1245 Depth=3
	v_bfe_u32 v4, v8, 16, 1
	s_delay_alu instid0(VALU_DEP_1)
	v_add3_u32 v13, v8, v4, 0x7fff
                                        ; implicit-def: $vgpr8_vgpr9
; %bb.1262:                             ;   in Loop: Header=BB8_1245 Depth=3
	s_and_not1_saveexec_b32 s14, s14
; %bb.1263:                             ;   in Loop: Header=BB8_1245 Depth=3
	v_and_b32_e32 v4, 0xffff, v8
	v_or_b32_e32 v5, 0x10000, v8
	s_delay_alu instid0(VALU_DEP_2) | instskip(NEXT) | instid1(VALU_DEP_2)
	v_cmp_eq_u32_e32 vcc_lo, 0, v4
	v_cndmask_b32_e32 v13, v5, v8, vcc_lo
; %bb.1264:                             ;   in Loop: Header=BB8_1245 Depth=3
	s_or_b32 exec_lo, exec_lo, s14
	v_lshlrev_b32_e32 v4, 16, v10
	v_lshlrev_b32_e32 v5, 16, v14
	s_mov_b32 s14, exec_lo
                                        ; implicit-def: $vgpr25
	s_delay_alu instid0(VALU_DEP_1) | instskip(NEXT) | instid1(VALU_DEP_1)
	v_mul_f32_e32 v4, v5, v4
	v_and_b32_e32 v5, 0x7f800000, v4
	s_delay_alu instid0(VALU_DEP_1)
	v_cmpx_ne_u32_e32 0x7f800000, v5
	s_xor_b32 s14, exec_lo, s14
; %bb.1265:                             ;   in Loop: Header=BB8_1245 Depth=3
	v_bfe_u32 v5, v4, 16, 1
	s_delay_alu instid0(VALU_DEP_1)
	v_add3_u32 v25, v4, v5, 0x7fff
                                        ; implicit-def: $vgpr4
; %bb.1266:                             ;   in Loop: Header=BB8_1245 Depth=3
	s_and_not1_saveexec_b32 s14, s14
; %bb.1267:                             ;   in Loop: Header=BB8_1245 Depth=3
	v_and_b32_e32 v5, 0xffff, v4
	v_or_b32_e32 v8, 0x10000, v4
	s_delay_alu instid0(VALU_DEP_2) | instskip(NEXT) | instid1(VALU_DEP_2)
	v_cmp_eq_u32_e32 vcc_lo, 0, v5
	v_cndmask_b32_e32 v25, v8, v4, vcc_lo
; %bb.1268:                             ;   in Loop: Header=BB8_1245 Depth=3
	s_or_b32 exec_lo, exec_lo, s14
	v_and_b32_e32 v5, 0xffff0000, v14
	v_and_b32_e32 v4, 0xffff0000, v10
	s_mov_b32 s14, exec_lo
                                        ; implicit-def: $vgpr10
	s_delay_alu instid0(VALU_DEP_2) | instskip(NEXT) | instid1(VALU_DEP_1)
	v_mov_b32_e32 v8, v5
	v_pk_mul_f32 v[8:9], v[8:9], v[4:5]
	s_delay_alu instid0(VALU_DEP_1) | instskip(NEXT) | instid1(VALU_DEP_1)
	v_and_b32_e32 v4, 0x7f800000, v8
	v_cmpx_ne_u32_e32 0x7f800000, v4
	s_xor_b32 s14, exec_lo, s14
; %bb.1269:                             ;   in Loop: Header=BB8_1245 Depth=3
	v_bfe_u32 v4, v8, 16, 1
	s_delay_alu instid0(VALU_DEP_1)
	v_add3_u32 v10, v8, v4, 0x7fff
                                        ; implicit-def: $vgpr8_vgpr9
; %bb.1270:                             ;   in Loop: Header=BB8_1245 Depth=3
	s_and_not1_saveexec_b32 s14, s14
; %bb.1271:                             ;   in Loop: Header=BB8_1245 Depth=3
	v_and_b32_e32 v4, 0xffff, v8
	v_or_b32_e32 v5, 0x10000, v8
	s_delay_alu instid0(VALU_DEP_2) | instskip(NEXT) | instid1(VALU_DEP_2)
	v_cmp_eq_u32_e32 vcc_lo, 0, v4
	v_cndmask_b32_e32 v10, v5, v8, vcc_lo
; %bb.1272:                             ;   in Loop: Header=BB8_1245 Depth=3
	s_or_b32 exec_lo, exec_lo, s14
	v_lshlrev_b32_e32 v4, 16, v11
	v_lshlrev_b32_e32 v5, 16, v15
	s_delay_alu instid0(VALU_DEP_1) | instskip(NEXT) | instid1(VALU_DEP_1)
	v_mul_f32_e32 v5, v5, v4
	v_and_b32_e32 v4, 0x7f800000, v5
	s_delay_alu instid0(VALU_DEP_1) | instskip(SKIP_1) | instid1(SALU_CYCLE_1)
	v_cmp_ne_u32_e32 vcc_lo, 0x7f800000, v4
                                        ; implicit-def: $vgpr4
	s_and_saveexec_b32 s14, vcc_lo
	s_xor_b32 s14, exec_lo, s14
; %bb.1273:                             ;   in Loop: Header=BB8_1245 Depth=3
	v_bfe_u32 v4, v5, 16, 1
	s_delay_alu instid0(VALU_DEP_1)
	v_add3_u32 v4, v5, v4, 0x7fff
                                        ; implicit-def: $vgpr5
; %bb.1274:                             ;   in Loop: Header=BB8_1245 Depth=3
	s_and_not1_saveexec_b32 s14, s14
; %bb.1275:                             ;   in Loop: Header=BB8_1245 Depth=3
	v_and_b32_e32 v4, 0xffff, v5
	v_or_b32_e32 v8, 0x10000, v5
	s_delay_alu instid0(VALU_DEP_2) | instskip(NEXT) | instid1(VALU_DEP_2)
	v_cmp_eq_u32_e32 vcc_lo, 0, v4
	v_cndmask_b32_e32 v4, v8, v5, vcc_lo
; %bb.1276:                             ;   in Loop: Header=BB8_1245 Depth=3
	s_or_b32 exec_lo, exec_lo, s14
	v_and_b32_e32 v9, 0xffff0000, v15
	v_and_b32_e32 v8, 0xffff0000, v11
	s_delay_alu instid0(VALU_DEP_2) | instskip(NEXT) | instid1(VALU_DEP_1)
	v_mov_b32_e32 v14, v9
	v_pk_mul_f32 v[8:9], v[14:15], v[8:9]
	s_delay_alu instid0(VALU_DEP_1) | instskip(NEXT) | instid1(VALU_DEP_1)
	v_and_b32_e32 v5, 0x7f800000, v8
	v_cmp_ne_u32_e32 vcc_lo, 0x7f800000, v5
                                        ; implicit-def: $vgpr5
	s_and_saveexec_b32 s14, vcc_lo
	s_delay_alu instid0(SALU_CYCLE_1)
	s_xor_b32 s14, exec_lo, s14
; %bb.1277:                             ;   in Loop: Header=BB8_1245 Depth=3
	v_bfe_u32 v5, v8, 16, 1
	s_delay_alu instid0(VALU_DEP_1)
	v_add3_u32 v5, v8, v5, 0x7fff
                                        ; implicit-def: $vgpr8_vgpr9
; %bb.1278:                             ;   in Loop: Header=BB8_1245 Depth=3
	s_and_not1_saveexec_b32 s14, s14
; %bb.1279:                             ;   in Loop: Header=BB8_1245 Depth=3
	v_and_b32_e32 v5, 0xffff, v8
	v_or_b32_e32 v9, 0x10000, v8
	s_delay_alu instid0(VALU_DEP_2) | instskip(NEXT) | instid1(VALU_DEP_2)
	v_cmp_eq_u32_e32 vcc_lo, 0, v5
	v_cndmask_b32_e32 v5, v9, v8, vcc_lo
; %bb.1280:                             ;   in Loop: Header=BB8_1245 Depth=3
	s_or_b32 exec_lo, exec_lo, s14
	v_dual_lshrrev_b32 v8, 16, v24 :: v_dual_lshrrev_b32 v14, 16, v25
	v_lshrrev_b32_e32 v11, 16, v36
	v_lshrrev_b32_e32 v4, 16, v4
	s_mov_b64 s[40:41], 0
	s_delay_alu instid0(VALU_DEP_3)
	v_and_or_b32 v9, 0xffff0000, v13, v8
	v_and_or_b32 v10, 0xffff0000, v10, v14
	;; [unrolled: 1-line block ×4, first 2 shown]
	s_mov_b32 s89, -1
	scratch_store_b128 off, v[8:11], s33 offset:224
.LBB8_1281:                             ;   Parent Loop BB8_47 Depth=1
                                        ;     Parent Loop BB8_959 Depth=2
                                        ;       Parent Loop BB8_1245 Depth=3
                                        ; =>      This Inner Loop Header: Depth=4
	s_cmp_eq_u32 s40, 1
	s_cselect_b32 vcc_lo, -1, 0
	s_cmp_eq_u32 s40, 0
	s_wait_xcnt 0x0
	v_dual_cndmask_b32 v5, v17, v19 :: v_dual_cndmask_b32 v4, v16, v18
	s_cselect_b32 s14, -1, 0
	s_and_b32 s15, exec_lo, s89
	s_mov_b64 s[40:41], 1
	s_mov_b32 s89, 0
	v_add_nc_u64_e32 v[12:13], 0x200, v[4:5]
	global_store_b128 v[4:5], v[8:11], off th:TH_STORE_NT
	v_dual_cndmask_b32 v19, v19, v13 :: v_dual_cndmask_b32 v18, v18, v12
	v_dual_cndmask_b32 v17, v17, v13, s14 :: v_dual_cndmask_b32 v16, v16, v12, s14
	s_mov_b32 vcc_lo, s15
	s_cbranch_vccnz .LBB8_1281
; %bb.1282:                             ;   in Loop: Header=BB8_1245 Depth=3
	s_delay_alu instid0(VALU_DEP_1)
	v_add_nc_u64_e32 v[16:17], v[16:17], v[112:113]
	v_add_nc_u64_e32 v[18:19], v[18:19], v[112:113]
.LBB8_1283:                             ;   in Loop: Header=BB8_1245 Depth=3
	s_wait_xcnt 0x0
	s_or_b32 exec_lo, exec_lo, s90
	v_sub_nc_u32_e32 v35, v35, v122
	v_add_nc_u64_e32 v[20:21], v[20:21], v[112:113]
	v_add_nc_u64_e32 v[22:23], v[22:23], v[112:113]
	s_delay_alu instid0(VALU_DEP_3)
	v_cmp_lt_i32_e64 s89, 15, v35
	s_and_saveexec_b32 s90, s89
	s_cbranch_execz .LBB8_1286
; %bb.1284:                             ;   in Loop: Header=BB8_1245 Depth=3
	s_add_co_i32 s14, s33, 0xe0
	s_mov_b64 s[40:41], 0
	s_mov_b32 s91, s14
	s_mov_b32 s92, -1
.LBB8_1285:                             ;   Parent Loop BB8_47 Depth=1
                                        ;     Parent Loop BB8_959 Depth=2
                                        ;       Parent Loop BB8_1245 Depth=3
                                        ; =>      This Inner Loop Header: Depth=4
	s_cmp_eq_u32 s40, 1
	s_cselect_b32 vcc_lo, -1, 0
	s_cmp_eq_u32 s40, 0
	v_dual_cndmask_b32 v5, v21, v23 :: v_dual_cndmask_b32 v4, v20, v22
	s_cselect_b32 s14, -1, 0
	s_and_b32 s15, exec_lo, s92
	s_mov_b64 s[40:41], 1
	s_mov_b32 s92, 0
	global_load_b128 v[8:11], v[4:5], off th:TH_LOAD_NT
	s_wait_xcnt 0x0
	v_add_nc_u64_e32 v[4:5], 0x200, v[4:5]
	s_delay_alu instid0(VALU_DEP_1)
	v_dual_cndmask_b32 v21, v21, v5, s14 :: v_dual_cndmask_b32 v20, v20, v4, s14
	v_dual_cndmask_b32 v23, v23, v5 :: v_dual_cndmask_b32 v22, v22, v4
	s_mov_b32 vcc_lo, s15
	s_wait_loadcnt 0x0
	scratch_store_b128 off, v[8:11], s91
	s_wait_xcnt 0x0
	s_mov_b32 s91, s57
	s_cbranch_vccnz .LBB8_1285
.LBB8_1286:                             ;   in Loop: Header=BB8_1245 Depth=3
	s_or_b32 exec_lo, exec_lo, s90
	s_clause 0x1
	scratch_load_b128 v[8:11], off, s33 offset:192
	scratch_load_b128 v[12:15], off, s33 offset:208
	s_mov_b32 s14, exec_lo
                                        ; implicit-def: $vgpr36
	s_wait_loadcnt 0x1
	v_lshlrev_b32_e32 v4, 16, v8
	s_wait_loadcnt 0x0
	v_lshlrev_b32_e32 v5, 16, v12
	s_delay_alu instid0(VALU_DEP_1) | instskip(NEXT) | instid1(VALU_DEP_1)
	v_mul_f32_e32 v4, v4, v5
	v_and_b32_e32 v5, 0x7f800000, v4
	s_wait_xcnt 0x0
	s_delay_alu instid0(VALU_DEP_1)
	v_cmpx_ne_u32_e32 0x7f800000, v5
	s_xor_b32 s14, exec_lo, s14
; %bb.1287:                             ;   in Loop: Header=BB8_1245 Depth=3
	v_bfe_u32 v5, v4, 16, 1
	s_delay_alu instid0(VALU_DEP_1)
	v_add3_u32 v36, v4, v5, 0x7fff
                                        ; implicit-def: $vgpr4
; %bb.1288:                             ;   in Loop: Header=BB8_1245 Depth=3
	s_and_not1_saveexec_b32 s14, s14
; %bb.1289:                             ;   in Loop: Header=BB8_1245 Depth=3
	v_and_b32_e32 v5, 0xffff, v4
	v_or_b32_e32 v24, 0x10000, v4
	s_delay_alu instid0(VALU_DEP_2) | instskip(NEXT) | instid1(VALU_DEP_2)
	v_cmp_eq_u32_e32 vcc_lo, 0, v5
	v_cndmask_b32_e32 v36, v24, v4, vcc_lo
; %bb.1290:                             ;   in Loop: Header=BB8_1245 Depth=3
	s_or_b32 exec_lo, exec_lo, s14
	v_and_b32_e32 v5, 0xffff0000, v12
	v_and_b32_e32 v4, 0xffff0000, v8
	s_mov_b32 s14, exec_lo
                                        ; implicit-def: $vgpr12
	s_delay_alu instid0(VALU_DEP_2) | instskip(NEXT) | instid1(VALU_DEP_1)
	v_mov_b32_e32 v8, v5
	v_pk_mul_f32 v[24:25], v[8:9], v[4:5]
	s_delay_alu instid0(VALU_DEP_1) | instskip(NEXT) | instid1(VALU_DEP_1)
	v_and_b32_e32 v4, 0x7f800000, v24
	v_cmpx_ne_u32_e32 0x7f800000, v4
	s_xor_b32 s14, exec_lo, s14
; %bb.1291:                             ;   in Loop: Header=BB8_1245 Depth=3
	v_bfe_u32 v4, v24, 16, 1
	s_delay_alu instid0(VALU_DEP_1)
	v_add3_u32 v12, v24, v4, 0x7fff
                                        ; implicit-def: $vgpr24_vgpr25
; %bb.1292:                             ;   in Loop: Header=BB8_1245 Depth=3
	s_and_not1_saveexec_b32 s14, s14
; %bb.1293:                             ;   in Loop: Header=BB8_1245 Depth=3
	v_and_b32_e32 v4, 0xffff, v24
	v_or_b32_e32 v5, 0x10000, v24
	s_delay_alu instid0(VALU_DEP_2) | instskip(NEXT) | instid1(VALU_DEP_2)
	v_cmp_eq_u32_e32 vcc_lo, 0, v4
	v_cndmask_b32_e32 v12, v5, v24, vcc_lo
; %bb.1294:                             ;   in Loop: Header=BB8_1245 Depth=3
	s_or_b32 exec_lo, exec_lo, s14
	v_lshlrev_b32_e32 v4, 16, v9
	v_lshlrev_b32_e32 v5, 16, v13
	s_mov_b32 s14, exec_lo
                                        ; implicit-def: $vgpr24
	s_delay_alu instid0(VALU_DEP_1) | instskip(NEXT) | instid1(VALU_DEP_1)
	v_mul_f32_e32 v4, v5, v4
	v_and_b32_e32 v5, 0x7f800000, v4
	s_delay_alu instid0(VALU_DEP_1)
	v_cmpx_ne_u32_e32 0x7f800000, v5
	s_xor_b32 s14, exec_lo, s14
; %bb.1295:                             ;   in Loop: Header=BB8_1245 Depth=3
	v_bfe_u32 v5, v4, 16, 1
	s_delay_alu instid0(VALU_DEP_1)
	v_add3_u32 v24, v4, v5, 0x7fff
                                        ; implicit-def: $vgpr4
; %bb.1296:                             ;   in Loop: Header=BB8_1245 Depth=3
	s_and_not1_saveexec_b32 s14, s14
; %bb.1297:                             ;   in Loop: Header=BB8_1245 Depth=3
	v_and_b32_e32 v5, 0xffff, v4
	v_or_b32_e32 v8, 0x10000, v4
	s_delay_alu instid0(VALU_DEP_2) | instskip(NEXT) | instid1(VALU_DEP_2)
	v_cmp_eq_u32_e32 vcc_lo, 0, v5
	v_cndmask_b32_e32 v24, v8, v4, vcc_lo
; %bb.1298:                             ;   in Loop: Header=BB8_1245 Depth=3
	s_or_b32 exec_lo, exec_lo, s14
	v_and_b32_e32 v5, 0xffff0000, v13
	v_and_b32_e32 v4, 0xffff0000, v9
	s_mov_b32 s14, exec_lo
                                        ; implicit-def: $vgpr13
	s_delay_alu instid0(VALU_DEP_2) | instskip(NEXT) | instid1(VALU_DEP_1)
	v_mov_b32_e32 v8, v5
	v_pk_mul_f32 v[8:9], v[8:9], v[4:5]
	s_delay_alu instid0(VALU_DEP_1) | instskip(NEXT) | instid1(VALU_DEP_1)
	v_and_b32_e32 v4, 0x7f800000, v8
	v_cmpx_ne_u32_e32 0x7f800000, v4
	s_xor_b32 s14, exec_lo, s14
; %bb.1299:                             ;   in Loop: Header=BB8_1245 Depth=3
	v_bfe_u32 v4, v8, 16, 1
	s_delay_alu instid0(VALU_DEP_1)
	v_add3_u32 v13, v8, v4, 0x7fff
                                        ; implicit-def: $vgpr8_vgpr9
; %bb.1300:                             ;   in Loop: Header=BB8_1245 Depth=3
	s_and_not1_saveexec_b32 s14, s14
; %bb.1301:                             ;   in Loop: Header=BB8_1245 Depth=3
	v_and_b32_e32 v4, 0xffff, v8
	v_or_b32_e32 v5, 0x10000, v8
	s_delay_alu instid0(VALU_DEP_2) | instskip(NEXT) | instid1(VALU_DEP_2)
	v_cmp_eq_u32_e32 vcc_lo, 0, v4
	v_cndmask_b32_e32 v13, v5, v8, vcc_lo
; %bb.1302:                             ;   in Loop: Header=BB8_1245 Depth=3
	s_or_b32 exec_lo, exec_lo, s14
	v_lshlrev_b32_e32 v4, 16, v10
	v_lshlrev_b32_e32 v5, 16, v14
	s_mov_b32 s14, exec_lo
                                        ; implicit-def: $vgpr25
	s_delay_alu instid0(VALU_DEP_1) | instskip(NEXT) | instid1(VALU_DEP_1)
	v_mul_f32_e32 v4, v5, v4
	v_and_b32_e32 v5, 0x7f800000, v4
	s_delay_alu instid0(VALU_DEP_1)
	v_cmpx_ne_u32_e32 0x7f800000, v5
	s_xor_b32 s14, exec_lo, s14
; %bb.1303:                             ;   in Loop: Header=BB8_1245 Depth=3
	v_bfe_u32 v5, v4, 16, 1
	s_delay_alu instid0(VALU_DEP_1)
	v_add3_u32 v25, v4, v5, 0x7fff
                                        ; implicit-def: $vgpr4
; %bb.1304:                             ;   in Loop: Header=BB8_1245 Depth=3
	s_and_not1_saveexec_b32 s14, s14
; %bb.1305:                             ;   in Loop: Header=BB8_1245 Depth=3
	v_and_b32_e32 v5, 0xffff, v4
	v_or_b32_e32 v8, 0x10000, v4
	s_delay_alu instid0(VALU_DEP_2) | instskip(NEXT) | instid1(VALU_DEP_2)
	v_cmp_eq_u32_e32 vcc_lo, 0, v5
	v_cndmask_b32_e32 v25, v8, v4, vcc_lo
; %bb.1306:                             ;   in Loop: Header=BB8_1245 Depth=3
	s_or_b32 exec_lo, exec_lo, s14
	v_and_b32_e32 v5, 0xffff0000, v14
	v_and_b32_e32 v4, 0xffff0000, v10
	s_mov_b32 s14, exec_lo
                                        ; implicit-def: $vgpr10
	s_delay_alu instid0(VALU_DEP_2) | instskip(NEXT) | instid1(VALU_DEP_1)
	v_mov_b32_e32 v8, v5
	v_pk_mul_f32 v[8:9], v[8:9], v[4:5]
	s_delay_alu instid0(VALU_DEP_1) | instskip(NEXT) | instid1(VALU_DEP_1)
	v_and_b32_e32 v4, 0x7f800000, v8
	v_cmpx_ne_u32_e32 0x7f800000, v4
	s_xor_b32 s14, exec_lo, s14
; %bb.1307:                             ;   in Loop: Header=BB8_1245 Depth=3
	v_bfe_u32 v4, v8, 16, 1
	s_delay_alu instid0(VALU_DEP_1)
	v_add3_u32 v10, v8, v4, 0x7fff
                                        ; implicit-def: $vgpr8_vgpr9
; %bb.1308:                             ;   in Loop: Header=BB8_1245 Depth=3
	s_and_not1_saveexec_b32 s14, s14
; %bb.1309:                             ;   in Loop: Header=BB8_1245 Depth=3
	v_and_b32_e32 v4, 0xffff, v8
	v_or_b32_e32 v5, 0x10000, v8
	s_delay_alu instid0(VALU_DEP_2) | instskip(NEXT) | instid1(VALU_DEP_2)
	v_cmp_eq_u32_e32 vcc_lo, 0, v4
	v_cndmask_b32_e32 v10, v5, v8, vcc_lo
; %bb.1310:                             ;   in Loop: Header=BB8_1245 Depth=3
	s_or_b32 exec_lo, exec_lo, s14
	v_lshlrev_b32_e32 v4, 16, v11
	v_lshlrev_b32_e32 v5, 16, v15
	s_delay_alu instid0(VALU_DEP_1) | instskip(NEXT) | instid1(VALU_DEP_1)
	v_mul_f32_e32 v5, v5, v4
	v_and_b32_e32 v4, 0x7f800000, v5
	s_delay_alu instid0(VALU_DEP_1) | instskip(SKIP_1) | instid1(SALU_CYCLE_1)
	v_cmp_ne_u32_e32 vcc_lo, 0x7f800000, v4
                                        ; implicit-def: $vgpr4
	s_and_saveexec_b32 s14, vcc_lo
	s_xor_b32 s14, exec_lo, s14
; %bb.1311:                             ;   in Loop: Header=BB8_1245 Depth=3
	v_bfe_u32 v4, v5, 16, 1
	s_delay_alu instid0(VALU_DEP_1)
	v_add3_u32 v4, v5, v4, 0x7fff
                                        ; implicit-def: $vgpr5
; %bb.1312:                             ;   in Loop: Header=BB8_1245 Depth=3
	s_and_not1_saveexec_b32 s14, s14
; %bb.1313:                             ;   in Loop: Header=BB8_1245 Depth=3
	v_and_b32_e32 v4, 0xffff, v5
	v_or_b32_e32 v8, 0x10000, v5
	s_delay_alu instid0(VALU_DEP_2) | instskip(NEXT) | instid1(VALU_DEP_2)
	v_cmp_eq_u32_e32 vcc_lo, 0, v4
	v_cndmask_b32_e32 v4, v8, v5, vcc_lo
; %bb.1314:                             ;   in Loop: Header=BB8_1245 Depth=3
	s_or_b32 exec_lo, exec_lo, s14
	v_and_b32_e32 v9, 0xffff0000, v15
	v_and_b32_e32 v8, 0xffff0000, v11
	s_delay_alu instid0(VALU_DEP_2) | instskip(NEXT) | instid1(VALU_DEP_1)
	v_mov_b32_e32 v14, v9
	v_pk_mul_f32 v[8:9], v[14:15], v[8:9]
	s_delay_alu instid0(VALU_DEP_1) | instskip(NEXT) | instid1(VALU_DEP_1)
	v_and_b32_e32 v5, 0x7f800000, v8
	v_cmp_ne_u32_e32 vcc_lo, 0x7f800000, v5
                                        ; implicit-def: $vgpr5
	s_and_saveexec_b32 s14, vcc_lo
	s_delay_alu instid0(SALU_CYCLE_1)
	s_xor_b32 s14, exec_lo, s14
; %bb.1315:                             ;   in Loop: Header=BB8_1245 Depth=3
	v_bfe_u32 v5, v8, 16, 1
	s_delay_alu instid0(VALU_DEP_1)
	v_add3_u32 v5, v8, v5, 0x7fff
                                        ; implicit-def: $vgpr8_vgpr9
; %bb.1316:                             ;   in Loop: Header=BB8_1245 Depth=3
	s_and_not1_saveexec_b32 s14, s14
; %bb.1317:                             ;   in Loop: Header=BB8_1245 Depth=3
	v_and_b32_e32 v5, 0xffff, v8
	v_or_b32_e32 v9, 0x10000, v8
	s_delay_alu instid0(VALU_DEP_2) | instskip(NEXT) | instid1(VALU_DEP_2)
	v_cmp_eq_u32_e32 vcc_lo, 0, v5
	v_cndmask_b32_e32 v5, v9, v8, vcc_lo
; %bb.1318:                             ;   in Loop: Header=BB8_1245 Depth=3
	s_or_b32 exec_lo, exec_lo, s14
	v_dual_lshrrev_b32 v8, 16, v24 :: v_dual_lshrrev_b32 v14, 16, v25
	v_lshrrev_b32_e32 v11, 16, v36
	v_lshrrev_b32_e32 v4, 16, v4
	s_mov_b64 s[40:41], 0
	s_delay_alu instid0(VALU_DEP_3)
	v_and_or_b32 v9, 0xffff0000, v13, v8
	v_and_or_b32 v10, 0xffff0000, v10, v14
	;; [unrolled: 1-line block ×4, first 2 shown]
	s_mov_b32 s90, -1
	scratch_store_b128 off, v[8:11], s33 offset:192
.LBB8_1319:                             ;   Parent Loop BB8_47 Depth=1
                                        ;     Parent Loop BB8_959 Depth=2
                                        ;       Parent Loop BB8_1245 Depth=3
                                        ; =>      This Inner Loop Header: Depth=4
	s_cmp_eq_u32 s40, 1
	s_cselect_b32 vcc_lo, -1, 0
	s_cmp_eq_u32 s40, 0
	s_wait_xcnt 0x0
	v_dual_cndmask_b32 v5, v17, v19 :: v_dual_cndmask_b32 v4, v16, v18
	s_cselect_b32 s14, -1, 0
	s_and_b32 s15, exec_lo, s90
	s_mov_b64 s[40:41], 1
	s_mov_b32 s90, 0
	v_add_nc_u64_e32 v[12:13], 0x200, v[4:5]
	global_store_b128 v[4:5], v[8:11], off th:TH_STORE_NT
	v_dual_cndmask_b32 v19, v19, v13 :: v_dual_cndmask_b32 v18, v18, v12
	v_dual_cndmask_b32 v17, v17, v13, s14 :: v_dual_cndmask_b32 v16, v16, v12, s14
	s_mov_b32 vcc_lo, s15
	s_cbranch_vccnz .LBB8_1319
; %bb.1320:                             ;   in Loop: Header=BB8_1245 Depth=3
	v_sub_nc_u32_e32 v34, v34, v84
	s_wait_xcnt 0x0
	s_and_saveexec_b32 s14, s89
	s_cbranch_execz .LBB8_1244
; %bb.1321:                             ;   in Loop: Header=BB8_1245 Depth=3
	v_add_nc_u64_e32 v[16:17], v[16:17], v[112:113]
	v_add_nc_u64_e32 v[18:19], v[18:19], v[112:113]
	;; [unrolled: 1-line block ×4, first 2 shown]
	v_dual_sub_nc_u32 v35, v35, v122 :: v_dual_sub_nc_u32 v34, v34, v84
	s_branch .LBB8_1244
.LBB8_1322:                             ;   in Loop: Header=BB8_959 Depth=2
	s_or_b32 exec_lo, exec_lo, s79
	s_delay_alu instid0(SALU_CYCLE_1)
	s_and_b32 s14, s88, exec_lo
.LBB8_1323:                             ;   in Loop: Header=BB8_959 Depth=2
	s_or_b32 exec_lo, exec_lo, s78
	s_and_saveexec_b32 s78, s14
	s_cbranch_execz .LBB8_1358
; %bb.1324:                             ;   in Loop: Header=BB8_959 Depth=2
	s_clause 0x1
	scratch_load_b128 v[8:11], off, s33 offset:224
	scratch_load_b128 v[12:15], off, s33 offset:240
	s_mov_b32 s14, exec_lo
                                        ; implicit-def: $vgpr22
	s_wait_loadcnt 0x1
	v_lshlrev_b32_e32 v4, 16, v8
	s_wait_loadcnt 0x0
	v_lshlrev_b32_e32 v5, 16, v12
	s_delay_alu instid0(VALU_DEP_1) | instskip(NEXT) | instid1(VALU_DEP_1)
	v_mul_f32_e32 v4, v4, v5
	v_and_b32_e32 v5, 0x7f800000, v4
	s_wait_xcnt 0x0
	s_delay_alu instid0(VALU_DEP_1)
	v_cmpx_ne_u32_e32 0x7f800000, v5
	s_xor_b32 s14, exec_lo, s14
; %bb.1325:                             ;   in Loop: Header=BB8_959 Depth=2
	v_bfe_u32 v5, v4, 16, 1
	s_delay_alu instid0(VALU_DEP_1)
	v_add3_u32 v22, v4, v5, 0x7fff
                                        ; implicit-def: $vgpr4
; %bb.1326:                             ;   in Loop: Header=BB8_959 Depth=2
	s_and_not1_saveexec_b32 s14, s14
; %bb.1327:                             ;   in Loop: Header=BB8_959 Depth=2
	v_and_b32_e32 v5, 0xffff, v4
	v_or_b32_e32 v20, 0x10000, v4
	s_delay_alu instid0(VALU_DEP_2) | instskip(NEXT) | instid1(VALU_DEP_2)
	v_cmp_eq_u32_e32 vcc_lo, 0, v5
	v_cndmask_b32_e32 v22, v20, v4, vcc_lo
; %bb.1328:                             ;   in Loop: Header=BB8_959 Depth=2
	s_or_b32 exec_lo, exec_lo, s14
	v_and_b32_e32 v5, 0xffff0000, v12
	v_and_b32_e32 v4, 0xffff0000, v8
	s_mov_b32 s14, exec_lo
                                        ; implicit-def: $vgpr12
	s_delay_alu instid0(VALU_DEP_2) | instskip(NEXT) | instid1(VALU_DEP_1)
	v_mov_b32_e32 v8, v5
	v_pk_mul_f32 v[20:21], v[8:9], v[4:5]
	s_delay_alu instid0(VALU_DEP_1) | instskip(NEXT) | instid1(VALU_DEP_1)
	v_and_b32_e32 v4, 0x7f800000, v20
	v_cmpx_ne_u32_e32 0x7f800000, v4
	s_xor_b32 s14, exec_lo, s14
; %bb.1329:                             ;   in Loop: Header=BB8_959 Depth=2
	v_bfe_u32 v4, v20, 16, 1
	s_delay_alu instid0(VALU_DEP_1)
	v_add3_u32 v12, v20, v4, 0x7fff
                                        ; implicit-def: $vgpr20_vgpr21
; %bb.1330:                             ;   in Loop: Header=BB8_959 Depth=2
	s_and_not1_saveexec_b32 s14, s14
; %bb.1331:                             ;   in Loop: Header=BB8_959 Depth=2
	v_and_b32_e32 v4, 0xffff, v20
	v_or_b32_e32 v5, 0x10000, v20
	s_delay_alu instid0(VALU_DEP_2) | instskip(NEXT) | instid1(VALU_DEP_2)
	v_cmp_eq_u32_e32 vcc_lo, 0, v4
	v_cndmask_b32_e32 v12, v5, v20, vcc_lo
; %bb.1332:                             ;   in Loop: Header=BB8_959 Depth=2
	s_or_b32 exec_lo, exec_lo, s14
	v_lshlrev_b32_e32 v4, 16, v9
	v_lshlrev_b32_e32 v5, 16, v13
	s_mov_b32 s14, exec_lo
                                        ; implicit-def: $vgpr20
	s_delay_alu instid0(VALU_DEP_1) | instskip(NEXT) | instid1(VALU_DEP_1)
	v_mul_f32_e32 v4, v5, v4
	v_and_b32_e32 v5, 0x7f800000, v4
	s_delay_alu instid0(VALU_DEP_1)
	v_cmpx_ne_u32_e32 0x7f800000, v5
	s_xor_b32 s14, exec_lo, s14
; %bb.1333:                             ;   in Loop: Header=BB8_959 Depth=2
	v_bfe_u32 v5, v4, 16, 1
	s_delay_alu instid0(VALU_DEP_1)
	v_add3_u32 v20, v4, v5, 0x7fff
                                        ; implicit-def: $vgpr4
; %bb.1334:                             ;   in Loop: Header=BB8_959 Depth=2
	s_and_not1_saveexec_b32 s14, s14
; %bb.1335:                             ;   in Loop: Header=BB8_959 Depth=2
	v_and_b32_e32 v5, 0xffff, v4
	v_or_b32_e32 v8, 0x10000, v4
	s_delay_alu instid0(VALU_DEP_2) | instskip(NEXT) | instid1(VALU_DEP_2)
	v_cmp_eq_u32_e32 vcc_lo, 0, v5
	v_cndmask_b32_e32 v20, v8, v4, vcc_lo
; %bb.1336:                             ;   in Loop: Header=BB8_959 Depth=2
	s_or_b32 exec_lo, exec_lo, s14
	v_and_b32_e32 v5, 0xffff0000, v13
	v_and_b32_e32 v4, 0xffff0000, v9
	s_mov_b32 s14, exec_lo
                                        ; implicit-def: $vgpr13
	s_delay_alu instid0(VALU_DEP_2) | instskip(NEXT) | instid1(VALU_DEP_1)
	v_mov_b32_e32 v8, v5
	v_pk_mul_f32 v[8:9], v[8:9], v[4:5]
	s_delay_alu instid0(VALU_DEP_1) | instskip(NEXT) | instid1(VALU_DEP_1)
	v_and_b32_e32 v4, 0x7f800000, v8
	v_cmpx_ne_u32_e32 0x7f800000, v4
	s_xor_b32 s14, exec_lo, s14
; %bb.1337:                             ;   in Loop: Header=BB8_959 Depth=2
	v_bfe_u32 v4, v8, 16, 1
	s_delay_alu instid0(VALU_DEP_1)
	v_add3_u32 v13, v8, v4, 0x7fff
                                        ; implicit-def: $vgpr8_vgpr9
; %bb.1338:                             ;   in Loop: Header=BB8_959 Depth=2
	s_and_not1_saveexec_b32 s14, s14
; %bb.1339:                             ;   in Loop: Header=BB8_959 Depth=2
	v_and_b32_e32 v4, 0xffff, v8
	v_or_b32_e32 v5, 0x10000, v8
	s_delay_alu instid0(VALU_DEP_2) | instskip(NEXT) | instid1(VALU_DEP_2)
	v_cmp_eq_u32_e32 vcc_lo, 0, v4
	v_cndmask_b32_e32 v13, v5, v8, vcc_lo
; %bb.1340:                             ;   in Loop: Header=BB8_959 Depth=2
	s_or_b32 exec_lo, exec_lo, s14
	v_lshlrev_b32_e32 v4, 16, v10
	v_lshlrev_b32_e32 v5, 16, v14
	s_mov_b32 s14, exec_lo
                                        ; implicit-def: $vgpr21
	s_delay_alu instid0(VALU_DEP_1) | instskip(NEXT) | instid1(VALU_DEP_1)
	v_mul_f32_e32 v4, v5, v4
	v_and_b32_e32 v5, 0x7f800000, v4
	s_delay_alu instid0(VALU_DEP_1)
	v_cmpx_ne_u32_e32 0x7f800000, v5
	s_xor_b32 s14, exec_lo, s14
; %bb.1341:                             ;   in Loop: Header=BB8_959 Depth=2
	v_bfe_u32 v5, v4, 16, 1
	s_delay_alu instid0(VALU_DEP_1)
	v_add3_u32 v21, v4, v5, 0x7fff
                                        ; implicit-def: $vgpr4
; %bb.1342:                             ;   in Loop: Header=BB8_959 Depth=2
	s_and_not1_saveexec_b32 s14, s14
; %bb.1343:                             ;   in Loop: Header=BB8_959 Depth=2
	v_and_b32_e32 v5, 0xffff, v4
	v_or_b32_e32 v8, 0x10000, v4
	s_delay_alu instid0(VALU_DEP_2) | instskip(NEXT) | instid1(VALU_DEP_2)
	v_cmp_eq_u32_e32 vcc_lo, 0, v5
	v_cndmask_b32_e32 v21, v8, v4, vcc_lo
; %bb.1344:                             ;   in Loop: Header=BB8_959 Depth=2
	s_or_b32 exec_lo, exec_lo, s14
	v_and_b32_e32 v5, 0xffff0000, v14
	v_and_b32_e32 v4, 0xffff0000, v10
	s_mov_b32 s14, exec_lo
                                        ; implicit-def: $vgpr10
	s_delay_alu instid0(VALU_DEP_2) | instskip(NEXT) | instid1(VALU_DEP_1)
	v_mov_b32_e32 v8, v5
	v_pk_mul_f32 v[8:9], v[8:9], v[4:5]
	s_delay_alu instid0(VALU_DEP_1) | instskip(NEXT) | instid1(VALU_DEP_1)
	v_and_b32_e32 v4, 0x7f800000, v8
	v_cmpx_ne_u32_e32 0x7f800000, v4
	s_xor_b32 s14, exec_lo, s14
; %bb.1345:                             ;   in Loop: Header=BB8_959 Depth=2
	v_bfe_u32 v4, v8, 16, 1
	s_delay_alu instid0(VALU_DEP_1)
	v_add3_u32 v10, v8, v4, 0x7fff
                                        ; implicit-def: $vgpr8_vgpr9
; %bb.1346:                             ;   in Loop: Header=BB8_959 Depth=2
	s_and_not1_saveexec_b32 s14, s14
; %bb.1347:                             ;   in Loop: Header=BB8_959 Depth=2
	v_and_b32_e32 v4, 0xffff, v8
	v_or_b32_e32 v5, 0x10000, v8
	s_delay_alu instid0(VALU_DEP_2) | instskip(NEXT) | instid1(VALU_DEP_2)
	v_cmp_eq_u32_e32 vcc_lo, 0, v4
	v_cndmask_b32_e32 v10, v5, v8, vcc_lo
; %bb.1348:                             ;   in Loop: Header=BB8_959 Depth=2
	s_or_b32 exec_lo, exec_lo, s14
	v_lshlrev_b32_e32 v4, 16, v11
	v_lshlrev_b32_e32 v5, 16, v15
	s_delay_alu instid0(VALU_DEP_1) | instskip(NEXT) | instid1(VALU_DEP_1)
	v_mul_f32_e32 v5, v5, v4
	v_and_b32_e32 v4, 0x7f800000, v5
	s_delay_alu instid0(VALU_DEP_1) | instskip(SKIP_1) | instid1(SALU_CYCLE_1)
	v_cmp_ne_u32_e32 vcc_lo, 0x7f800000, v4
                                        ; implicit-def: $vgpr4
	s_and_saveexec_b32 s14, vcc_lo
	s_xor_b32 s14, exec_lo, s14
; %bb.1349:                             ;   in Loop: Header=BB8_959 Depth=2
	v_bfe_u32 v4, v5, 16, 1
	s_delay_alu instid0(VALU_DEP_1)
	v_add3_u32 v4, v5, v4, 0x7fff
                                        ; implicit-def: $vgpr5
; %bb.1350:                             ;   in Loop: Header=BB8_959 Depth=2
	s_and_not1_saveexec_b32 s14, s14
; %bb.1351:                             ;   in Loop: Header=BB8_959 Depth=2
	v_and_b32_e32 v4, 0xffff, v5
	v_or_b32_e32 v8, 0x10000, v5
	s_delay_alu instid0(VALU_DEP_2) | instskip(NEXT) | instid1(VALU_DEP_2)
	v_cmp_eq_u32_e32 vcc_lo, 0, v4
	v_cndmask_b32_e32 v4, v8, v5, vcc_lo
; %bb.1352:                             ;   in Loop: Header=BB8_959 Depth=2
	s_or_b32 exec_lo, exec_lo, s14
	v_and_b32_e32 v9, 0xffff0000, v15
	v_and_b32_e32 v8, 0xffff0000, v11
	s_delay_alu instid0(VALU_DEP_2) | instskip(NEXT) | instid1(VALU_DEP_1)
	v_mov_b32_e32 v14, v9
	v_pk_mul_f32 v[8:9], v[14:15], v[8:9]
	s_delay_alu instid0(VALU_DEP_1) | instskip(NEXT) | instid1(VALU_DEP_1)
	v_and_b32_e32 v5, 0x7f800000, v8
	v_cmp_ne_u32_e32 vcc_lo, 0x7f800000, v5
                                        ; implicit-def: $vgpr5
	s_and_saveexec_b32 s14, vcc_lo
	s_delay_alu instid0(SALU_CYCLE_1)
	s_xor_b32 s14, exec_lo, s14
; %bb.1353:                             ;   in Loop: Header=BB8_959 Depth=2
	v_bfe_u32 v5, v8, 16, 1
	s_delay_alu instid0(VALU_DEP_1)
	v_add3_u32 v5, v8, v5, 0x7fff
                                        ; implicit-def: $vgpr8_vgpr9
; %bb.1354:                             ;   in Loop: Header=BB8_959 Depth=2
	s_and_not1_saveexec_b32 s14, s14
; %bb.1355:                             ;   in Loop: Header=BB8_959 Depth=2
	v_and_b32_e32 v5, 0xffff, v8
	v_or_b32_e32 v9, 0x10000, v8
	s_delay_alu instid0(VALU_DEP_2) | instskip(NEXT) | instid1(VALU_DEP_2)
	v_cmp_eq_u32_e32 vcc_lo, 0, v5
	v_cndmask_b32_e32 v5, v9, v8, vcc_lo
; %bb.1356:                             ;   in Loop: Header=BB8_959 Depth=2
	s_or_b32 exec_lo, exec_lo, s14
	v_dual_lshrrev_b32 v8, 16, v20 :: v_dual_lshrrev_b32 v11, 16, v22
	v_dual_lshrrev_b32 v14, 16, v21 :: v_dual_lshrrev_b32 v4, 16, v4
	s_mov_b64 s[40:41], 0
	s_delay_alu instid0(VALU_DEP_2) | instskip(NEXT) | instid1(VALU_DEP_3)
	v_and_or_b32 v9, 0xffff0000, v13, v8
	v_and_or_b32 v8, 0xffff0000, v12, v11
	s_delay_alu instid0(VALU_DEP_3)
	v_and_or_b32 v10, 0xffff0000, v10, v14
	v_and_or_b32 v11, 0xffff0000, v5, v4
	s_mov_b32 s79, -1
.LBB8_1357:                             ;   Parent Loop BB8_47 Depth=1
                                        ;     Parent Loop BB8_959 Depth=2
                                        ; =>    This Inner Loop Header: Depth=3
	s_cmp_eq_u32 s40, 1
	s_cselect_b32 vcc_lo, -1, 0
	s_cmp_eq_u32 s40, 0
	s_wait_xcnt 0x0
	v_dual_cndmask_b32 v5, v17, v19 :: v_dual_cndmask_b32 v4, v16, v18
	s_cselect_b32 s14, -1, 0
	s_and_b32 s15, exec_lo, s79
	s_mov_b64 s[40:41], 1
	s_mov_b32 s79, 0
	v_add_nc_u64_e32 v[12:13], 0x200, v[4:5]
	global_store_b128 v[4:5], v[8:11], off th:TH_STORE_NT
	v_dual_cndmask_b32 v19, v19, v13 :: v_dual_cndmask_b32 v18, v18, v12
	v_dual_cndmask_b32 v17, v17, v13, s14 :: v_dual_cndmask_b32 v16, v16, v12, s14
	s_mov_b32 vcc_lo, s15
	s_cbranch_vccnz .LBB8_1357
.LBB8_1358:                             ;   in Loop: Header=BB8_959 Depth=2
	s_wait_xcnt 0x0
	s_or_b32 exec_lo, exec_lo, s78
	v_and_b32_e32 v4, 14, v73
	s_mov_b32 s15, s76
	s_mov_b32 s14, exec_lo
                                        ; implicit-def: $vgpr17
                                        ; implicit-def: $vgpr18
                                        ; implicit-def: $vgpr8
	s_delay_alu instid0(VALU_DEP_1) | instskip(NEXT) | instid1(VALU_DEP_1)
	v_cndmask_b32_e64 v16, v33, v4, s13
	v_cmpx_ne_u32_e32 0, v16
	s_cbranch_execz .LBB8_1360
; %bb.1359:                             ;   in Loop: Header=BB8_959 Depth=2
	v_cmp_lt_i32_e32 vcc_lo, 0, v34
	s_or_b32 s15, s76, exec_lo
	v_sub_nc_u32_e32 v4, v33, v4
	v_cndmask_b32_e32 v5, 0, v84, vcc_lo
	s_delay_alu instid0(VALU_DEP_1) | instskip(NEXT) | instid1(VALU_DEP_1)
	v_dual_cndmask_b32 v4, 0, v4, s13 :: v_dual_sub_nc_u32 v5, v5, v34
	v_add3_u32 v17, v27, v26, v4
	s_delay_alu instid0(VALU_DEP_2) | instskip(NEXT) | instid1(VALU_DEP_1)
	v_lshl_add_u32 v5, v5, 5, v32
	v_ashrrev_i32_e32 v8, 31, v5
	s_delay_alu instid0(VALU_DEP_1) | instskip(NEXT) | instid1(VALU_DEP_1)
	v_lshrrev_b32_e32 v8, 27, v8
	v_add_nc_u32_e32 v8, v5, v8
	s_delay_alu instid0(VALU_DEP_1) | instskip(NEXT) | instid1(VALU_DEP_1)
	v_and_b32_e32 v9, 0xffffffe0, v8
	v_dual_sub_nc_u32 v18, v5, v9 :: v_dual_ashrrev_i32 v8, 5, v8
.LBB8_1360:                             ;   in Loop: Header=BB8_959 Depth=2
	s_or_b32 exec_lo, exec_lo, s14
	s_delay_alu instid0(SALU_CYCLE_1) | instskip(SKIP_1) | instid1(SALU_CYCLE_1)
	s_and_not1_b32 s13, s76, exec_lo
	s_and_b32 s14, s15, exec_lo
	s_or_b32 s76, s13, s14
.LBB8_1361:                             ;   in Loop: Header=BB8_959 Depth=2
	s_or_b32 exec_lo, exec_lo, s77
	s_and_saveexec_b32 s15, s76
	s_cbranch_execz .LBB8_1502
.LBB8_1362:                             ;   in Loop: Header=BB8_959 Depth=2
	v_dual_ashrrev_i32 v4, 31, v16 :: v_dual_lshlrev_b32 v9, 1, v18
	v_dual_mov_b32 v52, 0 :: v_dual_lshlrev_b32 v5, 9, v8
	s_delay_alu instid0(VALU_DEP_2) | instskip(SKIP_1) | instid1(VALU_DEP_3)
	v_dual_mov_b32 v49, 0 :: v_dual_lshrrev_b32 v4, 23, v4
	v_dual_mov_b32 v38, 0 :: v_dual_mov_b32 v29, 0
	v_add3_u32 v14, v17, v9, v5
	s_delay_alu instid0(VALU_DEP_3) | instskip(SKIP_1) | instid1(VALU_DEP_3)
	v_dual_mov_b32 v48, 0 :: v_dual_add_nc_u32 v10, v16, v4
	v_dual_mov_b32 v21, 0 :: v_dual_mov_b32 v28, 0
	v_dual_mov_b32 v23, 0 :: v_dual_ashrrev_i32 v15, 31, v14
	s_delay_alu instid0(VALU_DEP_3) | instskip(SKIP_1) | instid1(VALU_DEP_2)
	v_dual_mov_b32 v51, 0 :: v_dual_ashrrev_i32 v20, 9, v10
	v_dual_mov_b32 v37, 0 :: v_dual_mov_b32 v12, 0
	v_dual_mov_b32 v4, 0 :: v_dual_sub_nc_u32 v19, v20, v8
	s_delay_alu instid0(VALU_DEP_4)
	v_add_nc_u64_e32 v[10:11], v[88:89], v[14:15]
	v_add_nc_u64_e32 v[8:9], v[90:91], v[14:15]
	v_dual_mov_b32 v25, 0 :: v_dual_mov_b32 v24, 0
	v_dual_mov_b32 v22, 0 :: v_dual_mov_b32 v13, 0
	s_mov_b32 s14, 0
	s_mov_b32 s13, exec_lo
	v_cmpx_lt_i32_e32 0, v19
	s_cbranch_execz .LBB8_1436
; %bb.1363:                             ;   in Loop: Header=BB8_959 Depth=2
	s_trap 2
	ds_load_b64 v[4:5], v0
	v_add_nc_u64_e32 v[12:13], v[14:15], v[78:79]
	s_mov_b32 s41, 0
	s_mov_b32 s40, 0
                                        ; implicit-def: $sgpr14
                                        ; implicit-def: $vgpr52
                                        ; implicit-def: $vgpr92
                                        ; implicit-def: $vgpr50
                                        ; implicit-def: $vgpr39
                                        ; implicit-def: $vgpr36
                                        ; implicit-def: $vgpr35
                                        ; implicit-def: $vgpr34
                                        ; implicit-def: $vgpr33
                                        ; implicit-def: $vgpr21
                                        ; implicit-def: $vgpr22
                                        ; implicit-def: $vgpr23
                                        ; implicit-def: $vgpr24
                                        ; implicit-def: $vgpr25
                                        ; implicit-def: $vgpr26
                                        ; implicit-def: $vgpr27
                                        ; implicit-def: $vgpr32
	s_wait_dscnt 0x0
	v_add_nc_u64_e32 v[14:15], v[4:5], v[14:15]
	s_branch .LBB8_1365
.LBB8_1364:                             ;   in Loop: Header=BB8_1365 Depth=3
	s_or_b32 exec_lo, exec_lo, s76
	s_delay_alu instid0(VALU_DEP_1) | instskip(SKIP_3) | instid1(SALU_CYCLE_1)
	v_cmp_gt_i32_e32 vcc_lo, 1, v19
	s_or_b32 s40, vcc_lo, s40
	s_and_not1_b32 s14, s14, exec_lo
	s_and_b32 s76, s41, exec_lo
	s_or_b32 s14, s14, s76
	s_and_not1_b32 exec_lo, exec_lo, s40
	s_cbranch_execz .LBB8_1435
.LBB8_1365:                             ;   Parent Loop BB8_47 Depth=1
                                        ;     Parent Loop BB8_959 Depth=2
                                        ; =>    This Inner Loop Header: Depth=3
	s_clause 0x7
	flat_load_u16 v108, v[12:13] th:TH_LOAD_NT
	flat_load_u16 v106, v[12:13] offset:64 th:TH_LOAD_NT
	flat_load_u16 v104, v[12:13] offset:128 th:TH_LOAD_NT
	;; [unrolled: 1-line block ×7, first 2 shown]
	s_clause 0x7
	flat_load_u16 v109, v[14:15] th:TH_LOAD_NT
	flat_load_u16 v107, v[14:15] offset:64 th:TH_LOAD_NT
	flat_load_u16 v105, v[14:15] offset:128 th:TH_LOAD_NT
	;; [unrolled: 1-line block ×7, first 2 shown]
	s_wait_xcnt 0x0
	s_and_saveexec_b32 s76, s41
	s_cbranch_execz .LBB8_1399
; %bb.1366:                             ;   in Loop: Header=BB8_1365 Depth=3
	v_dual_lshlrev_b32 v4, 16, v52 :: v_dual_lshlrev_b32 v5, 16, v21
	s_mov_b32 s41, exec_lo
                                        ; implicit-def: $vgpr52
	s_delay_alu instid0(VALU_DEP_1) | instskip(NEXT) | instid1(VALU_DEP_1)
	v_mul_f32_e32 v4, v4, v5
	v_and_b32_e32 v5, 0x7f800000, v4
	s_delay_alu instid0(VALU_DEP_1)
	v_cmpx_ne_u32_e32 0x7f800000, v5
	s_xor_b32 s41, exec_lo, s41
; %bb.1367:                             ;   in Loop: Header=BB8_1365 Depth=3
	v_bfe_u32 v5, v4, 16, 1
	s_delay_alu instid0(VALU_DEP_1)
	v_add3_u32 v52, v4, v5, 0x7fff
                                        ; implicit-def: $vgpr4
; %bb.1368:                             ;   in Loop: Header=BB8_1365 Depth=3
	s_and_not1_saveexec_b32 s41, s41
; %bb.1369:                             ;   in Loop: Header=BB8_1365 Depth=3
	v_and_b32_e32 v5, 0xffff, v4
	v_or_b32_e32 v28, 0x10000, v4
	s_delay_alu instid0(VALU_DEP_2) | instskip(NEXT) | instid1(VALU_DEP_2)
	v_cmp_eq_u32_e32 vcc_lo, 0, v5
	v_cndmask_b32_e32 v52, v28, v4, vcc_lo
; %bb.1370:                             ;   in Loop: Header=BB8_1365 Depth=3
	s_or_b32 exec_lo, exec_lo, s41
	v_dual_lshlrev_b32 v4, 16, v92 :: v_dual_lshlrev_b32 v5, 16, v22
	s_mov_b32 s41, exec_lo
                                        ; implicit-def: $vgpr28
	s_delay_alu instid0(VALU_DEP_1) | instskip(NEXT) | instid1(VALU_DEP_1)
	v_mul_f32_e32 v4, v4, v5
	v_and_b32_e32 v5, 0x7f800000, v4
	s_delay_alu instid0(VALU_DEP_1)
	v_cmpx_ne_u32_e32 0x7f800000, v5
	s_xor_b32 s41, exec_lo, s41
; %bb.1371:                             ;   in Loop: Header=BB8_1365 Depth=3
	v_bfe_u32 v5, v4, 16, 1
	s_delay_alu instid0(VALU_DEP_1)
	v_add3_u32 v28, v4, v5, 0x7fff
                                        ; implicit-def: $vgpr4
; %bb.1372:                             ;   in Loop: Header=BB8_1365 Depth=3
	s_and_not1_saveexec_b32 s41, s41
; %bb.1373:                             ;   in Loop: Header=BB8_1365 Depth=3
	v_and_b32_e32 v5, 0xffff, v4
	v_or_b32_e32 v28, 0x10000, v4
	s_delay_alu instid0(VALU_DEP_2) | instskip(NEXT) | instid1(VALU_DEP_2)
	v_cmp_eq_u32_e32 vcc_lo, 0, v5
	v_cndmask_b32_e32 v28, v28, v4, vcc_lo
; %bb.1374:                             ;   in Loop: Header=BB8_1365 Depth=3
	s_or_b32 exec_lo, exec_lo, s41
	v_dual_lshlrev_b32 v4, 16, v50 :: v_dual_lshlrev_b32 v5, 16, v23
	s_mov_b32 s41, exec_lo
                                        ; implicit-def: $vgpr29
	s_delay_alu instid0(VALU_DEP_1) | instskip(NEXT) | instid1(VALU_DEP_1)
	v_mul_f32_e32 v4, v4, v5
	v_and_b32_e32 v5, 0x7f800000, v4
	s_delay_alu instid0(VALU_DEP_1)
	v_cmpx_ne_u32_e32 0x7f800000, v5
	s_xor_b32 s41, exec_lo, s41
; %bb.1375:                             ;   in Loop: Header=BB8_1365 Depth=3
	v_bfe_u32 v5, v4, 16, 1
	s_delay_alu instid0(VALU_DEP_1)
	v_add3_u32 v29, v4, v5, 0x7fff
                                        ; implicit-def: $vgpr4
; %bb.1376:                             ;   in Loop: Header=BB8_1365 Depth=3
	s_and_not1_saveexec_b32 s41, s41
; %bb.1377:                             ;   in Loop: Header=BB8_1365 Depth=3
	v_and_b32_e32 v5, 0xffff, v4
	v_or_b32_e32 v29, 0x10000, v4
	s_delay_alu instid0(VALU_DEP_2) | instskip(NEXT) | instid1(VALU_DEP_2)
	v_cmp_eq_u32_e32 vcc_lo, 0, v5
	v_cndmask_b32_e32 v29, v29, v4, vcc_lo
; %bb.1378:                             ;   in Loop: Header=BB8_1365 Depth=3
	s_or_b32 exec_lo, exec_lo, s41
	v_dual_lshlrev_b32 v4, 16, v39 :: v_dual_lshlrev_b32 v5, 16, v24
	s_mov_b32 s41, exec_lo
                                        ; implicit-def: $vgpr39
	s_delay_alu instid0(VALU_DEP_1) | instskip(NEXT) | instid1(VALU_DEP_1)
	v_mul_f32_e32 v4, v4, v5
	v_and_b32_e32 v5, 0x7f800000, v4
	s_delay_alu instid0(VALU_DEP_1)
	v_cmpx_ne_u32_e32 0x7f800000, v5
	s_xor_b32 s41, exec_lo, s41
; %bb.1379:                             ;   in Loop: Header=BB8_1365 Depth=3
	v_bfe_u32 v5, v4, 16, 1
	s_delay_alu instid0(VALU_DEP_1)
	v_add3_u32 v39, v4, v5, 0x7fff
                                        ; implicit-def: $vgpr4
; %bb.1380:                             ;   in Loop: Header=BB8_1365 Depth=3
	s_and_not1_saveexec_b32 s41, s41
; %bb.1381:                             ;   in Loop: Header=BB8_1365 Depth=3
	v_and_b32_e32 v5, 0xffff, v4
	v_or_b32_e32 v39, 0x10000, v4
	s_delay_alu instid0(VALU_DEP_2) | instskip(NEXT) | instid1(VALU_DEP_2)
	v_cmp_eq_u32_e32 vcc_lo, 0, v5
	v_cndmask_b32_e32 v39, v39, v4, vcc_lo
; %bb.1382:                             ;   in Loop: Header=BB8_1365 Depth=3
	s_or_b32 exec_lo, exec_lo, s41
	v_dual_lshlrev_b32 v4, 16, v36 :: v_dual_lshlrev_b32 v5, 16, v25
	s_mov_b32 s41, exec_lo
                                        ; implicit-def: $vgpr36
	s_delay_alu instid0(VALU_DEP_1) | instskip(NEXT) | instid1(VALU_DEP_1)
	v_mul_f32_e32 v4, v4, v5
	v_and_b32_e32 v5, 0x7f800000, v4
	s_delay_alu instid0(VALU_DEP_1)
	v_cmpx_ne_u32_e32 0x7f800000, v5
	s_xor_b32 s41, exec_lo, s41
; %bb.1383:                             ;   in Loop: Header=BB8_1365 Depth=3
	v_bfe_u32 v5, v4, 16, 1
	s_delay_alu instid0(VALU_DEP_1)
	v_add3_u32 v36, v4, v5, 0x7fff
                                        ; implicit-def: $vgpr4
; %bb.1384:                             ;   in Loop: Header=BB8_1365 Depth=3
	s_and_not1_saveexec_b32 s41, s41
; %bb.1385:                             ;   in Loop: Header=BB8_1365 Depth=3
	v_and_b32_e32 v5, 0xffff, v4
	v_or_b32_e32 v36, 0x10000, v4
	s_delay_alu instid0(VALU_DEP_2) | instskip(NEXT) | instid1(VALU_DEP_2)
	v_cmp_eq_u32_e32 vcc_lo, 0, v5
	v_cndmask_b32_e32 v36, v36, v4, vcc_lo
; %bb.1386:                             ;   in Loop: Header=BB8_1365 Depth=3
	s_or_b32 exec_lo, exec_lo, s41
	v_dual_lshlrev_b32 v4, 16, v35 :: v_dual_lshlrev_b32 v5, 16, v26
	s_mov_b32 s41, exec_lo
                                        ; implicit-def: $vgpr35
	s_delay_alu instid0(VALU_DEP_1) | instskip(NEXT) | instid1(VALU_DEP_1)
	v_mul_f32_e32 v4, v4, v5
	v_and_b32_e32 v5, 0x7f800000, v4
	s_delay_alu instid0(VALU_DEP_1)
	v_cmpx_ne_u32_e32 0x7f800000, v5
	s_xor_b32 s41, exec_lo, s41
; %bb.1387:                             ;   in Loop: Header=BB8_1365 Depth=3
	v_bfe_u32 v5, v4, 16, 1
	s_delay_alu instid0(VALU_DEP_1)
	v_add3_u32 v35, v4, v5, 0x7fff
                                        ; implicit-def: $vgpr4
; %bb.1388:                             ;   in Loop: Header=BB8_1365 Depth=3
	s_and_not1_saveexec_b32 s41, s41
; %bb.1389:                             ;   in Loop: Header=BB8_1365 Depth=3
	v_and_b32_e32 v5, 0xffff, v4
	v_or_b32_e32 v35, 0x10000, v4
	s_delay_alu instid0(VALU_DEP_2) | instskip(NEXT) | instid1(VALU_DEP_2)
	v_cmp_eq_u32_e32 vcc_lo, 0, v5
	v_cndmask_b32_e32 v35, v35, v4, vcc_lo
; %bb.1390:                             ;   in Loop: Header=BB8_1365 Depth=3
	s_or_b32 exec_lo, exec_lo, s41
	v_dual_lshlrev_b32 v4, 16, v34 :: v_dual_lshlrev_b32 v5, 16, v27
	s_delay_alu instid0(VALU_DEP_1) | instskip(NEXT) | instid1(VALU_DEP_1)
	v_mul_f32_e32 v5, v4, v5
	v_and_b32_e32 v4, 0x7f800000, v5
	s_delay_alu instid0(VALU_DEP_1) | instskip(SKIP_1) | instid1(SALU_CYCLE_1)
	v_cmp_ne_u32_e32 vcc_lo, 0x7f800000, v4
                                        ; implicit-def: $vgpr4
	s_and_saveexec_b32 s41, vcc_lo
	s_xor_b32 s41, exec_lo, s41
; %bb.1391:                             ;   in Loop: Header=BB8_1365 Depth=3
	v_bfe_u32 v4, v5, 16, 1
	s_delay_alu instid0(VALU_DEP_1)
	v_add3_u32 v4, v5, v4, 0x7fff
                                        ; implicit-def: $vgpr5
; %bb.1392:                             ;   in Loop: Header=BB8_1365 Depth=3
	s_and_not1_saveexec_b32 s41, s41
; %bb.1393:                             ;   in Loop: Header=BB8_1365 Depth=3
	v_and_b32_e32 v4, 0xffff, v5
	v_or_b32_e32 v34, 0x10000, v5
	s_delay_alu instid0(VALU_DEP_2) | instskip(NEXT) | instid1(VALU_DEP_2)
	v_cmp_eq_u32_e32 vcc_lo, 0, v4
	v_cndmask_b32_e32 v4, v34, v5, vcc_lo
; %bb.1394:                             ;   in Loop: Header=BB8_1365 Depth=3
	s_or_b32 exec_lo, exec_lo, s41
	v_dual_lshlrev_b32 v5, 16, v33 :: v_dual_lshlrev_b32 v33, 16, v32
	s_delay_alu instid0(VALU_DEP_1) | instskip(NEXT) | instid1(VALU_DEP_1)
	v_mul_f32_e32 v33, v5, v33
	v_and_b32_e32 v5, 0x7f800000, v33
	s_delay_alu instid0(VALU_DEP_1) | instskip(SKIP_1) | instid1(SALU_CYCLE_1)
	v_cmp_ne_u32_e32 vcc_lo, 0x7f800000, v5
                                        ; implicit-def: $vgpr5
	s_and_saveexec_b32 s41, vcc_lo
	s_xor_b32 s41, exec_lo, s41
; %bb.1395:                             ;   in Loop: Header=BB8_1365 Depth=3
	v_bfe_u32 v5, v33, 16, 1
	s_delay_alu instid0(VALU_DEP_1)
	v_add3_u32 v5, v33, v5, 0x7fff
                                        ; implicit-def: $vgpr33
; %bb.1396:                             ;   in Loop: Header=BB8_1365 Depth=3
	s_and_not1_saveexec_b32 s41, s41
; %bb.1397:                             ;   in Loop: Header=BB8_1365 Depth=3
	v_and_b32_e32 v5, 0xffff, v33
	v_or_b32_e32 v34, 0x10000, v33
	s_delay_alu instid0(VALU_DEP_2) | instskip(NEXT) | instid1(VALU_DEP_2)
	v_cmp_eq_u32_e32 vcc_lo, 0, v5
	v_cndmask_b32_e32 v5, v34, v33, vcc_lo
; %bb.1398:                             ;   in Loop: Header=BB8_1365 Depth=3
	s_or_b32 exec_lo, exec_lo, s41
	v_dual_lshrrev_b32 v52, 16, v52 :: v_dual_lshrrev_b32 v39, 16, v39
	s_delay_alu instid0(VALU_DEP_2)
	v_dual_lshrrev_b32 v92, 16, v28 :: v_dual_lshrrev_b32 v33, 16, v5
	v_dual_lshrrev_b32 v36, 16, v36 :: v_dual_lshrrev_b32 v50, 16, v29
	;; [unrolled: 1-line block ×3, first 2 shown]
	s_clause 0x7
	flat_store_b16 v[10:11], v52 th:TH_STORE_NT
	flat_store_b16 v[10:11], v92 offset:64 th:TH_STORE_NT
	flat_store_b16 v[10:11], v50 offset:128 th:TH_STORE_NT
	;; [unrolled: 1-line block ×7, first 2 shown]
	s_clause 0x7
	flat_store_b16 v[8:9], v52 th:TH_STORE_NT
	flat_store_b16 v[8:9], v92 offset:64 th:TH_STORE_NT
	flat_store_b16 v[8:9], v50 offset:128 th:TH_STORE_NT
	;; [unrolled: 1-line block ×7, first 2 shown]
	s_wait_xcnt 0x8
	v_add_nc_u64_e32 v[10:11], v[10:11], v[40:41]
	s_wait_xcnt 0x0
	v_add_nc_u64_e32 v[8:9], v[8:9], v[40:41]
.LBB8_1399:                             ;   in Loop: Header=BB8_1365 Depth=3
	s_or_b32 exec_lo, exec_lo, s76
	v_sub_nc_u32_e32 v19, v19, v84
	v_add_nc_u64_e32 v[12:13], v[12:13], v[40:41]
	v_add_nc_u64_e32 v[14:15], v[14:15], v[40:41]
	s_delay_alu instid0(VALU_DEP_3)
	v_cmp_lt_i32_e64 s41, 0, v19
	s_and_saveexec_b32 s76, s41
	s_cbranch_execz .LBB8_1401
; %bb.1400:                             ;   in Loop: Header=BB8_1365 Depth=3
	s_clause 0x7
	flat_load_u16 v52, v[12:13] th:TH_LOAD_NT
	flat_load_u16 v92, v[12:13] offset:64 th:TH_LOAD_NT
	flat_load_u16 v50, v[12:13] offset:128 th:TH_LOAD_NT
	;; [unrolled: 1-line block ×7, first 2 shown]
	s_clause 0x7
	flat_load_u16 v21, v[14:15] th:TH_LOAD_NT
	flat_load_u16 v22, v[14:15] offset:64 th:TH_LOAD_NT
	flat_load_u16 v23, v[14:15] offset:128 th:TH_LOAD_NT
	;; [unrolled: 1-line block ×7, first 2 shown]
	s_wait_xcnt 0x8
	v_add_nc_u64_e32 v[12:13], 0x200, v[12:13]
	s_wait_xcnt 0x0
	v_add_nc_u64_e32 v[14:15], 0x200, v[14:15]
.LBB8_1401:                             ;   in Loop: Header=BB8_1365 Depth=3
	s_or_b32 exec_lo, exec_lo, s76
	s_wait_loadcnt_dscnt 0x707
	v_dual_lshlrev_b32 v4, 16, v108 :: v_dual_lshlrev_b32 v5, 16, v109
	s_mov_b32 s76, exec_lo
                                        ; implicit-def: $vgpr54
	s_delay_alu instid0(VALU_DEP_1) | instskip(NEXT) | instid1(VALU_DEP_1)
	v_mul_f32_e32 v4, v5, v4
	v_and_b32_e32 v5, 0x7f800000, v4
	s_delay_alu instid0(VALU_DEP_1)
	v_cmpx_ne_u32_e32 0x7f800000, v5
	s_xor_b32 s76, exec_lo, s76
; %bb.1402:                             ;   in Loop: Header=BB8_1365 Depth=3
	v_bfe_u32 v5, v4, 16, 1
	s_delay_alu instid0(VALU_DEP_1)
	v_add3_u32 v54, v4, v5, 0x7fff
                                        ; implicit-def: $vgpr4
; %bb.1403:                             ;   in Loop: Header=BB8_1365 Depth=3
	s_and_not1_saveexec_b32 s76, s76
; %bb.1404:                             ;   in Loop: Header=BB8_1365 Depth=3
	v_and_b32_e32 v5, 0xffff, v4
	v_or_b32_e32 v28, 0x10000, v4
	s_delay_alu instid0(VALU_DEP_2) | instskip(NEXT) | instid1(VALU_DEP_2)
	v_cmp_eq_u32_e32 vcc_lo, 0, v5
	v_cndmask_b32_e32 v54, v28, v4, vcc_lo
; %bb.1405:                             ;   in Loop: Header=BB8_1365 Depth=3
	s_or_b32 exec_lo, exec_lo, s76
	s_wait_loadcnt_dscnt 0x606
	v_dual_lshlrev_b32 v4, 16, v106 :: v_dual_lshlrev_b32 v5, 16, v107
	s_mov_b32 s76, exec_lo
                                        ; implicit-def: $vgpr28
	s_delay_alu instid0(VALU_DEP_1) | instskip(NEXT) | instid1(VALU_DEP_1)
	v_mul_f32_e32 v4, v5, v4
	v_and_b32_e32 v5, 0x7f800000, v4
	s_delay_alu instid0(VALU_DEP_1)
	v_cmpx_ne_u32_e32 0x7f800000, v5
	s_xor_b32 s76, exec_lo, s76
; %bb.1406:                             ;   in Loop: Header=BB8_1365 Depth=3
	v_bfe_u32 v5, v4, 16, 1
	s_delay_alu instid0(VALU_DEP_1)
	v_add3_u32 v28, v4, v5, 0x7fff
                                        ; implicit-def: $vgpr4
; %bb.1407:                             ;   in Loop: Header=BB8_1365 Depth=3
	s_and_not1_saveexec_b32 s76, s76
; %bb.1408:                             ;   in Loop: Header=BB8_1365 Depth=3
	v_and_b32_e32 v5, 0xffff, v4
	v_or_b32_e32 v28, 0x10000, v4
	s_delay_alu instid0(VALU_DEP_2) | instskip(NEXT) | instid1(VALU_DEP_2)
	v_cmp_eq_u32_e32 vcc_lo, 0, v5
	v_cndmask_b32_e32 v28, v28, v4, vcc_lo
; %bb.1409:                             ;   in Loop: Header=BB8_1365 Depth=3
	s_or_b32 exec_lo, exec_lo, s76
	s_wait_loadcnt_dscnt 0x505
	v_dual_lshlrev_b32 v4, 16, v104 :: v_dual_lshlrev_b32 v5, 16, v105
	s_mov_b32 s76, exec_lo
                                        ; implicit-def: $vgpr29
	s_delay_alu instid0(VALU_DEP_1) | instskip(NEXT) | instid1(VALU_DEP_1)
	v_mul_f32_e32 v4, v5, v4
	v_and_b32_e32 v5, 0x7f800000, v4
	s_delay_alu instid0(VALU_DEP_1)
	v_cmpx_ne_u32_e32 0x7f800000, v5
	s_xor_b32 s76, exec_lo, s76
; %bb.1410:                             ;   in Loop: Header=BB8_1365 Depth=3
	v_bfe_u32 v5, v4, 16, 1
	s_delay_alu instid0(VALU_DEP_1)
	v_add3_u32 v29, v4, v5, 0x7fff
                                        ; implicit-def: $vgpr4
; %bb.1411:                             ;   in Loop: Header=BB8_1365 Depth=3
	s_and_not1_saveexec_b32 s76, s76
; %bb.1412:                             ;   in Loop: Header=BB8_1365 Depth=3
	v_and_b32_e32 v5, 0xffff, v4
	v_or_b32_e32 v29, 0x10000, v4
	s_delay_alu instid0(VALU_DEP_2) | instskip(NEXT) | instid1(VALU_DEP_2)
	v_cmp_eq_u32_e32 vcc_lo, 0, v5
	v_cndmask_b32_e32 v29, v29, v4, vcc_lo
; %bb.1413:                             ;   in Loop: Header=BB8_1365 Depth=3
	s_or_b32 exec_lo, exec_lo, s76
	s_wait_loadcnt_dscnt 0x404
	v_dual_lshlrev_b32 v4, 16, v53 :: v_dual_lshlrev_b32 v5, 16, v95
	s_mov_b32 s76, exec_lo
                                        ; implicit-def: $vgpr53
	s_delay_alu instid0(VALU_DEP_1) | instskip(NEXT) | instid1(VALU_DEP_1)
	v_mul_f32_e32 v4, v5, v4
	v_and_b32_e32 v5, 0x7f800000, v4
	s_delay_alu instid0(VALU_DEP_1)
	v_cmpx_ne_u32_e32 0x7f800000, v5
	s_xor_b32 s76, exec_lo, s76
; %bb.1414:                             ;   in Loop: Header=BB8_1365 Depth=3
	v_bfe_u32 v5, v4, 16, 1
	s_delay_alu instid0(VALU_DEP_1)
	v_add3_u32 v53, v4, v5, 0x7fff
                                        ; implicit-def: $vgpr4
; %bb.1415:                             ;   in Loop: Header=BB8_1365 Depth=3
	s_and_not1_saveexec_b32 s76, s76
; %bb.1416:                             ;   in Loop: Header=BB8_1365 Depth=3
	v_and_b32_e32 v5, 0xffff, v4
	v_or_b32_e32 v53, 0x10000, v4
	s_delay_alu instid0(VALU_DEP_2) | instskip(NEXT) | instid1(VALU_DEP_2)
	v_cmp_eq_u32_e32 vcc_lo, 0, v5
	v_cndmask_b32_e32 v53, v53, v4, vcc_lo
; %bb.1417:                             ;   in Loop: Header=BB8_1365 Depth=3
	s_or_b32 exec_lo, exec_lo, s76
	s_wait_loadcnt_dscnt 0x303
	v_dual_lshlrev_b32 v4, 16, v93 :: v_dual_lshlrev_b32 v5, 16, v94
	s_mov_b32 s76, exec_lo
                                        ; implicit-def: $vgpr55
	s_delay_alu instid0(VALU_DEP_1) | instskip(NEXT) | instid1(VALU_DEP_1)
	v_mul_f32_e32 v4, v5, v4
	v_and_b32_e32 v5, 0x7f800000, v4
	s_delay_alu instid0(VALU_DEP_1)
	v_cmpx_ne_u32_e32 0x7f800000, v5
	s_xor_b32 s76, exec_lo, s76
; %bb.1418:                             ;   in Loop: Header=BB8_1365 Depth=3
	v_bfe_u32 v5, v4, 16, 1
	s_delay_alu instid0(VALU_DEP_1)
	v_add3_u32 v55, v4, v5, 0x7fff
                                        ; implicit-def: $vgpr4
; %bb.1419:                             ;   in Loop: Header=BB8_1365 Depth=3
	s_and_not1_saveexec_b32 s76, s76
; %bb.1420:                             ;   in Loop: Header=BB8_1365 Depth=3
	v_and_b32_e32 v5, 0xffff, v4
	v_or_b32_e32 v55, 0x10000, v4
	s_delay_alu instid0(VALU_DEP_2) | instskip(NEXT) | instid1(VALU_DEP_2)
	v_cmp_eq_u32_e32 vcc_lo, 0, v5
	v_cndmask_b32_e32 v55, v55, v4, vcc_lo
; %bb.1421:                             ;   in Loop: Header=BB8_1365 Depth=3
	s_or_b32 exec_lo, exec_lo, s76
	v_lshlrev_b32_e32 v4, 16, v51
	s_wait_loadcnt_dscnt 0x202
	v_lshlrev_b32_e32 v5, 16, v75
	s_mov_b32 s76, exec_lo
                                        ; implicit-def: $vgpr51
	s_delay_alu instid0(VALU_DEP_1) | instskip(NEXT) | instid1(VALU_DEP_1)
	v_mul_f32_e32 v4, v5, v4
	v_and_b32_e32 v5, 0x7f800000, v4
	s_delay_alu instid0(VALU_DEP_1)
	v_cmpx_ne_u32_e32 0x7f800000, v5
	s_xor_b32 s76, exec_lo, s76
; %bb.1422:                             ;   in Loop: Header=BB8_1365 Depth=3
	v_bfe_u32 v5, v4, 16, 1
	s_delay_alu instid0(VALU_DEP_1)
	v_add3_u32 v51, v4, v5, 0x7fff
                                        ; implicit-def: $vgpr4
; %bb.1423:                             ;   in Loop: Header=BB8_1365 Depth=3
	s_and_not1_saveexec_b32 s76, s76
; %bb.1424:                             ;   in Loop: Header=BB8_1365 Depth=3
	v_and_b32_e32 v5, 0xffff, v4
	v_or_b32_e32 v51, 0x10000, v4
	s_delay_alu instid0(VALU_DEP_2) | instskip(NEXT) | instid1(VALU_DEP_2)
	v_cmp_eq_u32_e32 vcc_lo, 0, v5
	v_cndmask_b32_e32 v51, v51, v4, vcc_lo
; %bb.1425:                             ;   in Loop: Header=BB8_1365 Depth=3
	s_or_b32 exec_lo, exec_lo, s76
	s_wait_loadcnt_dscnt 0x101
	v_dual_lshlrev_b32 v4, 16, v48 :: v_dual_lshlrev_b32 v5, 16, v49
	s_delay_alu instid0(VALU_DEP_1) | instskip(NEXT) | instid1(VALU_DEP_1)
	v_mul_f32_e32 v5, v5, v4
	v_and_b32_e32 v4, 0x7f800000, v5
	s_delay_alu instid0(VALU_DEP_1) | instskip(SKIP_1) | instid1(SALU_CYCLE_1)
	v_cmp_ne_u32_e32 vcc_lo, 0x7f800000, v4
                                        ; implicit-def: $vgpr4
	s_and_saveexec_b32 s76, vcc_lo
	s_xor_b32 s76, exec_lo, s76
; %bb.1426:                             ;   in Loop: Header=BB8_1365 Depth=3
	v_bfe_u32 v4, v5, 16, 1
	s_delay_alu instid0(VALU_DEP_1)
	v_add3_u32 v4, v5, v4, 0x7fff
                                        ; implicit-def: $vgpr5
; %bb.1427:                             ;   in Loop: Header=BB8_1365 Depth=3
	s_and_not1_saveexec_b32 s76, s76
; %bb.1428:                             ;   in Loop: Header=BB8_1365 Depth=3
	v_and_b32_e32 v4, 0xffff, v5
	v_or_b32_e32 v48, 0x10000, v5
	s_delay_alu instid0(VALU_DEP_2) | instskip(NEXT) | instid1(VALU_DEP_2)
	v_cmp_eq_u32_e32 vcc_lo, 0, v4
	v_cndmask_b32_e32 v4, v48, v5, vcc_lo
; %bb.1429:                             ;   in Loop: Header=BB8_1365 Depth=3
	s_or_b32 exec_lo, exec_lo, s76
	s_wait_loadcnt_dscnt 0x0
	v_dual_lshlrev_b32 v5, 16, v37 :: v_dual_lshlrev_b32 v37, 16, v38
	s_delay_alu instid0(VALU_DEP_1) | instskip(NEXT) | instid1(VALU_DEP_1)
	v_mul_f32_e32 v37, v37, v5
	v_and_b32_e32 v5, 0x7f800000, v37
	s_delay_alu instid0(VALU_DEP_1) | instskip(SKIP_1) | instid1(SALU_CYCLE_1)
	v_cmp_ne_u32_e32 vcc_lo, 0x7f800000, v5
                                        ; implicit-def: $vgpr5
	s_and_saveexec_b32 s76, vcc_lo
	s_xor_b32 s76, exec_lo, s76
; %bb.1430:                             ;   in Loop: Header=BB8_1365 Depth=3
	v_bfe_u32 v5, v37, 16, 1
	s_delay_alu instid0(VALU_DEP_1)
	v_add3_u32 v5, v37, v5, 0x7fff
                                        ; implicit-def: $vgpr37
; %bb.1431:                             ;   in Loop: Header=BB8_1365 Depth=3
	s_and_not1_saveexec_b32 s76, s76
; %bb.1432:                             ;   in Loop: Header=BB8_1365 Depth=3
	v_and_b32_e32 v5, 0xffff, v37
	v_or_b32_e32 v38, 0x10000, v37
	s_delay_alu instid0(VALU_DEP_2) | instskip(NEXT) | instid1(VALU_DEP_2)
	v_cmp_eq_u32_e32 vcc_lo, 0, v5
	v_cndmask_b32_e32 v5, v38, v37, vcc_lo
; %bb.1433:                             ;   in Loop: Header=BB8_1365 Depth=3
	s_or_b32 exec_lo, exec_lo, s76
	v_dual_lshrrev_b32 v38, 16, v55 :: v_dual_lshrrev_b32 v48, 16, v54
	v_dual_lshrrev_b32 v28, 16, v28 :: v_dual_lshrrev_b32 v29, 16, v29
	;; [unrolled: 1-line block ×4, first 2 shown]
	s_clause 0x7
	flat_store_b16 v[10:11], v48 th:TH_STORE_NT
	flat_store_b16 v[10:11], v28 offset:64 th:TH_STORE_NT
	flat_store_b16 v[10:11], v29 offset:128 th:TH_STORE_NT
	;; [unrolled: 1-line block ×7, first 2 shown]
	s_wait_xcnt 0x0
	v_add_nc_u64_e32 v[10:11], 0x200, v[10:11]
	s_clause 0x7
	flat_store_b16 v[8:9], v48 th:TH_STORE_NT
	flat_store_b16 v[8:9], v28 offset:64 th:TH_STORE_NT
	flat_store_b16 v[8:9], v29 offset:128 th:TH_STORE_NT
	;; [unrolled: 1-line block ×7, first 2 shown]
	s_wait_xcnt 0x0
	v_add_nc_u64_e32 v[8:9], 0x200, v[8:9]
	s_and_saveexec_b32 s76, s41
	s_cbranch_execz .LBB8_1364
; %bb.1434:                             ;   in Loop: Header=BB8_1365 Depth=3
	v_add_nc_u64_e32 v[10:11], v[10:11], v[112:113]
	s_delay_alu instid0(VALU_DEP_2)
	v_add_nc_u64_e32 v[8:9], v[8:9], v[112:113]
	v_add_nc_u64_e32 v[12:13], v[12:13], v[112:113]
	;; [unrolled: 1-line block ×3, first 2 shown]
	v_sub_nc_u32_e32 v19, v19, v84
	s_branch .LBB8_1364
.LBB8_1435:                             ;   in Loop: Header=BB8_959 Depth=2
	s_or_b32 exec_lo, exec_lo, s40
	v_dual_lshlrev_b32 v52, 16, v52 :: v_dual_lshlrev_b32 v4, 16, v21
	v_dual_lshlrev_b32 v49, 16, v92 :: v_dual_lshlrev_b32 v51, 16, v22
	;; [unrolled: 1-line block ×8, first 2 shown]
	s_and_b32 s14, s14, exec_lo
.LBB8_1436:                             ;   in Loop: Header=BB8_959 Depth=2
	s_or_b32 exec_lo, exec_lo, s13
	s_and_saveexec_b32 s13, s14
	s_cbranch_execz .LBB8_1470
; %bb.1437:                             ;   in Loop: Header=BB8_959 Depth=2
	v_mul_f32_e32 v4, v4, v52
	s_mov_b32 s14, exec_lo
                                        ; implicit-def: $vgpr14
	s_delay_alu instid0(VALU_DEP_1) | instskip(NEXT) | instid1(VALU_DEP_1)
	v_and_b32_e32 v5, 0x7f800000, v4
	v_cmpx_ne_u32_e32 0x7f800000, v5
	s_xor_b32 s14, exec_lo, s14
; %bb.1438:                             ;   in Loop: Header=BB8_959 Depth=2
	v_bfe_u32 v5, v4, 16, 1
	s_delay_alu instid0(VALU_DEP_1)
	v_add3_u32 v14, v4, v5, 0x7fff
                                        ; implicit-def: $vgpr4
; %bb.1439:                             ;   in Loop: Header=BB8_959 Depth=2
	s_and_not1_saveexec_b32 s14, s14
; %bb.1440:                             ;   in Loop: Header=BB8_959 Depth=2
	v_and_b32_e32 v5, 0xffff, v4
	v_or_b32_e32 v14, 0x10000, v4
	s_delay_alu instid0(VALU_DEP_2) | instskip(NEXT) | instid1(VALU_DEP_2)
	v_cmp_eq_u32_e32 vcc_lo, 0, v5
	v_cndmask_b32_e32 v14, v14, v4, vcc_lo
; %bb.1441:                             ;   in Loop: Header=BB8_959 Depth=2
	s_or_b32 exec_lo, exec_lo, s14
	v_mul_f32_e32 v4, v51, v49
	s_mov_b32 s14, exec_lo
                                        ; implicit-def: $vgpr15
	s_delay_alu instid0(VALU_DEP_1) | instskip(NEXT) | instid1(VALU_DEP_1)
	v_and_b32_e32 v5, 0x7f800000, v4
	v_cmpx_ne_u32_e32 0x7f800000, v5
	s_xor_b32 s14, exec_lo, s14
; %bb.1442:                             ;   in Loop: Header=BB8_959 Depth=2
	v_bfe_u32 v5, v4, 16, 1
	s_delay_alu instid0(VALU_DEP_1)
	v_add3_u32 v15, v4, v5, 0x7fff
                                        ; implicit-def: $vgpr4
; %bb.1443:                             ;   in Loop: Header=BB8_959 Depth=2
	s_and_not1_saveexec_b32 s14, s14
; %bb.1444:                             ;   in Loop: Header=BB8_959 Depth=2
	v_and_b32_e32 v5, 0xffff, v4
	v_or_b32_e32 v15, 0x10000, v4
	s_delay_alu instid0(VALU_DEP_2) | instskip(NEXT) | instid1(VALU_DEP_2)
	v_cmp_eq_u32_e32 vcc_lo, 0, v5
	v_cndmask_b32_e32 v15, v15, v4, vcc_lo
; %bb.1445:                             ;   in Loop: Header=BB8_959 Depth=2
	s_or_b32 exec_lo, exec_lo, s14
	v_mul_f32_e32 v4, v48, v38
	s_mov_b32 s14, exec_lo
                                        ; implicit-def: $vgpr26
	s_delay_alu instid0(VALU_DEP_1) | instskip(NEXT) | instid1(VALU_DEP_1)
	v_and_b32_e32 v5, 0x7f800000, v4
	v_cmpx_ne_u32_e32 0x7f800000, v5
	s_xor_b32 s14, exec_lo, s14
; %bb.1446:                             ;   in Loop: Header=BB8_959 Depth=2
	v_bfe_u32 v5, v4, 16, 1
	s_delay_alu instid0(VALU_DEP_1)
	v_add3_u32 v26, v4, v5, 0x7fff
                                        ; implicit-def: $vgpr4
; %bb.1447:                             ;   in Loop: Header=BB8_959 Depth=2
	s_and_not1_saveexec_b32 s14, s14
; %bb.1448:                             ;   in Loop: Header=BB8_959 Depth=2
	v_and_b32_e32 v5, 0xffff, v4
	v_or_b32_e32 v26, 0x10000, v4
	s_delay_alu instid0(VALU_DEP_2) | instskip(NEXT) | instid1(VALU_DEP_2)
	v_cmp_eq_u32_e32 vcc_lo, 0, v5
	v_cndmask_b32_e32 v26, v26, v4, vcc_lo
; %bb.1449:                             ;   in Loop: Header=BB8_959 Depth=2
	s_or_b32 exec_lo, exec_lo, s14
	v_mul_f32_e32 v4, v37, v29
	s_mov_b32 s14, exec_lo
                                        ; implicit-def: $vgpr27
	s_delay_alu instid0(VALU_DEP_1) | instskip(NEXT) | instid1(VALU_DEP_1)
	v_and_b32_e32 v5, 0x7f800000, v4
	v_cmpx_ne_u32_e32 0x7f800000, v5
	s_xor_b32 s14, exec_lo, s14
; %bb.1450:                             ;   in Loop: Header=BB8_959 Depth=2
	v_bfe_u32 v5, v4, 16, 1
	s_delay_alu instid0(VALU_DEP_1)
	v_add3_u32 v27, v4, v5, 0x7fff
                                        ; implicit-def: $vgpr4
; %bb.1451:                             ;   in Loop: Header=BB8_959 Depth=2
	s_and_not1_saveexec_b32 s14, s14
; %bb.1452:                             ;   in Loop: Header=BB8_959 Depth=2
	v_and_b32_e32 v5, 0xffff, v4
	v_or_b32_e32 v27, 0x10000, v4
	s_delay_alu instid0(VALU_DEP_2) | instskip(NEXT) | instid1(VALU_DEP_2)
	v_cmp_eq_u32_e32 vcc_lo, 0, v5
	v_cndmask_b32_e32 v27, v27, v4, vcc_lo
; %bb.1453:                             ;   in Loop: Header=BB8_959 Depth=2
	s_or_b32 exec_lo, exec_lo, s14
	v_mul_f32_e32 v4, v25, v28
	s_mov_b32 s14, exec_lo
                                        ; implicit-def: $vgpr25
	s_delay_alu instid0(VALU_DEP_1) | instskip(NEXT) | instid1(VALU_DEP_1)
	v_and_b32_e32 v5, 0x7f800000, v4
	v_cmpx_ne_u32_e32 0x7f800000, v5
	s_xor_b32 s14, exec_lo, s14
; %bb.1454:                             ;   in Loop: Header=BB8_959 Depth=2
	v_bfe_u32 v5, v4, 16, 1
	s_delay_alu instid0(VALU_DEP_1)
	v_add3_u32 v25, v4, v5, 0x7fff
                                        ; implicit-def: $vgpr4
; %bb.1455:                             ;   in Loop: Header=BB8_959 Depth=2
	s_and_not1_saveexec_b32 s14, s14
; %bb.1456:                             ;   in Loop: Header=BB8_959 Depth=2
	v_and_b32_e32 v5, 0xffff, v4
	v_or_b32_e32 v25, 0x10000, v4
	s_delay_alu instid0(VALU_DEP_2) | instskip(NEXT) | instid1(VALU_DEP_2)
	v_cmp_eq_u32_e32 vcc_lo, 0, v5
	v_cndmask_b32_e32 v25, v25, v4, vcc_lo
; %bb.1457:                             ;   in Loop: Header=BB8_959 Depth=2
	s_or_b32 exec_lo, exec_lo, s14
	v_mul_f32_e32 v4, v24, v23
	s_mov_b32 s14, exec_lo
                                        ; implicit-def: $vgpr23
	s_delay_alu instid0(VALU_DEP_1) | instskip(NEXT) | instid1(VALU_DEP_1)
	v_and_b32_e32 v5, 0x7f800000, v4
	v_cmpx_ne_u32_e32 0x7f800000, v5
	s_xor_b32 s14, exec_lo, s14
; %bb.1458:                             ;   in Loop: Header=BB8_959 Depth=2
	v_bfe_u32 v5, v4, 16, 1
	s_delay_alu instid0(VALU_DEP_1)
	v_add3_u32 v23, v4, v5, 0x7fff
                                        ; implicit-def: $vgpr4
; %bb.1459:                             ;   in Loop: Header=BB8_959 Depth=2
	s_and_not1_saveexec_b32 s14, s14
; %bb.1460:                             ;   in Loop: Header=BB8_959 Depth=2
	v_and_b32_e32 v5, 0xffff, v4
	v_or_b32_e32 v23, 0x10000, v4
	s_delay_alu instid0(VALU_DEP_2) | instskip(NEXT) | instid1(VALU_DEP_2)
	v_cmp_eq_u32_e32 vcc_lo, 0, v5
	v_cndmask_b32_e32 v23, v23, v4, vcc_lo
; %bb.1461:                             ;   in Loop: Header=BB8_959 Depth=2
	s_or_b32 exec_lo, exec_lo, s14
	v_mul_f32_e32 v5, v22, v21
	s_delay_alu instid0(VALU_DEP_1) | instskip(NEXT) | instid1(VALU_DEP_1)
	v_and_b32_e32 v4, 0x7f800000, v5
	v_cmp_ne_u32_e32 vcc_lo, 0x7f800000, v4
                                        ; implicit-def: $vgpr4
	s_and_saveexec_b32 s14, vcc_lo
	s_delay_alu instid0(SALU_CYCLE_1)
	s_xor_b32 s14, exec_lo, s14
; %bb.1462:                             ;   in Loop: Header=BB8_959 Depth=2
	v_bfe_u32 v4, v5, 16, 1
	s_delay_alu instid0(VALU_DEP_1)
	v_add3_u32 v4, v5, v4, 0x7fff
                                        ; implicit-def: $vgpr5
; %bb.1463:                             ;   in Loop: Header=BB8_959 Depth=2
	s_and_not1_saveexec_b32 s14, s14
; %bb.1464:                             ;   in Loop: Header=BB8_959 Depth=2
	v_and_b32_e32 v4, 0xffff, v5
	v_or_b32_e32 v21, 0x10000, v5
	s_delay_alu instid0(VALU_DEP_2) | instskip(NEXT) | instid1(VALU_DEP_2)
	v_cmp_eq_u32_e32 vcc_lo, 0, v4
	v_cndmask_b32_e32 v4, v21, v5, vcc_lo
; %bb.1465:                             ;   in Loop: Header=BB8_959 Depth=2
	s_or_b32 exec_lo, exec_lo, s14
	v_mul_f32_e32 v12, v13, v12
	s_delay_alu instid0(VALU_DEP_1) | instskip(NEXT) | instid1(VALU_DEP_1)
	v_and_b32_e32 v5, 0x7f800000, v12
	v_cmp_ne_u32_e32 vcc_lo, 0x7f800000, v5
                                        ; implicit-def: $vgpr5
	s_and_saveexec_b32 s14, vcc_lo
	s_delay_alu instid0(SALU_CYCLE_1)
	s_xor_b32 s14, exec_lo, s14
; %bb.1466:                             ;   in Loop: Header=BB8_959 Depth=2
	v_bfe_u32 v5, v12, 16, 1
	s_delay_alu instid0(VALU_DEP_1)
	v_add3_u32 v5, v12, v5, 0x7fff
                                        ; implicit-def: $vgpr12
; %bb.1467:                             ;   in Loop: Header=BB8_959 Depth=2
	s_and_not1_saveexec_b32 s14, s14
; %bb.1468:                             ;   in Loop: Header=BB8_959 Depth=2
	v_and_b32_e32 v5, 0xffff, v12
	v_or_b32_e32 v13, 0x10000, v12
	s_delay_alu instid0(VALU_DEP_2) | instskip(NEXT) | instid1(VALU_DEP_2)
	v_cmp_eq_u32_e32 vcc_lo, 0, v5
	v_cndmask_b32_e32 v5, v13, v12, vcc_lo
; %bb.1469:                             ;   in Loop: Header=BB8_959 Depth=2
	s_or_b32 exec_lo, exec_lo, s14
	v_dual_lshrrev_b32 v13, 16, v25 :: v_dual_lshrrev_b32 v14, 16, v14
	v_dual_lshrrev_b32 v15, 16, v15 :: v_dual_lshrrev_b32 v21, 16, v26
	s_delay_alu instid0(VALU_DEP_3)
	v_dual_lshrrev_b32 v22, 16, v27 :: v_dual_lshrrev_b32 v5, 16, v5
	v_dual_lshrrev_b32 v4, 16, v4 :: v_dual_lshrrev_b32 v12, 16, v23
	s_clause 0x7
	flat_store_b16 v[10:11], v14 th:TH_STORE_NT
	flat_store_b16 v[10:11], v15 offset:64 th:TH_STORE_NT
	flat_store_b16 v[10:11], v21 offset:128 th:TH_STORE_NT
	;; [unrolled: 1-line block ×7, first 2 shown]
	s_clause 0x7
	flat_store_b16 v[8:9], v14 th:TH_STORE_NT
	flat_store_b16 v[8:9], v15 offset:64 th:TH_STORE_NT
	flat_store_b16 v[8:9], v21 offset:128 th:TH_STORE_NT
	;; [unrolled: 1-line block ×7, first 2 shown]
.LBB8_1470:                             ;   in Loop: Header=BB8_959 Depth=2
	s_wait_xcnt 0x0
	s_or_b32 exec_lo, exec_lo, s13
	v_lshlrev_b32_e32 v4, 9, v20
	s_delay_alu instid0(VALU_DEP_1)
	v_cmp_ne_u32_e32 vcc_lo, v16, v4
	s_and_b32 exec_lo, exec_lo, vcc_lo
	s_cbranch_execz .LBB8_1502
; %bb.1471:                             ;   in Loop: Header=BB8_959 Depth=2
	v_lshlrev_b32_e32 v5, 5, v19
	s_delay_alu instid0(VALU_DEP_1) | instskip(NEXT) | instid1(VALU_DEP_1)
	v_sub_nc_u32_e32 v5, v18, v5
	v_ashrrev_i32_e32 v8, 31, v5
	s_delay_alu instid0(VALU_DEP_1) | instskip(NEXT) | instid1(VALU_DEP_1)
	v_lshrrev_b32_e32 v8, 27, v8
	v_add_nc_u32_e32 v8, v5, v8
	s_delay_alu instid0(VALU_DEP_1) | instskip(NEXT) | instid1(VALU_DEP_1)
	v_and_b32_e32 v9, 0x7fffffe0, v8
	v_dual_lshlrev_b32 v8, 1, v8 :: v_dual_sub_nc_u32 v5, v5, v9
	s_delay_alu instid0(VALU_DEP_1) | instskip(NEXT) | instid1(VALU_DEP_2)
	v_and_b32_e32 v8, 0xffffffc0, v8
	v_lshlrev_b32_e32 v5, 1, v5
	s_delay_alu instid0(VALU_DEP_1) | instskip(NEXT) | instid1(VALU_DEP_1)
	v_add3_u32 v4, v8, v5, v4
	v_sub_nc_u32_e32 v16, v16, v4
	s_delay_alu instid0(VALU_DEP_1)
	v_cmp_lt_i32_e32 vcc_lo, 1, v16
	s_and_b32 exec_lo, exec_lo, vcc_lo
	s_cbranch_execz .LBB8_1502
; %bb.1472:                             ;   in Loop: Header=BB8_959 Depth=2
	s_trap 2
	ds_load_b64 v[14:15], v0
	v_add_nc_u32_e32 v4, v4, v17
	s_mov_b32 s78, 0
	s_mov_b32 s76, 0
                                        ; implicit-def: $sgpr77
	s_delay_alu instid0(VALU_DEP_1) | instskip(NEXT) | instid1(VALU_DEP_1)
	v_ashrrev_i32_e32 v5, 31, v4
	v_add_nc_u64_e32 v[8:9], v[88:89], v[4:5]
	v_add_nc_u64_e32 v[10:11], v[90:91], v[4:5]
	;; [unrolled: 1-line block ×3, first 2 shown]
	s_wait_dscnt 0x0
	v_add_nc_u64_e32 v[14:15], v[14:15], v[4:5]
	s_branch .LBB8_1474
.LBB8_1473:                             ;   in Loop: Header=BB8_1474 Depth=3
	s_or_b32 exec_lo, exec_lo, s13
	s_delay_alu instid0(VALU_DEP_1) | instskip(SKIP_3) | instid1(SALU_CYCLE_1)
	v_cmp_gt_i32_e32 vcc_lo, 2, v16
	s_or_b32 s76, vcc_lo, s76
	s_and_not1_b32 s13, s77, exec_lo
	s_and_b32 s14, s78, exec_lo
	s_or_b32 s77, s13, s14
	s_and_not1_b32 exec_lo, exec_lo, s76
	s_cbranch_execz .LBB8_1495
.LBB8_1474:                             ;   Parent Loop BB8_47 Depth=1
                                        ;     Parent Loop BB8_959 Depth=2
                                        ; =>    This Loop Header: Depth=3
                                        ;         Child Loop BB8_1475 Depth 4
                                        ;         Child Loop BB8_1482 Depth 4
	;; [unrolled: 1-line block ×4, first 2 shown]
	s_add_co_i32 s13, s33, 0xc0
	s_mov_b64 s[40:41], 0
	s_mov_b32 s79, s13
	s_mov_b32 s88, -1
.LBB8_1475:                             ;   Parent Loop BB8_47 Depth=1
                                        ;     Parent Loop BB8_959 Depth=2
                                        ;       Parent Loop BB8_1474 Depth=3
                                        ; =>      This Inner Loop Header: Depth=4
	s_cmp_eq_u32 s40, 1
	s_cselect_b32 vcc_lo, -1, 0
	s_cmp_eq_u32 s40, 0
	v_dual_cndmask_b32 v5, v13, v15 :: v_dual_cndmask_b32 v4, v12, v14
	s_cselect_b32 s13, -1, 0
	s_and_b32 s14, exec_lo, s88
	s_mov_b64 s[40:41], 1
	s_mov_b32 s88, 0
	flat_load_u16 v17, v[4:5] th:TH_LOAD_NT
	s_wait_xcnt 0x0
	v_add_nc_u64_e32 v[4:5], 64, v[4:5]
	s_delay_alu instid0(VALU_DEP_1)
	v_dual_cndmask_b32 v13, v13, v5, s13 :: v_dual_cndmask_b32 v12, v12, v4, s13
	v_dual_cndmask_b32 v15, v15, v5 :: v_dual_cndmask_b32 v14, v14, v4
	s_add_co_i32 s13, s33, 0xe0
	s_mov_b32 vcc_lo, s14
	s_wait_loadcnt_dscnt 0x0
	scratch_store_b16 off, v17, s79
	s_wait_xcnt 0x0
	s_mov_b32 s79, s13
	s_cbranch_vccnz .LBB8_1475
; %bb.1476:                             ;   in Loop: Header=BB8_1474 Depth=3
	s_and_saveexec_b32 s79, s78
	s_cbranch_execz .LBB8_1484
; %bb.1477:                             ;   in Loop: Header=BB8_1474 Depth=3
	s_clause 0x1
	scratch_load_u16 v4, off, s33 offset:188
	scratch_load_u16 v5, off, s33 offset:190
	s_wait_loadcnt 0x0
	v_dual_lshlrev_b32 v4, 16, v4 :: v_dual_lshlrev_b32 v5, 16, v5
	s_delay_alu instid0(VALU_DEP_1) | instskip(NEXT) | instid1(VALU_DEP_1)
	v_mul_f32_e32 v4, v5, v4
	v_and_b32_e32 v5, 0x7f800000, v4
	s_delay_alu instid0(VALU_DEP_1) | instskip(SKIP_2) | instid1(SALU_CYCLE_1)
	v_cmp_ne_u32_e32 vcc_lo, 0x7f800000, v5
                                        ; implicit-def: $vgpr5
	s_wait_xcnt 0x0
	s_and_saveexec_b32 s13, vcc_lo
	s_xor_b32 s13, exec_lo, s13
; %bb.1478:                             ;   in Loop: Header=BB8_1474 Depth=3
	v_bfe_u32 v5, v4, 16, 1
	s_delay_alu instid0(VALU_DEP_1)
	v_add3_u32 v5, v4, v5, 0x7fff
                                        ; implicit-def: $vgpr4
; %bb.1479:                             ;   in Loop: Header=BB8_1474 Depth=3
	s_and_not1_saveexec_b32 s13, s13
; %bb.1480:                             ;   in Loop: Header=BB8_1474 Depth=3
	v_and_b32_e32 v5, 0xffff, v4
	v_or_b32_e32 v17, 0x10000, v4
	s_delay_alu instid0(VALU_DEP_2) | instskip(NEXT) | instid1(VALU_DEP_2)
	v_cmp_eq_u32_e32 vcc_lo, 0, v5
	v_cndmask_b32_e32 v5, v17, v4, vcc_lo
; %bb.1481:                             ;   in Loop: Header=BB8_1474 Depth=3
	s_or_b32 exec_lo, exec_lo, s13
	s_delay_alu instid0(VALU_DEP_1)
	v_lshrrev_b32_e32 v4, 16, v5
	s_mov_b64 s[40:41], 0
	s_mov_b32 s78, -1
	scratch_store_b16 off, v4, s33 offset:188
.LBB8_1482:                             ;   Parent Loop BB8_47 Depth=1
                                        ;     Parent Loop BB8_959 Depth=2
                                        ;       Parent Loop BB8_1474 Depth=3
                                        ; =>      This Inner Loop Header: Depth=4
	s_cmp_eq_u32 s40, 1
	s_cselect_b32 vcc_lo, -1, 0
	s_cmp_eq_u32 s40, 0
	s_wait_xcnt 0x0
	v_dual_cndmask_b32 v19, v9, v11 :: v_dual_cndmask_b32 v18, v8, v10
	s_cselect_b32 s13, -1, 0
	s_and_b32 s14, exec_lo, s78
	s_mov_b64 s[40:41], 1
	s_mov_b32 s78, 0
	v_add_nc_u64_e32 v[20:21], 64, v[18:19]
	flat_store_b16 v[18:19], v4 th:TH_STORE_NT
	v_dual_cndmask_b32 v11, v11, v21 :: v_dual_cndmask_b32 v10, v10, v20
	v_dual_cndmask_b32 v9, v9, v21, s13 :: v_dual_cndmask_b32 v8, v8, v20, s13
	s_mov_b32 vcc_lo, s14
	s_cbranch_vccnz .LBB8_1482
; %bb.1483:                             ;   in Loop: Header=BB8_1474 Depth=3
	s_delay_alu instid0(VALU_DEP_1)
	v_add_nc_u64_e32 v[8:9], v[8:9], v[114:115]
	v_add_nc_u64_e32 v[10:11], v[10:11], v[114:115]
.LBB8_1484:                             ;   in Loop: Header=BB8_1474 Depth=3
	s_wait_xcnt 0x0
	s_or_b32 exec_lo, exec_lo, s79
	v_sub_nc_u32_e32 v16, v16, v123
	v_add_nc_u64_e32 v[12:13], v[12:13], v[114:115]
	v_add_nc_u64_e32 v[14:15], v[14:15], v[114:115]
	s_delay_alu instid0(VALU_DEP_3)
	v_cmp_lt_i32_e64 s78, 1, v16
	s_and_saveexec_b32 s79, s78
	s_cbranch_execz .LBB8_1487
; %bb.1485:                             ;   in Loop: Header=BB8_1474 Depth=3
	s_add_co_i32 s13, s33, 0xbc
	s_mov_b64 s[40:41], 0
	s_mov_b32 s88, s13
	s_mov_b32 s89, -1
.LBB8_1486:                             ;   Parent Loop BB8_47 Depth=1
                                        ;     Parent Loop BB8_959 Depth=2
                                        ;       Parent Loop BB8_1474 Depth=3
                                        ; =>      This Inner Loop Header: Depth=4
	s_cmp_eq_u32 s40, 1
	s_cselect_b32 vcc_lo, -1, 0
	s_cmp_eq_u32 s40, 0
	v_dual_cndmask_b32 v5, v13, v15 :: v_dual_cndmask_b32 v4, v12, v14
	s_cselect_b32 s13, -1, 0
	s_and_b32 s14, exec_lo, s89
	s_mov_b64 s[40:41], 1
	s_mov_b32 s89, 0
	flat_load_u16 v17, v[4:5] th:TH_LOAD_NT
	s_wait_xcnt 0x0
	v_add_nc_u64_e32 v[4:5], 64, v[4:5]
	s_delay_alu instid0(VALU_DEP_1)
	v_dual_cndmask_b32 v13, v13, v5, s13 :: v_dual_cndmask_b32 v12, v12, v4, s13
	v_dual_cndmask_b32 v15, v15, v5 :: v_dual_cndmask_b32 v14, v14, v4
	s_add_co_i32 s13, s33, 0xbe
	s_mov_b32 vcc_lo, s14
	s_wait_loadcnt_dscnt 0x0
	scratch_store_b16 off, v17, s88
	s_wait_xcnt 0x0
	s_mov_b32 s88, s13
	s_cbranch_vccnz .LBB8_1486
.LBB8_1487:                             ;   in Loop: Header=BB8_1474 Depth=3
	s_or_b32 exec_lo, exec_lo, s79
	s_clause 0x1
	scratch_load_u16 v4, off, s33 offset:192
	scratch_load_u16 v5, off, s33 offset:224
	s_wait_loadcnt 0x0
	v_dual_lshlrev_b32 v4, 16, v4 :: v_dual_lshlrev_b32 v5, 16, v5
	s_delay_alu instid0(VALU_DEP_1) | instskip(NEXT) | instid1(VALU_DEP_1)
	v_mul_f32_e32 v4, v5, v4
	v_and_b32_e32 v5, 0x7f800000, v4
	s_delay_alu instid0(VALU_DEP_1) | instskip(SKIP_2) | instid1(SALU_CYCLE_1)
	v_cmp_ne_u32_e32 vcc_lo, 0x7f800000, v5
                                        ; implicit-def: $vgpr5
	s_wait_xcnt 0x0
	s_and_saveexec_b32 s13, vcc_lo
	s_xor_b32 s13, exec_lo, s13
; %bb.1488:                             ;   in Loop: Header=BB8_1474 Depth=3
	v_bfe_u32 v5, v4, 16, 1
	s_delay_alu instid0(VALU_DEP_1)
	v_add3_u32 v5, v4, v5, 0x7fff
                                        ; implicit-def: $vgpr4
; %bb.1489:                             ;   in Loop: Header=BB8_1474 Depth=3
	s_and_not1_saveexec_b32 s13, s13
; %bb.1490:                             ;   in Loop: Header=BB8_1474 Depth=3
	v_and_b32_e32 v5, 0xffff, v4
	v_or_b32_e32 v17, 0x10000, v4
	s_delay_alu instid0(VALU_DEP_2) | instskip(NEXT) | instid1(VALU_DEP_2)
	v_cmp_eq_u32_e32 vcc_lo, 0, v5
	v_cndmask_b32_e32 v5, v17, v4, vcc_lo
; %bb.1491:                             ;   in Loop: Header=BB8_1474 Depth=3
	s_or_b32 exec_lo, exec_lo, s13
	s_delay_alu instid0(VALU_DEP_1)
	v_lshrrev_b32_e32 v4, 16, v5
	s_mov_b64 s[40:41], 0
	s_mov_b32 s79, -1
	scratch_store_b16 off, v4, s33 offset:192
.LBB8_1492:                             ;   Parent Loop BB8_47 Depth=1
                                        ;     Parent Loop BB8_959 Depth=2
                                        ;       Parent Loop BB8_1474 Depth=3
                                        ; =>      This Inner Loop Header: Depth=4
	s_cmp_eq_u32 s40, 1
	s_cselect_b32 vcc_lo, -1, 0
	s_cmp_eq_u32 s40, 0
	s_wait_xcnt 0x0
	v_dual_cndmask_b32 v19, v9, v11 :: v_dual_cndmask_b32 v18, v8, v10
	s_cselect_b32 s13, -1, 0
	s_and_b32 s14, exec_lo, s79
	s_mov_b64 s[40:41], 1
	s_mov_b32 s79, 0
	v_add_nc_u64_e32 v[20:21], 64, v[18:19]
	flat_store_b16 v[18:19], v4 th:TH_STORE_NT
	v_dual_cndmask_b32 v11, v11, v21 :: v_dual_cndmask_b32 v10, v10, v20
	v_dual_cndmask_b32 v9, v9, v21, s13 :: v_dual_cndmask_b32 v8, v8, v20, s13
	s_mov_b32 vcc_lo, s14
	s_cbranch_vccnz .LBB8_1492
; %bb.1493:                             ;   in Loop: Header=BB8_1474 Depth=3
	s_wait_xcnt 0x0
	s_and_saveexec_b32 s13, s78
	s_cbranch_execz .LBB8_1473
; %bb.1494:                             ;   in Loop: Header=BB8_1474 Depth=3
	v_add_nc_u64_e32 v[8:9], v[8:9], v[114:115]
	v_add_nc_u64_e32 v[10:11], v[10:11], v[114:115]
	v_add_nc_u64_e32 v[12:13], v[12:13], v[114:115]
	v_add_nc_u64_e32 v[14:15], v[14:15], v[114:115]
	v_sub_nc_u32_e32 v16, v16, v123
	s_branch .LBB8_1473
.LBB8_1495:                             ;   in Loop: Header=BB8_959 Depth=2
	s_or_b32 exec_lo, exec_lo, s76
	s_delay_alu instid0(SALU_CYCLE_1)
	s_and_b32 exec_lo, exec_lo, s77
	s_cbranch_execz .LBB8_1502
; %bb.1496:                             ;   in Loop: Header=BB8_959 Depth=2
	s_clause 0x1
	scratch_load_u16 v4, off, s33 offset:188
	scratch_load_u16 v5, off, s33 offset:190
	s_wait_loadcnt 0x0
	v_dual_lshlrev_b32 v4, 16, v4 :: v_dual_lshlrev_b32 v5, 16, v5
	s_delay_alu instid0(VALU_DEP_1) | instskip(NEXT) | instid1(VALU_DEP_1)
	v_mul_f32_e32 v4, v5, v4
	v_and_b32_e32 v5, 0x7f800000, v4
	s_delay_alu instid0(VALU_DEP_1) | instskip(SKIP_2) | instid1(SALU_CYCLE_1)
	v_cmp_ne_u32_e32 vcc_lo, 0x7f800000, v5
                                        ; implicit-def: $vgpr5
	s_wait_xcnt 0x0
	s_and_saveexec_b32 s13, vcc_lo
	s_xor_b32 s13, exec_lo, s13
; %bb.1497:                             ;   in Loop: Header=BB8_959 Depth=2
	v_bfe_u32 v5, v4, 16, 1
	s_delay_alu instid0(VALU_DEP_1)
	v_add3_u32 v5, v4, v5, 0x7fff
                                        ; implicit-def: $vgpr4
; %bb.1498:                             ;   in Loop: Header=BB8_959 Depth=2
	s_and_not1_saveexec_b32 s13, s13
; %bb.1499:                             ;   in Loop: Header=BB8_959 Depth=2
	v_and_b32_e32 v5, 0xffff, v4
	v_or_b32_e32 v12, 0x10000, v4
	s_delay_alu instid0(VALU_DEP_2) | instskip(NEXT) | instid1(VALU_DEP_2)
	v_cmp_eq_u32_e32 vcc_lo, 0, v5
	v_cndmask_b32_e32 v5, v12, v4, vcc_lo
; %bb.1500:                             ;   in Loop: Header=BB8_959 Depth=2
	s_or_b32 exec_lo, exec_lo, s13
	s_delay_alu instid0(VALU_DEP_1)
	v_lshrrev_b32_e32 v4, 16, v5
	s_mov_b64 s[40:41], 0
	s_mov_b32 s76, -1
.LBB8_1501:                             ;   Parent Loop BB8_47 Depth=1
                                        ;     Parent Loop BB8_959 Depth=2
                                        ; =>    This Inner Loop Header: Depth=3
	s_cmp_eq_u32 s40, 1
	s_cselect_b32 vcc_lo, -1, 0
	s_cmp_eq_u32 s40, 0
	s_wait_xcnt 0x0
	v_dual_cndmask_b32 v13, v9, v11 :: v_dual_cndmask_b32 v12, v8, v10
	s_cselect_b32 s13, -1, 0
	s_and_b32 s14, exec_lo, s76
	s_mov_b64 s[40:41], 1
	s_mov_b32 s76, 0
	v_add_nc_u64_e32 v[14:15], 64, v[12:13]
	flat_store_b16 v[12:13], v4 th:TH_STORE_NT
	v_dual_cndmask_b32 v11, v11, v15 :: v_dual_cndmask_b32 v10, v10, v14
	v_dual_cndmask_b32 v9, v9, v15, s13 :: v_dual_cndmask_b32 v8, v8, v14, s13
	s_mov_b32 vcc_lo, s14
	s_cbranch_vccnz .LBB8_1501
.LBB8_1502:                             ;   in Loop: Header=BB8_959 Depth=2
	s_wait_xcnt 0x0
	s_or_b32 exec_lo, exec_lo, s15
	s_mov_b32 s13, 0
.LBB8_1503:                             ;   in Loop: Header=BB8_959 Depth=2
	s_delay_alu instid0(SALU_CYCLE_1)
	s_and_b32 vcc_lo, exec_lo, s13
	s_cbranch_vccz .LBB8_1645
; %bb.1504:                             ;   in Loop: Header=BB8_959 Depth=2
	s_mov_b32 s13, -1
	s_and_saveexec_b32 s14, s12
	s_cbranch_execz .LBB8_1506
; %bb.1505:                             ;   in Loop: Header=BB8_959 Depth=2
	ds_load_b32 v4, v0 offset:720
	s_wait_dscnt 0x0
	v_and_b32_e32 v4, 15, v4
	s_delay_alu instid0(VALU_DEP_1)
	v_cmp_eq_u32_e32 vcc_lo, 0, v4
	s_or_not1_b32 s13, vcc_lo, exec_lo
.LBB8_1506:                             ;   in Loop: Header=BB8_959 Depth=2
	s_or_b32 exec_lo, exec_lo, s14
	s_and_saveexec_b32 s14, s7
	s_cbranch_execz .LBB8_1508
; %bb.1507:                             ;   in Loop: Header=BB8_959 Depth=2
	ds_load_b32 v4, v0 offset:784
	s_wait_dscnt 0x0
	v_and_b32_e32 v4, 15, v4
	s_delay_alu instid0(VALU_DEP_1) | instskip(SKIP_3) | instid1(SALU_CYCLE_1)
	v_cmp_eq_u32_e32 vcc_lo, 0, v4
	s_and_b32 s15, s13, vcc_lo
	s_and_not1_b32 s13, s13, exec_lo
	s_and_b32 s15, s15, exec_lo
	s_or_b32 s13, s13, s15
.LBB8_1508:                             ;   in Loop: Header=BB8_959 Depth=2
	s_or_b32 exec_lo, exec_lo, s14
	s_xor_b32 s13, s13, -1
	s_delay_alu instid0(SALU_CYCLE_1) | instskip(SKIP_1) | instid1(VALU_DEP_1)
	v_cndmask_b32_e64 v4, 0, 1, s13
	s_mov_b32 s13, -1
	v_cmp_ne_u32_e32 vcc_lo, 0, v4
	s_cbranch_vccz .LBB8_1646
; %bb.1509:                             ;   in Loop: Header=BB8_959 Depth=2
	s_mov_b32 s76, -1
	v_mov_b32_e32 v14, 0
	s_cbranch_execnz .LBB8_1647
.LBB8_1510:                             ;   in Loop: Header=BB8_959 Depth=2
	v_ashrrev_i32_e32 v4, 31, v73
	v_add_nc_u64_e32 v[90:91], v[88:89], v[46:47]
	s_mov_b32 s14, 0
	s_mov_b32 s13, exec_lo
                                        ; implicit-def: $vgpr20_vgpr21
                                        ; implicit-def: $vgpr16_vgpr17
                                        ; implicit-def: $vgpr12_vgpr13
                                        ; implicit-def: $vgpr8_vgpr9
	s_delay_alu instid0(VALU_DEP_2) | instskip(NEXT) | instid1(VALU_DEP_1)
	v_lshrrev_b32_e32 v4, 22, v4
	v_add_nc_u32_e32 v4, v73, v4
	s_delay_alu instid0(VALU_DEP_1) | instskip(NEXT) | instid1(VALU_DEP_1)
	v_ashrrev_i32_e32 v75, 10, v4
	v_sub_nc_u32_e32 v106, v75, v124
	s_delay_alu instid0(VALU_DEP_1)
	v_cmpx_lt_i32_e32 0, v106
	s_cbranch_execz .LBB8_1649
; %bb.1511:                             ;   in Loop: Header=BB8_959 Depth=2
	s_trap 2
	ds_load_b64 v[4:5], v0
	v_add_nc_u64_e32 v[92:93], v[78:79], v[46:47]
	s_mov_b32 s40, 0
                                        ; implicit-def: $sgpr15
                                        ; implicit-def: $vgpr10_vgpr11
                                        ; implicit-def: $vgpr14_vgpr15
                                        ; implicit-def: $vgpr18_vgpr19
                                        ; implicit-def: $vgpr22_vgpr23
	s_wait_dscnt 0x0
	v_add_nc_u64_e32 v[94:95], v[4:5], v[46:47]
	s_branch .LBB8_1513
.LBB8_1512:                             ;   in Loop: Header=BB8_1513 Depth=3
	s_or_b32 exec_lo, exec_lo, s41
	v_dual_lshrrev_b32 v24, 16, v53 :: v_dual_lshrrev_b32 v25, 16, v52
	v_dual_lshrrev_b32 v27, 16, v104 :: v_dual_lshrrev_b32 v37, 16, v50
	v_lshrrev_b32_e32 v4, 16, v4
	s_delay_alu instid0(VALU_DEP_3) | instskip(SKIP_1) | instid1(VALU_DEP_4)
	v_and_or_b32 v35, 0xffff0000, v49, v24
	v_lshrrev_b32_e32 v24, 16, v29
	v_and_or_b32 v36, 0xffff0000, v38, v27
	v_dual_lshrrev_b32 v27, 16, v51 :: v_dual_lshrrev_b32 v29, 16, v33
	v_and_or_b32 v34, 0xffff0000, v48, v25
	s_delay_alu instid0(VALU_DEP_4) | instskip(SKIP_1) | instid1(VALU_DEP_4)
	v_and_or_b32 v25, 0xffff0000, v32, v24
	v_cndmask_b32_e64 v32, 0, v84, s40
	v_and_or_b32 v24, 0xffff0000, v28, v27
	v_and_or_b32 v27, 0xffff0000, v5, v4
	v_add_nc_u64_e32 v[4:5], v[92:93], v[102:103]
	v_and_or_b32 v26, 0xffff0000, v26, v29
	v_dual_cndmask_b32 v29, 0, v119, s40 :: v_dual_sub_nc_u32 v106, v106, v32
	v_and_or_b32 v37, 0xffff0000, v39, v37
	v_cndmask_b32_e64 v28, 0x400, v118, s40
	v_add_nc_u64_e32 v[32:33], v[94:95], v[102:103]
	v_cndmask_b32_e64 v93, v93, v5, s40
	v_cmp_gt_i32_e32 vcc_lo, 1, v106
	s_clause 0x1
	global_store_b128 v[90:91], v[34:37], off th:TH_STORE_NT
	global_store_b128 v[90:91], v[24:27], off offset:512 th:TH_STORE_NT
	s_wait_xcnt 0x0
	v_add_nc_u64_e32 v[90:91], v[90:91], v[28:29]
	v_dual_cndmask_b32 v92, v92, v4, s40 :: v_dual_cndmask_b32 v95, v95, v33, s40
	v_cndmask_b32_e64 v94, v94, v32, s40
	s_or_b32 s14, vcc_lo, s14
	s_and_not1_b32 s15, s15, exec_lo
	s_and_b32 s41, s40, exec_lo
	s_delay_alu instid0(SALU_CYCLE_1)
	s_or_b32 s15, s15, s41
	s_and_not1_b32 exec_lo, exec_lo, s14
	s_cbranch_execz .LBB8_1648
.LBB8_1513:                             ;   Parent Loop BB8_47 Depth=1
                                        ;     Parent Loop BB8_959 Depth=2
                                        ; =>    This Inner Loop Header: Depth=3
	s_clause 0x1
	global_load_b128 v[36:39], v[92:93], off th:TH_LOAD_NT
	global_load_b128 v[24:27], v[92:93], off offset:512 th:TH_LOAD_NT
	s_clause 0x1
	global_load_b128 v[48:51], v[94:95], off th:TH_LOAD_NT
	global_load_b128 v[32:35], v[94:95], off offset:512 th:TH_LOAD_NT
	s_wait_xcnt 0x0
	s_and_saveexec_b32 s41, s40
	s_cbranch_execz .LBB8_1579
; %bb.1514:                             ;   in Loop: Header=BB8_1513 Depth=3
	v_lshlrev_b32_e32 v4, 16, v20
	v_lshlrev_b32_e32 v5, 16, v16
	s_mov_b32 s40, exec_lo
                                        ; implicit-def: $vgpr107
	s_delay_alu instid0(VALU_DEP_1) | instskip(NEXT) | instid1(VALU_DEP_1)
	v_mul_f32_e32 v4, v4, v5
	v_and_b32_e32 v5, 0x7f800000, v4
	s_delay_alu instid0(VALU_DEP_1)
	v_cmpx_ne_u32_e32 0x7f800000, v5
	s_xor_b32 s40, exec_lo, s40
; %bb.1515:                             ;   in Loop: Header=BB8_1513 Depth=3
	v_bfe_u32 v5, v4, 16, 1
	s_delay_alu instid0(VALU_DEP_1)
	v_add3_u32 v107, v4, v5, 0x7fff
                                        ; implicit-def: $vgpr4
; %bb.1516:                             ;   in Loop: Header=BB8_1513 Depth=3
	s_and_not1_saveexec_b32 s40, s40
; %bb.1517:                             ;   in Loop: Header=BB8_1513 Depth=3
	v_and_b32_e32 v5, 0xffff, v4
	v_or_b32_e32 v28, 0x10000, v4
	s_delay_alu instid0(VALU_DEP_2) | instskip(NEXT) | instid1(VALU_DEP_2)
	v_cmp_eq_u32_e32 vcc_lo, 0, v5
	v_cndmask_b32_e32 v107, v28, v4, vcc_lo
; %bb.1518:                             ;   in Loop: Header=BB8_1513 Depth=3
	s_or_b32 exec_lo, exec_lo, s40
	v_and_b32_e32 v5, 0xffff0000, v20
	v_and_b32_e32 v4, 0xffff0000, v16
	s_mov_b32 s40, exec_lo
                                        ; implicit-def: $vgpr52
	s_delay_alu instid0(VALU_DEP_2) | instskip(NEXT) | instid1(VALU_DEP_1)
	v_mov_b32_e32 v20, v5
	v_pk_mul_f32 v[104:105], v[20:21], v[4:5]
	s_delay_alu instid0(VALU_DEP_1) | instskip(NEXT) | instid1(VALU_DEP_1)
	v_and_b32_e32 v4, 0x7f800000, v104
	v_cmpx_ne_u32_e32 0x7f800000, v4
	s_xor_b32 s40, exec_lo, s40
; %bb.1519:                             ;   in Loop: Header=BB8_1513 Depth=3
	v_bfe_u32 v4, v104, 16, 1
	s_delay_alu instid0(VALU_DEP_1)
	v_add3_u32 v52, v104, v4, 0x7fff
                                        ; implicit-def: $vgpr104_vgpr105
; %bb.1520:                             ;   in Loop: Header=BB8_1513 Depth=3
	s_and_not1_saveexec_b32 s40, s40
; %bb.1521:                             ;   in Loop: Header=BB8_1513 Depth=3
	v_and_b32_e32 v4, 0xffff, v104
	v_or_b32_e32 v5, 0x10000, v104
	s_delay_alu instid0(VALU_DEP_2) | instskip(NEXT) | instid1(VALU_DEP_2)
	v_cmp_eq_u32_e32 vcc_lo, 0, v4
	v_cndmask_b32_e32 v52, v5, v104, vcc_lo
; %bb.1522:                             ;   in Loop: Header=BB8_1513 Depth=3
	s_or_b32 exec_lo, exec_lo, s40
	v_lshlrev_b32_e32 v4, 16, v17
	v_lshlrev_b32_e32 v5, 16, v21
	s_mov_b32 s40, exec_lo
                                        ; implicit-def: $vgpr53
	s_delay_alu instid0(VALU_DEP_1) | instskip(NEXT) | instid1(VALU_DEP_1)
	v_mul_f32_e32 v4, v5, v4
	v_and_b32_e32 v5, 0x7f800000, v4
	s_delay_alu instid0(VALU_DEP_1)
	v_cmpx_ne_u32_e32 0x7f800000, v5
	s_xor_b32 s40, exec_lo, s40
; %bb.1523:                             ;   in Loop: Header=BB8_1513 Depth=3
	v_bfe_u32 v5, v4, 16, 1
	s_delay_alu instid0(VALU_DEP_1)
	v_add3_u32 v53, v4, v5, 0x7fff
                                        ; implicit-def: $vgpr4
; %bb.1524:                             ;   in Loop: Header=BB8_1513 Depth=3
	s_and_not1_saveexec_b32 s40, s40
; %bb.1525:                             ;   in Loop: Header=BB8_1513 Depth=3
	v_and_b32_e32 v5, 0xffff, v4
	v_or_b32_e32 v20, 0x10000, v4
	s_delay_alu instid0(VALU_DEP_2) | instskip(NEXT) | instid1(VALU_DEP_2)
	v_cmp_eq_u32_e32 vcc_lo, 0, v5
	v_cndmask_b32_e32 v53, v20, v4, vcc_lo
; %bb.1526:                             ;   in Loop: Header=BB8_1513 Depth=3
	s_or_b32 exec_lo, exec_lo, s40
	v_and_b32_e32 v5, 0xffff0000, v21
	v_and_b32_e32 v4, 0xffff0000, v17
	s_mov_b32 s40, exec_lo
                                        ; implicit-def: $vgpr104
	s_delay_alu instid0(VALU_DEP_2) | instskip(NEXT) | instid1(VALU_DEP_1)
	v_mov_b32_e32 v20, v5
	v_pk_mul_f32 v[20:21], v[20:21], v[4:5]
	s_delay_alu instid0(VALU_DEP_1) | instskip(NEXT) | instid1(VALU_DEP_1)
	v_and_b32_e32 v4, 0x7f800000, v20
	v_cmpx_ne_u32_e32 0x7f800000, v4
	s_xor_b32 s40, exec_lo, s40
; %bb.1527:                             ;   in Loop: Header=BB8_1513 Depth=3
	v_bfe_u32 v4, v20, 16, 1
	s_delay_alu instid0(VALU_DEP_1)
	v_add3_u32 v104, v20, v4, 0x7fff
                                        ; implicit-def: $vgpr20_vgpr21
; %bb.1528:                             ;   in Loop: Header=BB8_1513 Depth=3
	s_and_not1_saveexec_b32 s40, s40
; %bb.1529:                             ;   in Loop: Header=BB8_1513 Depth=3
	v_and_b32_e32 v4, 0xffff, v20
	v_or_b32_e32 v5, 0x10000, v20
	s_delay_alu instid0(VALU_DEP_2) | instskip(NEXT) | instid1(VALU_DEP_2)
	v_cmp_eq_u32_e32 vcc_lo, 0, v4
	v_cndmask_b32_e32 v104, v5, v20, vcc_lo
; %bb.1530:                             ;   in Loop: Header=BB8_1513 Depth=3
	s_or_b32 exec_lo, exec_lo, s40
	v_lshlrev_b32_e32 v4, 16, v22
	v_lshlrev_b32_e32 v5, 16, v18
	s_mov_b32 s40, exec_lo
                                        ; implicit-def: $vgpr105
	s_delay_alu instid0(VALU_DEP_1) | instskip(NEXT) | instid1(VALU_DEP_1)
	v_mul_f32_e32 v4, v4, v5
	v_and_b32_e32 v5, 0x7f800000, v4
	s_delay_alu instid0(VALU_DEP_1)
	v_cmpx_ne_u32_e32 0x7f800000, v5
	s_xor_b32 s40, exec_lo, s40
; %bb.1531:                             ;   in Loop: Header=BB8_1513 Depth=3
	v_bfe_u32 v5, v4, 16, 1
	s_delay_alu instid0(VALU_DEP_1)
	v_add3_u32 v105, v4, v5, 0x7fff
                                        ; implicit-def: $vgpr4
; %bb.1532:                             ;   in Loop: Header=BB8_1513 Depth=3
	s_and_not1_saveexec_b32 s40, s40
; %bb.1533:                             ;   in Loop: Header=BB8_1513 Depth=3
	v_and_b32_e32 v5, 0xffff, v4
	v_or_b32_e32 v20, 0x10000, v4
	s_delay_alu instid0(VALU_DEP_2) | instskip(NEXT) | instid1(VALU_DEP_2)
	v_cmp_eq_u32_e32 vcc_lo, 0, v5
	v_cndmask_b32_e32 v105, v20, v4, vcc_lo
; %bb.1534:                             ;   in Loop: Header=BB8_1513 Depth=3
	s_or_b32 exec_lo, exec_lo, s40
	v_and_b32_e32 v5, 0xffff0000, v22
	v_and_b32_e32 v4, 0xffff0000, v18
	s_mov_b32 s40, exec_lo
                                        ; implicit-def: $vgpr22
	s_delay_alu instid0(VALU_DEP_2) | instskip(NEXT) | instid1(VALU_DEP_1)
	v_mov_b32_e32 v20, v5
	v_pk_mul_f32 v[20:21], v[20:21], v[4:5]
	s_delay_alu instid0(VALU_DEP_1) | instskip(NEXT) | instid1(VALU_DEP_1)
	v_and_b32_e32 v4, 0x7f800000, v20
	v_cmpx_ne_u32_e32 0x7f800000, v4
	s_xor_b32 s40, exec_lo, s40
; %bb.1535:                             ;   in Loop: Header=BB8_1513 Depth=3
	v_bfe_u32 v4, v20, 16, 1
	s_delay_alu instid0(VALU_DEP_1)
	v_add3_u32 v22, v20, v4, 0x7fff
                                        ; implicit-def: $vgpr20_vgpr21
; %bb.1536:                             ;   in Loop: Header=BB8_1513 Depth=3
	s_and_not1_saveexec_b32 s40, s40
; %bb.1537:                             ;   in Loop: Header=BB8_1513 Depth=3
	v_and_b32_e32 v4, 0xffff, v20
	v_or_b32_e32 v5, 0x10000, v20
	s_delay_alu instid0(VALU_DEP_2) | instskip(NEXT) | instid1(VALU_DEP_2)
	v_cmp_eq_u32_e32 vcc_lo, 0, v4
	v_cndmask_b32_e32 v22, v5, v20, vcc_lo
; %bb.1538:                             ;   in Loop: Header=BB8_1513 Depth=3
	s_or_b32 exec_lo, exec_lo, s40
	v_lshlrev_b32_e32 v4, 16, v19
	v_lshlrev_b32_e32 v5, 16, v23
	s_mov_b32 s40, exec_lo
                                        ; implicit-def: $vgpr108
	s_delay_alu instid0(VALU_DEP_1) | instskip(NEXT) | instid1(VALU_DEP_1)
	v_mul_f32_e32 v4, v5, v4
	v_and_b32_e32 v5, 0x7f800000, v4
	s_delay_alu instid0(VALU_DEP_1)
	v_cmpx_ne_u32_e32 0x7f800000, v5
	s_xor_b32 s40, exec_lo, s40
; %bb.1539:                             ;   in Loop: Header=BB8_1513 Depth=3
	v_bfe_u32 v5, v4, 16, 1
	s_delay_alu instid0(VALU_DEP_1)
	v_add3_u32 v108, v4, v5, 0x7fff
                                        ; implicit-def: $vgpr4
; %bb.1540:                             ;   in Loop: Header=BB8_1513 Depth=3
	s_and_not1_saveexec_b32 s40, s40
; %bb.1541:                             ;   in Loop: Header=BB8_1513 Depth=3
	v_and_b32_e32 v5, 0xffff, v4
	v_or_b32_e32 v20, 0x10000, v4
	s_delay_alu instid0(VALU_DEP_2) | instskip(NEXT) | instid1(VALU_DEP_2)
	v_cmp_eq_u32_e32 vcc_lo, 0, v5
	v_cndmask_b32_e32 v108, v20, v4, vcc_lo
; %bb.1542:                             ;   in Loop: Header=BB8_1513 Depth=3
	s_or_b32 exec_lo, exec_lo, s40
	v_and_b32_e32 v5, 0xffff0000, v23
	v_and_b32_e32 v4, 0xffff0000, v19
	s_mov_b32 s40, exec_lo
                                        ; implicit-def: $vgpr23
	s_delay_alu instid0(VALU_DEP_2) | instskip(NEXT) | instid1(VALU_DEP_1)
	v_mov_b32_e32 v20, v5
	v_pk_mul_f32 v[20:21], v[20:21], v[4:5]
	s_delay_alu instid0(VALU_DEP_1) | instskip(NEXT) | instid1(VALU_DEP_1)
	v_and_b32_e32 v4, 0x7f800000, v20
	v_cmpx_ne_u32_e32 0x7f800000, v4
	s_xor_b32 s40, exec_lo, s40
; %bb.1543:                             ;   in Loop: Header=BB8_1513 Depth=3
	v_bfe_u32 v4, v20, 16, 1
	s_delay_alu instid0(VALU_DEP_1)
	v_add3_u32 v23, v20, v4, 0x7fff
                                        ; implicit-def: $vgpr20_vgpr21
; %bb.1544:                             ;   in Loop: Header=BB8_1513 Depth=3
	s_and_not1_saveexec_b32 s40, s40
; %bb.1545:                             ;   in Loop: Header=BB8_1513 Depth=3
	v_and_b32_e32 v4, 0xffff, v20
	v_or_b32_e32 v5, 0x10000, v20
	s_delay_alu instid0(VALU_DEP_2) | instskip(NEXT) | instid1(VALU_DEP_2)
	v_cmp_eq_u32_e32 vcc_lo, 0, v4
	v_cndmask_b32_e32 v23, v5, v20, vcc_lo
; %bb.1546:                             ;   in Loop: Header=BB8_1513 Depth=3
	s_or_b32 exec_lo, exec_lo, s40
	v_lshlrev_b32_e32 v4, 16, v12
	v_lshlrev_b32_e32 v5, 16, v8
	s_mov_b32 s40, exec_lo
                                        ; implicit-def: $vgpr54
	s_delay_alu instid0(VALU_DEP_1) | instskip(NEXT) | instid1(VALU_DEP_1)
	v_mul_f32_e32 v4, v4, v5
	v_and_b32_e32 v5, 0x7f800000, v4
	s_delay_alu instid0(VALU_DEP_1)
	v_cmpx_ne_u32_e32 0x7f800000, v5
	s_xor_b32 s40, exec_lo, s40
; %bb.1547:                             ;   in Loop: Header=BB8_1513 Depth=3
	v_bfe_u32 v5, v4, 16, 1
	s_delay_alu instid0(VALU_DEP_1)
	v_add3_u32 v54, v4, v5, 0x7fff
                                        ; implicit-def: $vgpr4
; %bb.1548:                             ;   in Loop: Header=BB8_1513 Depth=3
	s_and_not1_saveexec_b32 s40, s40
; %bb.1549:                             ;   in Loop: Header=BB8_1513 Depth=3
	v_and_b32_e32 v5, 0xffff, v4
	v_or_b32_e32 v20, 0x10000, v4
	s_delay_alu instid0(VALU_DEP_2) | instskip(NEXT) | instid1(VALU_DEP_2)
	v_cmp_eq_u32_e32 vcc_lo, 0, v5
	v_cndmask_b32_e32 v54, v20, v4, vcc_lo
; %bb.1550:                             ;   in Loop: Header=BB8_1513 Depth=3
	s_or_b32 exec_lo, exec_lo, s40
	v_and_b32_e32 v5, 0xffff0000, v12
	v_and_b32_e32 v4, 0xffff0000, v8
	s_mov_b32 s40, exec_lo
                                        ; implicit-def: $vgpr55
	s_delay_alu instid0(VALU_DEP_2) | instskip(NEXT) | instid1(VALU_DEP_1)
	v_mov_b32_e32 v12, v5
	v_pk_mul_f32 v[20:21], v[12:13], v[4:5]
	s_delay_alu instid0(VALU_DEP_1) | instskip(NEXT) | instid1(VALU_DEP_1)
	v_and_b32_e32 v4, 0x7f800000, v20
	v_cmpx_ne_u32_e32 0x7f800000, v4
	s_xor_b32 s40, exec_lo, s40
; %bb.1551:                             ;   in Loop: Header=BB8_1513 Depth=3
	v_bfe_u32 v4, v20, 16, 1
	s_delay_alu instid0(VALU_DEP_1)
	v_add3_u32 v55, v20, v4, 0x7fff
                                        ; implicit-def: $vgpr20_vgpr21
; %bb.1552:                             ;   in Loop: Header=BB8_1513 Depth=3
	s_and_not1_saveexec_b32 s40, s40
; %bb.1553:                             ;   in Loop: Header=BB8_1513 Depth=3
	v_and_b32_e32 v4, 0xffff, v20
	v_or_b32_e32 v5, 0x10000, v20
	s_delay_alu instid0(VALU_DEP_2) | instskip(NEXT) | instid1(VALU_DEP_2)
	v_cmp_eq_u32_e32 vcc_lo, 0, v4
	v_cndmask_b32_e32 v55, v5, v20, vcc_lo
; %bb.1554:                             ;   in Loop: Header=BB8_1513 Depth=3
	s_or_b32 exec_lo, exec_lo, s40
	v_lshlrev_b32_e32 v4, 16, v9
	v_lshlrev_b32_e32 v5, 16, v13
	s_mov_b32 s40, exec_lo
                                        ; implicit-def: $vgpr28
	s_delay_alu instid0(VALU_DEP_1) | instskip(NEXT) | instid1(VALU_DEP_1)
	v_mul_f32_e32 v4, v5, v4
	v_and_b32_e32 v5, 0x7f800000, v4
	s_delay_alu instid0(VALU_DEP_1)
	v_cmpx_ne_u32_e32 0x7f800000, v5
	s_xor_b32 s40, exec_lo, s40
; %bb.1555:                             ;   in Loop: Header=BB8_1513 Depth=3
	v_bfe_u32 v5, v4, 16, 1
	s_delay_alu instid0(VALU_DEP_1)
	v_add3_u32 v28, v4, v5, 0x7fff
                                        ; implicit-def: $vgpr4
; %bb.1556:                             ;   in Loop: Header=BB8_1513 Depth=3
	s_and_not1_saveexec_b32 s40, s40
; %bb.1557:                             ;   in Loop: Header=BB8_1513 Depth=3
	v_and_b32_e32 v5, 0xffff, v4
	v_or_b32_e32 v12, 0x10000, v4
	s_delay_alu instid0(VALU_DEP_2) | instskip(NEXT) | instid1(VALU_DEP_2)
	v_cmp_eq_u32_e32 vcc_lo, 0, v5
	v_cndmask_b32_e32 v28, v12, v4, vcc_lo
; %bb.1558:                             ;   in Loop: Header=BB8_1513 Depth=3
	s_or_b32 exec_lo, exec_lo, s40
	v_and_b32_e32 v5, 0xffff0000, v13
	v_and_b32_e32 v4, 0xffff0000, v9
	s_mov_b32 s40, exec_lo
                                        ; implicit-def: $vgpr29
	s_delay_alu instid0(VALU_DEP_2) | instskip(NEXT) | instid1(VALU_DEP_1)
	v_mov_b32_e32 v12, v5
	v_pk_mul_f32 v[12:13], v[12:13], v[4:5]
	s_delay_alu instid0(VALU_DEP_1) | instskip(NEXT) | instid1(VALU_DEP_1)
	v_and_b32_e32 v4, 0x7f800000, v12
	v_cmpx_ne_u32_e32 0x7f800000, v4
	s_xor_b32 s40, exec_lo, s40
; %bb.1559:                             ;   in Loop: Header=BB8_1513 Depth=3
	v_bfe_u32 v4, v12, 16, 1
	s_delay_alu instid0(VALU_DEP_1)
	v_add3_u32 v29, v12, v4, 0x7fff
                                        ; implicit-def: $vgpr12_vgpr13
; %bb.1560:                             ;   in Loop: Header=BB8_1513 Depth=3
	s_and_not1_saveexec_b32 s40, s40
; %bb.1561:                             ;   in Loop: Header=BB8_1513 Depth=3
	v_and_b32_e32 v4, 0xffff, v12
	v_or_b32_e32 v5, 0x10000, v12
	s_delay_alu instid0(VALU_DEP_2) | instskip(NEXT) | instid1(VALU_DEP_2)
	v_cmp_eq_u32_e32 vcc_lo, 0, v4
	v_cndmask_b32_e32 v29, v5, v12, vcc_lo
; %bb.1562:                             ;   in Loop: Header=BB8_1513 Depth=3
	s_or_b32 exec_lo, exec_lo, s40
	v_lshlrev_b32_e32 v4, 16, v14
	v_lshlrev_b32_e32 v5, 16, v10
	s_mov_b32 s40, exec_lo
                                        ; implicit-def: $vgpr98
	s_delay_alu instid0(VALU_DEP_1) | instskip(NEXT) | instid1(VALU_DEP_1)
	v_mul_f32_e32 v4, v4, v5
	v_and_b32_e32 v5, 0x7f800000, v4
	s_delay_alu instid0(VALU_DEP_1)
	v_cmpx_ne_u32_e32 0x7f800000, v5
	s_xor_b32 s40, exec_lo, s40
; %bb.1563:                             ;   in Loop: Header=BB8_1513 Depth=3
	v_bfe_u32 v5, v4, 16, 1
	s_delay_alu instid0(VALU_DEP_1)
	v_add3_u32 v98, v4, v5, 0x7fff
                                        ; implicit-def: $vgpr4
; %bb.1564:                             ;   in Loop: Header=BB8_1513 Depth=3
	s_and_not1_saveexec_b32 s40, s40
; %bb.1565:                             ;   in Loop: Header=BB8_1513 Depth=3
	v_and_b32_e32 v5, 0xffff, v4
	v_or_b32_e32 v12, 0x10000, v4
	s_delay_alu instid0(VALU_DEP_2) | instskip(NEXT) | instid1(VALU_DEP_2)
	v_cmp_eq_u32_e32 vcc_lo, 0, v5
	v_cndmask_b32_e32 v98, v12, v4, vcc_lo
; %bb.1566:                             ;   in Loop: Header=BB8_1513 Depth=3
	s_or_b32 exec_lo, exec_lo, s40
	v_and_b32_e32 v5, 0xffff0000, v14
	v_and_b32_e32 v4, 0xffff0000, v10
	s_mov_b32 s40, exec_lo
                                        ; implicit-def: $vgpr14
	s_delay_alu instid0(VALU_DEP_2) | instskip(NEXT) | instid1(VALU_DEP_1)
	v_mov_b32_e32 v12, v5
	v_pk_mul_f32 v[12:13], v[12:13], v[4:5]
	s_delay_alu instid0(VALU_DEP_1) | instskip(NEXT) | instid1(VALU_DEP_1)
	v_and_b32_e32 v4, 0x7f800000, v12
	v_cmpx_ne_u32_e32 0x7f800000, v4
	s_xor_b32 s40, exec_lo, s40
; %bb.1567:                             ;   in Loop: Header=BB8_1513 Depth=3
	v_bfe_u32 v4, v12, 16, 1
	s_delay_alu instid0(VALU_DEP_1)
	v_add3_u32 v14, v12, v4, 0x7fff
                                        ; implicit-def: $vgpr12_vgpr13
; %bb.1568:                             ;   in Loop: Header=BB8_1513 Depth=3
	s_and_not1_saveexec_b32 s40, s40
; %bb.1569:                             ;   in Loop: Header=BB8_1513 Depth=3
	v_and_b32_e32 v4, 0xffff, v12
	v_or_b32_e32 v5, 0x10000, v12
	s_delay_alu instid0(VALU_DEP_2) | instskip(NEXT) | instid1(VALU_DEP_2)
	v_cmp_eq_u32_e32 vcc_lo, 0, v4
	v_cndmask_b32_e32 v14, v5, v12, vcc_lo
; %bb.1570:                             ;   in Loop: Header=BB8_1513 Depth=3
	s_or_b32 exec_lo, exec_lo, s40
	v_lshlrev_b32_e32 v4, 16, v11
	v_lshlrev_b32_e32 v5, 16, v15
	s_mov_b32 s40, exec_lo
                                        ; implicit-def: $vgpr99
	s_delay_alu instid0(VALU_DEP_1) | instskip(NEXT) | instid1(VALU_DEP_1)
	v_mul_f32_e32 v4, v5, v4
	v_and_b32_e32 v5, 0x7f800000, v4
	s_delay_alu instid0(VALU_DEP_1)
	v_cmpx_ne_u32_e32 0x7f800000, v5
	s_xor_b32 s40, exec_lo, s40
; %bb.1571:                             ;   in Loop: Header=BB8_1513 Depth=3
	v_bfe_u32 v5, v4, 16, 1
	s_delay_alu instid0(VALU_DEP_1)
	v_add3_u32 v99, v4, v5, 0x7fff
                                        ; implicit-def: $vgpr4
; %bb.1572:                             ;   in Loop: Header=BB8_1513 Depth=3
	s_and_not1_saveexec_b32 s40, s40
; %bb.1573:                             ;   in Loop: Header=BB8_1513 Depth=3
	v_and_b32_e32 v5, 0xffff, v4
	v_or_b32_e32 v12, 0x10000, v4
	s_delay_alu instid0(VALU_DEP_2) | instskip(NEXT) | instid1(VALU_DEP_2)
	v_cmp_eq_u32_e32 vcc_lo, 0, v5
	v_cndmask_b32_e32 v99, v12, v4, vcc_lo
; %bb.1574:                             ;   in Loop: Header=BB8_1513 Depth=3
	s_or_b32 exec_lo, exec_lo, s40
	v_and_b32_e32 v5, 0xffff0000, v15
	v_and_b32_e32 v4, 0xffff0000, v11
	s_delay_alu instid0(VALU_DEP_2) | instskip(NEXT) | instid1(VALU_DEP_1)
	v_mov_b32_e32 v12, v5
	v_pk_mul_f32 v[12:13], v[12:13], v[4:5]
	s_delay_alu instid0(VALU_DEP_1) | instskip(NEXT) | instid1(VALU_DEP_1)
	v_and_b32_e32 v4, 0x7f800000, v12
	v_cmp_ne_u32_e32 vcc_lo, 0x7f800000, v4
                                        ; implicit-def: $vgpr4
	s_and_saveexec_b32 s40, vcc_lo
	s_delay_alu instid0(SALU_CYCLE_1)
	s_xor_b32 s40, exec_lo, s40
; %bb.1575:                             ;   in Loop: Header=BB8_1513 Depth=3
	v_bfe_u32 v4, v12, 16, 1
	s_delay_alu instid0(VALU_DEP_1)
	v_add3_u32 v4, v12, v4, 0x7fff
                                        ; implicit-def: $vgpr12_vgpr13
; %bb.1576:                             ;   in Loop: Header=BB8_1513 Depth=3
	s_and_not1_saveexec_b32 s40, s40
; %bb.1577:                             ;   in Loop: Header=BB8_1513 Depth=3
	v_and_b32_e32 v4, 0xffff, v12
	v_or_b32_e32 v5, 0x10000, v12
	s_delay_alu instid0(VALU_DEP_2) | instskip(NEXT) | instid1(VALU_DEP_2)
	v_cmp_eq_u32_e32 vcc_lo, 0, v4
	v_cndmask_b32_e32 v4, v5, v12, vcc_lo
; %bb.1578:                             ;   in Loop: Header=BB8_1513 Depth=3
	s_or_b32 exec_lo, exec_lo, s40
	v_dual_lshrrev_b32 v5, 16, v53 :: v_dual_lshrrev_b32 v12, 16, v107
	v_dual_lshrrev_b32 v13, 16, v105 :: v_dual_lshrrev_b32 v15, 16, v54
	s_delay_alu instid0(VALU_DEP_2) | instskip(SKIP_1) | instid1(VALU_DEP_4)
	v_and_or_b32 v21, 0xffff0000, v104, v5
	v_lshrrev_b32_e32 v5, 16, v108
	v_and_or_b32 v20, 0xffff0000, v52, v12
	v_dual_lshrrev_b32 v12, 16, v28 :: v_dual_lshrrev_b32 v28, 16, v98
	v_lshrrev_b32_e32 v52, 16, v99
	v_and_or_b32 v22, 0xffff0000, v22, v13
	v_and_or_b32 v23, 0xffff0000, v23, v5
	s_delay_alu instid0(VALU_DEP_4)
	v_and_or_b32 v13, 0xffff0000, v29, v12
	v_and_or_b32 v12, 0xffff0000, v55, v15
	;; [unrolled: 1-line block ×4, first 2 shown]
	s_clause 0x1
	global_store_b128 v[90:91], v[20:23], off th:TH_STORE_NT
	global_store_b128 v[90:91], v[12:15], off offset:512 th:TH_STORE_NT
	s_wait_xcnt 0x0
	v_add_nc_u64_e32 v[90:91], v[90:91], v[118:119]
.LBB8_1579:                             ;   in Loop: Header=BB8_1513 Depth=3
	s_or_b32 exec_lo, exec_lo, s41
	v_sub_nc_u32_e32 v106, v106, v84
	v_add_nc_u64_e32 v[92:93], v[92:93], v[118:119]
	v_add_nc_u64_e32 v[94:95], v[94:95], v[118:119]
	s_delay_alu instid0(VALU_DEP_3)
	v_cmp_lt_i32_e64 s40, 0, v106
	s_and_saveexec_b32 s41, s40
	s_cbranch_execz .LBB8_1581
; %bb.1580:                             ;   in Loop: Header=BB8_1513 Depth=3
	s_clause 0x1
	global_load_b128 v[20:23], v[92:93], off th:TH_LOAD_NT
	global_load_b128 v[12:15], v[92:93], off offset:512 th:TH_LOAD_NT
	s_clause 0x1
	global_load_b128 v[16:19], v[94:95], off th:TH_LOAD_NT
	global_load_b128 v[8:11], v[94:95], off offset:512 th:TH_LOAD_NT
	s_wait_xcnt 0x2
	v_add_nc_u64_e32 v[92:93], 0x400, v[92:93]
	s_wait_xcnt 0x0
	v_add_nc_u64_e32 v[94:95], 0x400, v[94:95]
.LBB8_1581:                             ;   in Loop: Header=BB8_1513 Depth=3
	s_or_b32 exec_lo, exec_lo, s41
	s_wait_loadcnt 0x3
	v_lshlrev_b32_e32 v4, 16, v36
	s_wait_loadcnt 0x1
	v_lshlrev_b32_e32 v5, 16, v48
	s_mov_b32 s41, exec_lo
                                        ; implicit-def: $vgpr52
	s_delay_alu instid0(VALU_DEP_1) | instskip(NEXT) | instid1(VALU_DEP_1)
	v_mul_f32_e32 v4, v5, v4
	v_and_b32_e32 v5, 0x7f800000, v4
	s_delay_alu instid0(VALU_DEP_1)
	v_cmpx_ne_u32_e32 0x7f800000, v5
	s_xor_b32 s41, exec_lo, s41
; %bb.1582:                             ;   in Loop: Header=BB8_1513 Depth=3
	v_bfe_u32 v5, v4, 16, 1
	s_delay_alu instid0(VALU_DEP_1)
	v_add3_u32 v52, v4, v5, 0x7fff
                                        ; implicit-def: $vgpr4
; %bb.1583:                             ;   in Loop: Header=BB8_1513 Depth=3
	s_and_not1_saveexec_b32 s41, s41
; %bb.1584:                             ;   in Loop: Header=BB8_1513 Depth=3
	v_and_b32_e32 v5, 0xffff, v4
	v_or_b32_e32 v28, 0x10000, v4
	s_delay_alu instid0(VALU_DEP_2) | instskip(NEXT) | instid1(VALU_DEP_2)
	v_cmp_eq_u32_e32 vcc_lo, 0, v5
	v_cndmask_b32_e32 v52, v28, v4, vcc_lo
; %bb.1585:                             ;   in Loop: Header=BB8_1513 Depth=3
	s_or_b32 exec_lo, exec_lo, s41
	v_and_b32_e32 v5, 0xffff0000, v48
	v_and_b32_e32 v4, 0xffff0000, v36
	s_mov_b32 s41, exec_lo
                                        ; implicit-def: $vgpr48
	s_delay_alu instid0(VALU_DEP_2) | instskip(NEXT) | instid1(VALU_DEP_1)
	v_mov_b32_e32 v28, v5
	v_pk_mul_f32 v[104:105], v[28:29], v[4:5]
	s_delay_alu instid0(VALU_DEP_1) | instskip(NEXT) | instid1(VALU_DEP_1)
	v_and_b32_e32 v4, 0x7f800000, v104
	v_cmpx_ne_u32_e32 0x7f800000, v4
	s_xor_b32 s41, exec_lo, s41
; %bb.1586:                             ;   in Loop: Header=BB8_1513 Depth=3
	v_bfe_u32 v4, v104, 16, 1
	s_delay_alu instid0(VALU_DEP_1)
	v_add3_u32 v48, v104, v4, 0x7fff
                                        ; implicit-def: $vgpr104_vgpr105
; %bb.1587:                             ;   in Loop: Header=BB8_1513 Depth=3
	s_and_not1_saveexec_b32 s41, s41
; %bb.1588:                             ;   in Loop: Header=BB8_1513 Depth=3
	v_and_b32_e32 v4, 0xffff, v104
	v_or_b32_e32 v5, 0x10000, v104
	s_delay_alu instid0(VALU_DEP_2) | instskip(NEXT) | instid1(VALU_DEP_2)
	v_cmp_eq_u32_e32 vcc_lo, 0, v4
	v_cndmask_b32_e32 v48, v5, v104, vcc_lo
; %bb.1589:                             ;   in Loop: Header=BB8_1513 Depth=3
	s_or_b32 exec_lo, exec_lo, s41
	v_lshlrev_b32_e32 v4, 16, v37
	v_lshlrev_b32_e32 v5, 16, v49
	s_mov_b32 s41, exec_lo
                                        ; implicit-def: $vgpr53
	s_delay_alu instid0(VALU_DEP_1) | instskip(NEXT) | instid1(VALU_DEP_1)
	v_mul_f32_e32 v4, v5, v4
	v_and_b32_e32 v5, 0x7f800000, v4
	s_delay_alu instid0(VALU_DEP_1)
	v_cmpx_ne_u32_e32 0x7f800000, v5
	s_xor_b32 s41, exec_lo, s41
; %bb.1590:                             ;   in Loop: Header=BB8_1513 Depth=3
	v_bfe_u32 v5, v4, 16, 1
	s_delay_alu instid0(VALU_DEP_1)
	v_add3_u32 v53, v4, v5, 0x7fff
                                        ; implicit-def: $vgpr4
; %bb.1591:                             ;   in Loop: Header=BB8_1513 Depth=3
	s_and_not1_saveexec_b32 s41, s41
; %bb.1592:                             ;   in Loop: Header=BB8_1513 Depth=3
	v_and_b32_e32 v5, 0xffff, v4
	v_or_b32_e32 v28, 0x10000, v4
	s_delay_alu instid0(VALU_DEP_2) | instskip(NEXT) | instid1(VALU_DEP_2)
	v_cmp_eq_u32_e32 vcc_lo, 0, v5
	v_cndmask_b32_e32 v53, v28, v4, vcc_lo
; %bb.1593:                             ;   in Loop: Header=BB8_1513 Depth=3
	s_or_b32 exec_lo, exec_lo, s41
	v_and_b32_e32 v5, 0xffff0000, v49
	v_and_b32_e32 v4, 0xffff0000, v37
	s_mov_b32 s41, exec_lo
                                        ; implicit-def: $vgpr49
	s_delay_alu instid0(VALU_DEP_2) | instskip(NEXT) | instid1(VALU_DEP_1)
	v_mov_b32_e32 v28, v5
	v_pk_mul_f32 v[36:37], v[28:29], v[4:5]
	s_delay_alu instid0(VALU_DEP_1) | instskip(NEXT) | instid1(VALU_DEP_1)
	v_and_b32_e32 v4, 0x7f800000, v36
	v_cmpx_ne_u32_e32 0x7f800000, v4
	s_xor_b32 s41, exec_lo, s41
; %bb.1594:                             ;   in Loop: Header=BB8_1513 Depth=3
	v_bfe_u32 v4, v36, 16, 1
	s_delay_alu instid0(VALU_DEP_1)
	v_add3_u32 v49, v36, v4, 0x7fff
                                        ; implicit-def: $vgpr36_vgpr37
; %bb.1595:                             ;   in Loop: Header=BB8_1513 Depth=3
	s_and_not1_saveexec_b32 s41, s41
; %bb.1596:                             ;   in Loop: Header=BB8_1513 Depth=3
	v_and_b32_e32 v4, 0xffff, v36
	v_or_b32_e32 v5, 0x10000, v36
	s_delay_alu instid0(VALU_DEP_2) | instskip(NEXT) | instid1(VALU_DEP_2)
	v_cmp_eq_u32_e32 vcc_lo, 0, v4
	v_cndmask_b32_e32 v49, v5, v36, vcc_lo
; %bb.1597:                             ;   in Loop: Header=BB8_1513 Depth=3
	s_or_b32 exec_lo, exec_lo, s41
	v_lshlrev_b32_e32 v4, 16, v38
	v_lshlrev_b32_e32 v5, 16, v50
	s_mov_b32 s41, exec_lo
                                        ; implicit-def: $vgpr104
	s_delay_alu instid0(VALU_DEP_1) | instskip(NEXT) | instid1(VALU_DEP_1)
	v_mul_f32_e32 v4, v5, v4
	v_and_b32_e32 v5, 0x7f800000, v4
	s_delay_alu instid0(VALU_DEP_1)
	v_cmpx_ne_u32_e32 0x7f800000, v5
	s_xor_b32 s41, exec_lo, s41
; %bb.1598:                             ;   in Loop: Header=BB8_1513 Depth=3
	v_bfe_u32 v5, v4, 16, 1
	s_delay_alu instid0(VALU_DEP_1)
	v_add3_u32 v104, v4, v5, 0x7fff
                                        ; implicit-def: $vgpr4
; %bb.1599:                             ;   in Loop: Header=BB8_1513 Depth=3
	s_and_not1_saveexec_b32 s41, s41
; %bb.1600:                             ;   in Loop: Header=BB8_1513 Depth=3
	v_and_b32_e32 v5, 0xffff, v4
	v_or_b32_e32 v28, 0x10000, v4
	s_delay_alu instid0(VALU_DEP_2) | instskip(NEXT) | instid1(VALU_DEP_2)
	v_cmp_eq_u32_e32 vcc_lo, 0, v5
	v_cndmask_b32_e32 v104, v28, v4, vcc_lo
; %bb.1601:                             ;   in Loop: Header=BB8_1513 Depth=3
	s_or_b32 exec_lo, exec_lo, s41
	v_and_b32_e32 v5, 0xffff0000, v50
	v_and_b32_e32 v4, 0xffff0000, v38
	s_mov_b32 s41, exec_lo
                                        ; implicit-def: $vgpr38
	s_delay_alu instid0(VALU_DEP_2) | instskip(NEXT) | instid1(VALU_DEP_1)
	v_mov_b32_e32 v28, v5
	v_pk_mul_f32 v[36:37], v[28:29], v[4:5]
	s_delay_alu instid0(VALU_DEP_1) | instskip(NEXT) | instid1(VALU_DEP_1)
	v_and_b32_e32 v4, 0x7f800000, v36
	v_cmpx_ne_u32_e32 0x7f800000, v4
	s_xor_b32 s41, exec_lo, s41
; %bb.1602:                             ;   in Loop: Header=BB8_1513 Depth=3
	v_bfe_u32 v4, v36, 16, 1
	s_delay_alu instid0(VALU_DEP_1)
	v_add3_u32 v38, v36, v4, 0x7fff
                                        ; implicit-def: $vgpr36_vgpr37
; %bb.1603:                             ;   in Loop: Header=BB8_1513 Depth=3
	s_and_not1_saveexec_b32 s41, s41
; %bb.1604:                             ;   in Loop: Header=BB8_1513 Depth=3
	v_and_b32_e32 v4, 0xffff, v36
	v_or_b32_e32 v5, 0x10000, v36
	s_delay_alu instid0(VALU_DEP_2) | instskip(NEXT) | instid1(VALU_DEP_2)
	v_cmp_eq_u32_e32 vcc_lo, 0, v4
	v_cndmask_b32_e32 v38, v5, v36, vcc_lo
; %bb.1605:                             ;   in Loop: Header=BB8_1513 Depth=3
	s_or_b32 exec_lo, exec_lo, s41
	v_lshlrev_b32_e32 v4, 16, v39
	v_lshlrev_b32_e32 v5, 16, v51
	s_mov_b32 s41, exec_lo
                                        ; implicit-def: $vgpr50
	s_delay_alu instid0(VALU_DEP_1) | instskip(NEXT) | instid1(VALU_DEP_1)
	v_mul_f32_e32 v4, v5, v4
	v_and_b32_e32 v5, 0x7f800000, v4
	s_delay_alu instid0(VALU_DEP_1)
	v_cmpx_ne_u32_e32 0x7f800000, v5
	s_xor_b32 s41, exec_lo, s41
; %bb.1606:                             ;   in Loop: Header=BB8_1513 Depth=3
	v_bfe_u32 v5, v4, 16, 1
	s_delay_alu instid0(VALU_DEP_1)
	v_add3_u32 v50, v4, v5, 0x7fff
                                        ; implicit-def: $vgpr4
; %bb.1607:                             ;   in Loop: Header=BB8_1513 Depth=3
	s_and_not1_saveexec_b32 s41, s41
; %bb.1608:                             ;   in Loop: Header=BB8_1513 Depth=3
	v_and_b32_e32 v5, 0xffff, v4
	v_or_b32_e32 v28, 0x10000, v4
	s_delay_alu instid0(VALU_DEP_2) | instskip(NEXT) | instid1(VALU_DEP_2)
	v_cmp_eq_u32_e32 vcc_lo, 0, v5
	v_cndmask_b32_e32 v50, v28, v4, vcc_lo
; %bb.1609:                             ;   in Loop: Header=BB8_1513 Depth=3
	s_or_b32 exec_lo, exec_lo, s41
	v_and_b32_e32 v5, 0xffff0000, v51
	v_and_b32_e32 v4, 0xffff0000, v39
	s_mov_b32 s41, exec_lo
                                        ; implicit-def: $vgpr39
	s_delay_alu instid0(VALU_DEP_2) | instskip(NEXT) | instid1(VALU_DEP_1)
	v_mov_b32_e32 v28, v5
	v_pk_mul_f32 v[36:37], v[28:29], v[4:5]
	s_delay_alu instid0(VALU_DEP_1) | instskip(NEXT) | instid1(VALU_DEP_1)
	v_and_b32_e32 v4, 0x7f800000, v36
	v_cmpx_ne_u32_e32 0x7f800000, v4
	s_xor_b32 s41, exec_lo, s41
; %bb.1610:                             ;   in Loop: Header=BB8_1513 Depth=3
	v_bfe_u32 v4, v36, 16, 1
	s_delay_alu instid0(VALU_DEP_1)
	v_add3_u32 v39, v36, v4, 0x7fff
                                        ; implicit-def: $vgpr36_vgpr37
; %bb.1611:                             ;   in Loop: Header=BB8_1513 Depth=3
	s_and_not1_saveexec_b32 s41, s41
; %bb.1612:                             ;   in Loop: Header=BB8_1513 Depth=3
	v_and_b32_e32 v4, 0xffff, v36
	v_or_b32_e32 v5, 0x10000, v36
	s_delay_alu instid0(VALU_DEP_2) | instskip(NEXT) | instid1(VALU_DEP_2)
	v_cmp_eq_u32_e32 vcc_lo, 0, v4
	v_cndmask_b32_e32 v39, v5, v36, vcc_lo
; %bb.1613:                             ;   in Loop: Header=BB8_1513 Depth=3
	s_or_b32 exec_lo, exec_lo, s41
	v_lshlrev_b32_e32 v4, 16, v24
	s_wait_loadcnt 0x0
	v_lshlrev_b32_e32 v5, 16, v32
	s_mov_b32 s41, exec_lo
                                        ; implicit-def: $vgpr51
	s_delay_alu instid0(VALU_DEP_1) | instskip(NEXT) | instid1(VALU_DEP_1)
	v_mul_f32_e32 v4, v5, v4
	v_and_b32_e32 v5, 0x7f800000, v4
	s_delay_alu instid0(VALU_DEP_1)
	v_cmpx_ne_u32_e32 0x7f800000, v5
	s_xor_b32 s41, exec_lo, s41
; %bb.1614:                             ;   in Loop: Header=BB8_1513 Depth=3
	v_bfe_u32 v5, v4, 16, 1
	s_delay_alu instid0(VALU_DEP_1)
	v_add3_u32 v51, v4, v5, 0x7fff
                                        ; implicit-def: $vgpr4
; %bb.1615:                             ;   in Loop: Header=BB8_1513 Depth=3
	s_and_not1_saveexec_b32 s41, s41
; %bb.1616:                             ;   in Loop: Header=BB8_1513 Depth=3
	v_and_b32_e32 v5, 0xffff, v4
	v_or_b32_e32 v28, 0x10000, v4
	s_delay_alu instid0(VALU_DEP_2) | instskip(NEXT) | instid1(VALU_DEP_2)
	v_cmp_eq_u32_e32 vcc_lo, 0, v5
	v_cndmask_b32_e32 v51, v28, v4, vcc_lo
; %bb.1617:                             ;   in Loop: Header=BB8_1513 Depth=3
	s_or_b32 exec_lo, exec_lo, s41
	v_and_b32_e32 v5, 0xffff0000, v32
	v_and_b32_e32 v4, 0xffff0000, v24
	s_mov_b32 s41, exec_lo
                                        ; implicit-def: $vgpr28
	s_delay_alu instid0(VALU_DEP_2) | instskip(NEXT) | instid1(VALU_DEP_1)
	v_mov_b32_e32 v24, v5
	v_pk_mul_f32 v[36:37], v[24:25], v[4:5]
	s_delay_alu instid0(VALU_DEP_1) | instskip(NEXT) | instid1(VALU_DEP_1)
	v_and_b32_e32 v4, 0x7f800000, v36
	v_cmpx_ne_u32_e32 0x7f800000, v4
	s_xor_b32 s41, exec_lo, s41
; %bb.1618:                             ;   in Loop: Header=BB8_1513 Depth=3
	v_bfe_u32 v4, v36, 16, 1
	s_delay_alu instid0(VALU_DEP_1)
	v_add3_u32 v28, v36, v4, 0x7fff
                                        ; implicit-def: $vgpr36_vgpr37
; %bb.1619:                             ;   in Loop: Header=BB8_1513 Depth=3
	s_and_not1_saveexec_b32 s41, s41
; %bb.1620:                             ;   in Loop: Header=BB8_1513 Depth=3
	v_and_b32_e32 v4, 0xffff, v36
	v_or_b32_e32 v5, 0x10000, v36
	s_delay_alu instid0(VALU_DEP_2) | instskip(NEXT) | instid1(VALU_DEP_2)
	v_cmp_eq_u32_e32 vcc_lo, 0, v4
	v_cndmask_b32_e32 v28, v5, v36, vcc_lo
; %bb.1621:                             ;   in Loop: Header=BB8_1513 Depth=3
	s_or_b32 exec_lo, exec_lo, s41
	v_lshlrev_b32_e32 v4, 16, v25
	v_lshlrev_b32_e32 v5, 16, v33
	s_mov_b32 s41, exec_lo
                                        ; implicit-def: $vgpr29
	s_delay_alu instid0(VALU_DEP_1) | instskip(NEXT) | instid1(VALU_DEP_1)
	v_mul_f32_e32 v4, v5, v4
	v_and_b32_e32 v5, 0x7f800000, v4
	s_delay_alu instid0(VALU_DEP_1)
	v_cmpx_ne_u32_e32 0x7f800000, v5
	s_xor_b32 s41, exec_lo, s41
; %bb.1622:                             ;   in Loop: Header=BB8_1513 Depth=3
	v_bfe_u32 v5, v4, 16, 1
	s_delay_alu instid0(VALU_DEP_1)
	v_add3_u32 v29, v4, v5, 0x7fff
                                        ; implicit-def: $vgpr4
; %bb.1623:                             ;   in Loop: Header=BB8_1513 Depth=3
	s_and_not1_saveexec_b32 s41, s41
; %bb.1624:                             ;   in Loop: Header=BB8_1513 Depth=3
	v_and_b32_e32 v5, 0xffff, v4
	v_or_b32_e32 v24, 0x10000, v4
	s_delay_alu instid0(VALU_DEP_2) | instskip(NEXT) | instid1(VALU_DEP_2)
	v_cmp_eq_u32_e32 vcc_lo, 0, v5
	v_cndmask_b32_e32 v29, v24, v4, vcc_lo
; %bb.1625:                             ;   in Loop: Header=BB8_1513 Depth=3
	s_or_b32 exec_lo, exec_lo, s41
	v_and_b32_e32 v5, 0xffff0000, v33
	v_and_b32_e32 v4, 0xffff0000, v25
	s_mov_b32 s41, exec_lo
                                        ; implicit-def: $vgpr32
	s_delay_alu instid0(VALU_DEP_2) | instskip(NEXT) | instid1(VALU_DEP_1)
	v_mov_b32_e32 v24, v5
	v_pk_mul_f32 v[24:25], v[24:25], v[4:5]
	s_delay_alu instid0(VALU_DEP_1) | instskip(NEXT) | instid1(VALU_DEP_1)
	v_and_b32_e32 v4, 0x7f800000, v24
	v_cmpx_ne_u32_e32 0x7f800000, v4
	s_xor_b32 s41, exec_lo, s41
; %bb.1626:                             ;   in Loop: Header=BB8_1513 Depth=3
	v_bfe_u32 v4, v24, 16, 1
	s_delay_alu instid0(VALU_DEP_1)
	v_add3_u32 v32, v24, v4, 0x7fff
                                        ; implicit-def: $vgpr24_vgpr25
; %bb.1627:                             ;   in Loop: Header=BB8_1513 Depth=3
	s_and_not1_saveexec_b32 s41, s41
; %bb.1628:                             ;   in Loop: Header=BB8_1513 Depth=3
	v_and_b32_e32 v4, 0xffff, v24
	v_or_b32_e32 v5, 0x10000, v24
	s_delay_alu instid0(VALU_DEP_2) | instskip(NEXT) | instid1(VALU_DEP_2)
	v_cmp_eq_u32_e32 vcc_lo, 0, v4
	v_cndmask_b32_e32 v32, v5, v24, vcc_lo
; %bb.1629:                             ;   in Loop: Header=BB8_1513 Depth=3
	s_or_b32 exec_lo, exec_lo, s41
	v_lshlrev_b32_e32 v4, 16, v26
	v_lshlrev_b32_e32 v5, 16, v34
	s_mov_b32 s41, exec_lo
                                        ; implicit-def: $vgpr33
	s_delay_alu instid0(VALU_DEP_1) | instskip(NEXT) | instid1(VALU_DEP_1)
	v_mul_f32_e32 v4, v5, v4
	v_and_b32_e32 v5, 0x7f800000, v4
	s_delay_alu instid0(VALU_DEP_1)
	v_cmpx_ne_u32_e32 0x7f800000, v5
	s_xor_b32 s41, exec_lo, s41
; %bb.1630:                             ;   in Loop: Header=BB8_1513 Depth=3
	v_bfe_u32 v5, v4, 16, 1
	s_delay_alu instid0(VALU_DEP_1)
	v_add3_u32 v33, v4, v5, 0x7fff
                                        ; implicit-def: $vgpr4
; %bb.1631:                             ;   in Loop: Header=BB8_1513 Depth=3
	s_and_not1_saveexec_b32 s41, s41
; %bb.1632:                             ;   in Loop: Header=BB8_1513 Depth=3
	v_and_b32_e32 v5, 0xffff, v4
	v_or_b32_e32 v24, 0x10000, v4
	s_delay_alu instid0(VALU_DEP_2) | instskip(NEXT) | instid1(VALU_DEP_2)
	v_cmp_eq_u32_e32 vcc_lo, 0, v5
	v_cndmask_b32_e32 v33, v24, v4, vcc_lo
; %bb.1633:                             ;   in Loop: Header=BB8_1513 Depth=3
	s_or_b32 exec_lo, exec_lo, s41
	v_and_b32_e32 v5, 0xffff0000, v34
	v_and_b32_e32 v4, 0xffff0000, v26
	s_mov_b32 s41, exec_lo
                                        ; implicit-def: $vgpr26
	s_delay_alu instid0(VALU_DEP_2) | instskip(NEXT) | instid1(VALU_DEP_1)
	v_mov_b32_e32 v24, v5
	v_pk_mul_f32 v[24:25], v[24:25], v[4:5]
	s_delay_alu instid0(VALU_DEP_1) | instskip(NEXT) | instid1(VALU_DEP_1)
	v_and_b32_e32 v4, 0x7f800000, v24
	v_cmpx_ne_u32_e32 0x7f800000, v4
	s_xor_b32 s41, exec_lo, s41
; %bb.1634:                             ;   in Loop: Header=BB8_1513 Depth=3
	v_bfe_u32 v4, v24, 16, 1
	s_delay_alu instid0(VALU_DEP_1)
	v_add3_u32 v26, v24, v4, 0x7fff
                                        ; implicit-def: $vgpr24_vgpr25
; %bb.1635:                             ;   in Loop: Header=BB8_1513 Depth=3
	s_and_not1_saveexec_b32 s41, s41
; %bb.1636:                             ;   in Loop: Header=BB8_1513 Depth=3
	v_and_b32_e32 v4, 0xffff, v24
	v_or_b32_e32 v5, 0x10000, v24
	s_delay_alu instid0(VALU_DEP_2) | instskip(NEXT) | instid1(VALU_DEP_2)
	v_cmp_eq_u32_e32 vcc_lo, 0, v4
	v_cndmask_b32_e32 v26, v5, v24, vcc_lo
; %bb.1637:                             ;   in Loop: Header=BB8_1513 Depth=3
	s_or_b32 exec_lo, exec_lo, s41
	v_lshlrev_b32_e32 v4, 16, v27
	v_lshlrev_b32_e32 v5, 16, v35
	s_delay_alu instid0(VALU_DEP_1) | instskip(NEXT) | instid1(VALU_DEP_1)
	v_mul_f32_e32 v5, v5, v4
	v_and_b32_e32 v4, 0x7f800000, v5
	s_delay_alu instid0(VALU_DEP_1) | instskip(SKIP_1) | instid1(SALU_CYCLE_1)
	v_cmp_ne_u32_e32 vcc_lo, 0x7f800000, v4
                                        ; implicit-def: $vgpr4
	s_and_saveexec_b32 s41, vcc_lo
	s_xor_b32 s41, exec_lo, s41
; %bb.1638:                             ;   in Loop: Header=BB8_1513 Depth=3
	v_bfe_u32 v4, v5, 16, 1
	s_delay_alu instid0(VALU_DEP_1)
	v_add3_u32 v4, v5, v4, 0x7fff
                                        ; implicit-def: $vgpr5
; %bb.1639:                             ;   in Loop: Header=BB8_1513 Depth=3
	s_and_not1_saveexec_b32 s41, s41
; %bb.1640:                             ;   in Loop: Header=BB8_1513 Depth=3
	v_and_b32_e32 v4, 0xffff, v5
	v_or_b32_e32 v24, 0x10000, v5
	s_delay_alu instid0(VALU_DEP_2) | instskip(NEXT) | instid1(VALU_DEP_2)
	v_cmp_eq_u32_e32 vcc_lo, 0, v4
	v_cndmask_b32_e32 v4, v24, v5, vcc_lo
; %bb.1641:                             ;   in Loop: Header=BB8_1513 Depth=3
	s_or_b32 exec_lo, exec_lo, s41
	v_and_b32_e32 v25, 0xffff0000, v35
	v_and_b32_e32 v24, 0xffff0000, v27
	s_delay_alu instid0(VALU_DEP_2) | instskip(NEXT) | instid1(VALU_DEP_1)
	v_mov_b32_e32 v34, v25
	v_pk_mul_f32 v[24:25], v[34:35], v[24:25]
	s_delay_alu instid0(VALU_DEP_1) | instskip(NEXT) | instid1(VALU_DEP_1)
	v_and_b32_e32 v5, 0x7f800000, v24
	v_cmp_ne_u32_e32 vcc_lo, 0x7f800000, v5
                                        ; implicit-def: $vgpr5
	s_and_saveexec_b32 s41, vcc_lo
	s_delay_alu instid0(SALU_CYCLE_1)
	s_xor_b32 s41, exec_lo, s41
; %bb.1642:                             ;   in Loop: Header=BB8_1513 Depth=3
	v_bfe_u32 v5, v24, 16, 1
	s_delay_alu instid0(VALU_DEP_1)
	v_add3_u32 v5, v24, v5, 0x7fff
                                        ; implicit-def: $vgpr24_vgpr25
; %bb.1643:                             ;   in Loop: Header=BB8_1513 Depth=3
	s_and_not1_saveexec_b32 s41, s41
	s_cbranch_execz .LBB8_1512
; %bb.1644:                             ;   in Loop: Header=BB8_1513 Depth=3
	v_and_b32_e32 v5, 0xffff, v24
	v_or_b32_e32 v25, 0x10000, v24
	s_delay_alu instid0(VALU_DEP_2) | instskip(NEXT) | instid1(VALU_DEP_2)
	v_cmp_eq_u32_e32 vcc_lo, 0, v5
	v_cndmask_b32_e32 v5, v25, v24, vcc_lo
	s_branch .LBB8_1512
.LBB8_1645:                             ;   in Loop: Header=BB8_959 Depth=2
	v_cmp_lt_i32_e64 s13, 0, v2
	s_and_saveexec_b32 s14, s2
	s_cbranch_execnz .LBB8_1963
	s_branch .LBB8_1981
.LBB8_1646:                             ;   in Loop: Header=BB8_959 Depth=2
	s_mov_b32 s76, 0
	v_mov_b32_e32 v14, 0
	s_and_not1_b32 vcc_lo, exec_lo, s13
	s_cbranch_vccz .LBB8_1510
.LBB8_1647:                             ;   in Loop: Header=BB8_959 Depth=2
	v_dual_mov_b32 v15, v0 :: v_dual_mov_b32 v8, v124
	s_and_saveexec_b32 s15, s76
	s_cbranch_execnz .LBB8_1831
	s_branch .LBB8_1962
.LBB8_1648:                             ;   in Loop: Header=BB8_959 Depth=2
	s_or_b32 exec_lo, exec_lo, s14
	s_delay_alu instid0(SALU_CYCLE_1)
	s_and_b32 s14, s15, exec_lo
.LBB8_1649:                             ;   in Loop: Header=BB8_959 Depth=2
	s_or_b32 exec_lo, exec_lo, s13
	s_and_saveexec_b32 s13, s14
	s_cbranch_execz .LBB8_1715
; %bb.1650:                             ;   in Loop: Header=BB8_959 Depth=2
	v_lshlrev_b32_e32 v4, 16, v20
	v_lshlrev_b32_e32 v5, 16, v16
	s_mov_b32 s14, exec_lo
                                        ; implicit-def: $vgpr26
	s_delay_alu instid0(VALU_DEP_1) | instskip(NEXT) | instid1(VALU_DEP_1)
	v_mul_f32_e32 v4, v5, v4
	v_and_b32_e32 v5, 0x7f800000, v4
	s_delay_alu instid0(VALU_DEP_1)
	v_cmpx_ne_u32_e32 0x7f800000, v5
	s_xor_b32 s14, exec_lo, s14
; %bb.1651:                             ;   in Loop: Header=BB8_959 Depth=2
	v_bfe_u32 v5, v4, 16, 1
	s_delay_alu instid0(VALU_DEP_1)
	v_add3_u32 v26, v4, v5, 0x7fff
                                        ; implicit-def: $vgpr4
; %bb.1652:                             ;   in Loop: Header=BB8_959 Depth=2
	s_and_not1_saveexec_b32 s14, s14
; %bb.1653:                             ;   in Loop: Header=BB8_959 Depth=2
	v_and_b32_e32 v5, 0xffff, v4
	v_or_b32_e32 v24, 0x10000, v4
	s_delay_alu instid0(VALU_DEP_2) | instskip(NEXT) | instid1(VALU_DEP_2)
	v_cmp_eq_u32_e32 vcc_lo, 0, v5
	v_cndmask_b32_e32 v26, v24, v4, vcc_lo
; %bb.1654:                             ;   in Loop: Header=BB8_959 Depth=2
	s_or_b32 exec_lo, exec_lo, s14
	v_and_b32_e32 v5, 0xffff0000, v20
	v_and_b32_e32 v4, 0xffff0000, v16
	s_mov_b32 s14, exec_lo
                                        ; implicit-def: $vgpr20
	s_delay_alu instid0(VALU_DEP_2) | instskip(NEXT) | instid1(VALU_DEP_1)
	v_mov_b32_e32 v16, v5
	v_pk_mul_f32 v[24:25], v[16:17], v[4:5]
	s_delay_alu instid0(VALU_DEP_1) | instskip(NEXT) | instid1(VALU_DEP_1)
	v_and_b32_e32 v4, 0x7f800000, v24
	v_cmpx_ne_u32_e32 0x7f800000, v4
	s_xor_b32 s14, exec_lo, s14
; %bb.1655:                             ;   in Loop: Header=BB8_959 Depth=2
	v_bfe_u32 v4, v24, 16, 1
	s_delay_alu instid0(VALU_DEP_1)
	v_add3_u32 v20, v24, v4, 0x7fff
                                        ; implicit-def: $vgpr24_vgpr25
; %bb.1656:                             ;   in Loop: Header=BB8_959 Depth=2
	s_and_not1_saveexec_b32 s14, s14
; %bb.1657:                             ;   in Loop: Header=BB8_959 Depth=2
	v_and_b32_e32 v4, 0xffff, v24
	v_or_b32_e32 v5, 0x10000, v24
	s_delay_alu instid0(VALU_DEP_2) | instskip(NEXT) | instid1(VALU_DEP_2)
	v_cmp_eq_u32_e32 vcc_lo, 0, v4
	v_cndmask_b32_e32 v20, v5, v24, vcc_lo
; %bb.1658:                             ;   in Loop: Header=BB8_959 Depth=2
	s_or_b32 exec_lo, exec_lo, s14
	v_lshlrev_b32_e32 v4, 16, v17
	v_lshlrev_b32_e32 v5, 16, v21
	s_mov_b32 s14, exec_lo
                                        ; implicit-def: $vgpr24
	s_delay_alu instid0(VALU_DEP_1) | instskip(NEXT) | instid1(VALU_DEP_1)
	v_mul_f32_e32 v4, v5, v4
	v_and_b32_e32 v5, 0x7f800000, v4
	s_delay_alu instid0(VALU_DEP_1)
	v_cmpx_ne_u32_e32 0x7f800000, v5
	s_xor_b32 s14, exec_lo, s14
; %bb.1659:                             ;   in Loop: Header=BB8_959 Depth=2
	v_bfe_u32 v5, v4, 16, 1
	s_delay_alu instid0(VALU_DEP_1)
	v_add3_u32 v24, v4, v5, 0x7fff
                                        ; implicit-def: $vgpr4
; %bb.1660:                             ;   in Loop: Header=BB8_959 Depth=2
	s_and_not1_saveexec_b32 s14, s14
; %bb.1661:                             ;   in Loop: Header=BB8_959 Depth=2
	v_and_b32_e32 v5, 0xffff, v4
	v_or_b32_e32 v16, 0x10000, v4
	s_delay_alu instid0(VALU_DEP_2) | instskip(NEXT) | instid1(VALU_DEP_2)
	v_cmp_eq_u32_e32 vcc_lo, 0, v5
	v_cndmask_b32_e32 v24, v16, v4, vcc_lo
; %bb.1662:                             ;   in Loop: Header=BB8_959 Depth=2
	s_or_b32 exec_lo, exec_lo, s14
	v_and_b32_e32 v5, 0xffff0000, v21
	v_and_b32_e32 v4, 0xffff0000, v17
	s_mov_b32 s14, exec_lo
                                        ; implicit-def: $vgpr21
	s_delay_alu instid0(VALU_DEP_2) | instskip(NEXT) | instid1(VALU_DEP_1)
	v_mov_b32_e32 v16, v5
	v_pk_mul_f32 v[16:17], v[16:17], v[4:5]
	s_delay_alu instid0(VALU_DEP_1) | instskip(NEXT) | instid1(VALU_DEP_1)
	v_and_b32_e32 v4, 0x7f800000, v16
	v_cmpx_ne_u32_e32 0x7f800000, v4
	s_xor_b32 s14, exec_lo, s14
; %bb.1663:                             ;   in Loop: Header=BB8_959 Depth=2
	v_bfe_u32 v4, v16, 16, 1
	s_delay_alu instid0(VALU_DEP_1)
	v_add3_u32 v21, v16, v4, 0x7fff
                                        ; implicit-def: $vgpr16_vgpr17
; %bb.1664:                             ;   in Loop: Header=BB8_959 Depth=2
	s_and_not1_saveexec_b32 s14, s14
; %bb.1665:                             ;   in Loop: Header=BB8_959 Depth=2
	v_and_b32_e32 v4, 0xffff, v16
	v_or_b32_e32 v5, 0x10000, v16
	s_delay_alu instid0(VALU_DEP_2) | instskip(NEXT) | instid1(VALU_DEP_2)
	v_cmp_eq_u32_e32 vcc_lo, 0, v4
	v_cndmask_b32_e32 v21, v5, v16, vcc_lo
; %bb.1666:                             ;   in Loop: Header=BB8_959 Depth=2
	s_or_b32 exec_lo, exec_lo, s14
	v_lshlrev_b32_e32 v4, 16, v22
	v_lshlrev_b32_e32 v5, 16, v18
	s_mov_b32 s14, exec_lo
                                        ; implicit-def: $vgpr25
	s_delay_alu instid0(VALU_DEP_1) | instskip(NEXT) | instid1(VALU_DEP_1)
	v_mul_f32_e32 v4, v5, v4
	v_and_b32_e32 v5, 0x7f800000, v4
	s_delay_alu instid0(VALU_DEP_1)
	v_cmpx_ne_u32_e32 0x7f800000, v5
	s_xor_b32 s14, exec_lo, s14
; %bb.1667:                             ;   in Loop: Header=BB8_959 Depth=2
	v_bfe_u32 v5, v4, 16, 1
	s_delay_alu instid0(VALU_DEP_1)
	v_add3_u32 v25, v4, v5, 0x7fff
                                        ; implicit-def: $vgpr4
; %bb.1668:                             ;   in Loop: Header=BB8_959 Depth=2
	s_and_not1_saveexec_b32 s14, s14
; %bb.1669:                             ;   in Loop: Header=BB8_959 Depth=2
	v_and_b32_e32 v5, 0xffff, v4
	v_or_b32_e32 v16, 0x10000, v4
	s_delay_alu instid0(VALU_DEP_2) | instskip(NEXT) | instid1(VALU_DEP_2)
	v_cmp_eq_u32_e32 vcc_lo, 0, v5
	v_cndmask_b32_e32 v25, v16, v4, vcc_lo
; %bb.1670:                             ;   in Loop: Header=BB8_959 Depth=2
	s_or_b32 exec_lo, exec_lo, s14
	v_and_b32_e32 v5, 0xffff0000, v22
	v_and_b32_e32 v4, 0xffff0000, v18
	s_mov_b32 s14, exec_lo
                                        ; implicit-def: $vgpr18
	s_delay_alu instid0(VALU_DEP_2) | instskip(NEXT) | instid1(VALU_DEP_1)
	v_mov_b32_e32 v16, v5
	v_pk_mul_f32 v[16:17], v[16:17], v[4:5]
	s_delay_alu instid0(VALU_DEP_1) | instskip(NEXT) | instid1(VALU_DEP_1)
	v_and_b32_e32 v4, 0x7f800000, v16
	v_cmpx_ne_u32_e32 0x7f800000, v4
	s_xor_b32 s14, exec_lo, s14
; %bb.1671:                             ;   in Loop: Header=BB8_959 Depth=2
	v_bfe_u32 v4, v16, 16, 1
	s_delay_alu instid0(VALU_DEP_1)
	v_add3_u32 v18, v16, v4, 0x7fff
                                        ; implicit-def: $vgpr16_vgpr17
; %bb.1672:                             ;   in Loop: Header=BB8_959 Depth=2
	s_and_not1_saveexec_b32 s14, s14
; %bb.1673:                             ;   in Loop: Header=BB8_959 Depth=2
	v_and_b32_e32 v4, 0xffff, v16
	v_or_b32_e32 v5, 0x10000, v16
	s_delay_alu instid0(VALU_DEP_2) | instskip(NEXT) | instid1(VALU_DEP_2)
	v_cmp_eq_u32_e32 vcc_lo, 0, v4
	v_cndmask_b32_e32 v18, v5, v16, vcc_lo
; %bb.1674:                             ;   in Loop: Header=BB8_959 Depth=2
	s_or_b32 exec_lo, exec_lo, s14
	v_lshlrev_b32_e32 v4, 16, v19
	v_lshlrev_b32_e32 v5, 16, v23
	s_mov_b32 s14, exec_lo
                                        ; implicit-def: $vgpr22
	s_delay_alu instid0(VALU_DEP_1) | instskip(NEXT) | instid1(VALU_DEP_1)
	v_mul_f32_e32 v4, v5, v4
	v_and_b32_e32 v5, 0x7f800000, v4
	s_delay_alu instid0(VALU_DEP_1)
	v_cmpx_ne_u32_e32 0x7f800000, v5
	s_xor_b32 s14, exec_lo, s14
; %bb.1675:                             ;   in Loop: Header=BB8_959 Depth=2
	v_bfe_u32 v5, v4, 16, 1
	s_delay_alu instid0(VALU_DEP_1)
	v_add3_u32 v22, v4, v5, 0x7fff
                                        ; implicit-def: $vgpr4
; %bb.1676:                             ;   in Loop: Header=BB8_959 Depth=2
	s_and_not1_saveexec_b32 s14, s14
; %bb.1677:                             ;   in Loop: Header=BB8_959 Depth=2
	v_and_b32_e32 v5, 0xffff, v4
	v_or_b32_e32 v16, 0x10000, v4
	s_delay_alu instid0(VALU_DEP_2) | instskip(NEXT) | instid1(VALU_DEP_2)
	v_cmp_eq_u32_e32 vcc_lo, 0, v5
	v_cndmask_b32_e32 v22, v16, v4, vcc_lo
; %bb.1678:                             ;   in Loop: Header=BB8_959 Depth=2
	s_or_b32 exec_lo, exec_lo, s14
	v_and_b32_e32 v5, 0xffff0000, v23
	v_and_b32_e32 v4, 0xffff0000, v19
	s_mov_b32 s14, exec_lo
                                        ; implicit-def: $vgpr19
	s_delay_alu instid0(VALU_DEP_2) | instskip(NEXT) | instid1(VALU_DEP_1)
	v_mov_b32_e32 v16, v5
	v_pk_mul_f32 v[16:17], v[16:17], v[4:5]
	s_delay_alu instid0(VALU_DEP_1) | instskip(NEXT) | instid1(VALU_DEP_1)
	v_and_b32_e32 v4, 0x7f800000, v16
	v_cmpx_ne_u32_e32 0x7f800000, v4
	s_xor_b32 s14, exec_lo, s14
; %bb.1679:                             ;   in Loop: Header=BB8_959 Depth=2
	v_bfe_u32 v4, v16, 16, 1
	s_delay_alu instid0(VALU_DEP_1)
	v_add3_u32 v19, v16, v4, 0x7fff
                                        ; implicit-def: $vgpr16_vgpr17
; %bb.1680:                             ;   in Loop: Header=BB8_959 Depth=2
	s_and_not1_saveexec_b32 s14, s14
; %bb.1681:                             ;   in Loop: Header=BB8_959 Depth=2
	v_and_b32_e32 v4, 0xffff, v16
	v_or_b32_e32 v5, 0x10000, v16
	s_delay_alu instid0(VALU_DEP_2) | instskip(NEXT) | instid1(VALU_DEP_2)
	v_cmp_eq_u32_e32 vcc_lo, 0, v4
	v_cndmask_b32_e32 v19, v5, v16, vcc_lo
; %bb.1682:                             ;   in Loop: Header=BB8_959 Depth=2
	s_or_b32 exec_lo, exec_lo, s14
	v_lshlrev_b32_e32 v4, 16, v12
	v_lshlrev_b32_e32 v5, 16, v8
	s_mov_b32 s14, exec_lo
                                        ; implicit-def: $vgpr23
	s_delay_alu instid0(VALU_DEP_1) | instskip(NEXT) | instid1(VALU_DEP_1)
	v_mul_f32_e32 v4, v5, v4
	v_and_b32_e32 v5, 0x7f800000, v4
	s_delay_alu instid0(VALU_DEP_1)
	v_cmpx_ne_u32_e32 0x7f800000, v5
	s_xor_b32 s14, exec_lo, s14
; %bb.1683:                             ;   in Loop: Header=BB8_959 Depth=2
	v_bfe_u32 v5, v4, 16, 1
	s_delay_alu instid0(VALU_DEP_1)
	v_add3_u32 v23, v4, v5, 0x7fff
                                        ; implicit-def: $vgpr4
; %bb.1684:                             ;   in Loop: Header=BB8_959 Depth=2
	s_and_not1_saveexec_b32 s14, s14
; %bb.1685:                             ;   in Loop: Header=BB8_959 Depth=2
	v_and_b32_e32 v5, 0xffff, v4
	v_or_b32_e32 v16, 0x10000, v4
	s_delay_alu instid0(VALU_DEP_2) | instskip(NEXT) | instid1(VALU_DEP_2)
	v_cmp_eq_u32_e32 vcc_lo, 0, v5
	v_cndmask_b32_e32 v23, v16, v4, vcc_lo
; %bb.1686:                             ;   in Loop: Header=BB8_959 Depth=2
	s_or_b32 exec_lo, exec_lo, s14
	v_and_b32_e32 v5, 0xffff0000, v12
	v_and_b32_e32 v4, 0xffff0000, v8
	s_mov_b32 s14, exec_lo
                                        ; implicit-def: $vgpr12
	s_delay_alu instid0(VALU_DEP_2) | instskip(NEXT) | instid1(VALU_DEP_1)
	v_mov_b32_e32 v8, v5
	v_pk_mul_f32 v[16:17], v[8:9], v[4:5]
	s_delay_alu instid0(VALU_DEP_1) | instskip(NEXT) | instid1(VALU_DEP_1)
	v_and_b32_e32 v4, 0x7f800000, v16
	v_cmpx_ne_u32_e32 0x7f800000, v4
	s_xor_b32 s14, exec_lo, s14
; %bb.1687:                             ;   in Loop: Header=BB8_959 Depth=2
	v_bfe_u32 v4, v16, 16, 1
	s_delay_alu instid0(VALU_DEP_1)
	v_add3_u32 v12, v16, v4, 0x7fff
                                        ; implicit-def: $vgpr16_vgpr17
; %bb.1688:                             ;   in Loop: Header=BB8_959 Depth=2
	s_and_not1_saveexec_b32 s14, s14
; %bb.1689:                             ;   in Loop: Header=BB8_959 Depth=2
	v_and_b32_e32 v4, 0xffff, v16
	v_or_b32_e32 v5, 0x10000, v16
	s_delay_alu instid0(VALU_DEP_2) | instskip(NEXT) | instid1(VALU_DEP_2)
	v_cmp_eq_u32_e32 vcc_lo, 0, v4
	v_cndmask_b32_e32 v12, v5, v16, vcc_lo
; %bb.1690:                             ;   in Loop: Header=BB8_959 Depth=2
	s_or_b32 exec_lo, exec_lo, s14
	v_lshlrev_b32_e32 v4, 16, v9
	v_lshlrev_b32_e32 v5, 16, v13
	s_mov_b32 s14, exec_lo
                                        ; implicit-def: $vgpr16
	s_delay_alu instid0(VALU_DEP_1) | instskip(NEXT) | instid1(VALU_DEP_1)
	v_mul_f32_e32 v4, v5, v4
	v_and_b32_e32 v5, 0x7f800000, v4
	s_delay_alu instid0(VALU_DEP_1)
	v_cmpx_ne_u32_e32 0x7f800000, v5
	s_xor_b32 s14, exec_lo, s14
; %bb.1691:                             ;   in Loop: Header=BB8_959 Depth=2
	v_bfe_u32 v5, v4, 16, 1
	s_delay_alu instid0(VALU_DEP_1)
	v_add3_u32 v16, v4, v5, 0x7fff
                                        ; implicit-def: $vgpr4
; %bb.1692:                             ;   in Loop: Header=BB8_959 Depth=2
	s_and_not1_saveexec_b32 s14, s14
; %bb.1693:                             ;   in Loop: Header=BB8_959 Depth=2
	v_and_b32_e32 v5, 0xffff, v4
	v_or_b32_e32 v8, 0x10000, v4
	s_delay_alu instid0(VALU_DEP_2) | instskip(NEXT) | instid1(VALU_DEP_2)
	v_cmp_eq_u32_e32 vcc_lo, 0, v5
	v_cndmask_b32_e32 v16, v8, v4, vcc_lo
; %bb.1694:                             ;   in Loop: Header=BB8_959 Depth=2
	s_or_b32 exec_lo, exec_lo, s14
	v_and_b32_e32 v5, 0xffff0000, v13
	v_and_b32_e32 v4, 0xffff0000, v9
	s_mov_b32 s14, exec_lo
                                        ; implicit-def: $vgpr13
	s_delay_alu instid0(VALU_DEP_2) | instskip(NEXT) | instid1(VALU_DEP_1)
	v_mov_b32_e32 v8, v5
	v_pk_mul_f32 v[8:9], v[8:9], v[4:5]
	s_delay_alu instid0(VALU_DEP_1) | instskip(NEXT) | instid1(VALU_DEP_1)
	v_and_b32_e32 v4, 0x7f800000, v8
	v_cmpx_ne_u32_e32 0x7f800000, v4
	s_xor_b32 s14, exec_lo, s14
; %bb.1695:                             ;   in Loop: Header=BB8_959 Depth=2
	v_bfe_u32 v4, v8, 16, 1
	s_delay_alu instid0(VALU_DEP_1)
	v_add3_u32 v13, v8, v4, 0x7fff
                                        ; implicit-def: $vgpr8_vgpr9
; %bb.1696:                             ;   in Loop: Header=BB8_959 Depth=2
	s_and_not1_saveexec_b32 s14, s14
; %bb.1697:                             ;   in Loop: Header=BB8_959 Depth=2
	v_and_b32_e32 v4, 0xffff, v8
	v_or_b32_e32 v5, 0x10000, v8
	s_delay_alu instid0(VALU_DEP_2) | instskip(NEXT) | instid1(VALU_DEP_2)
	v_cmp_eq_u32_e32 vcc_lo, 0, v4
	v_cndmask_b32_e32 v13, v5, v8, vcc_lo
; %bb.1698:                             ;   in Loop: Header=BB8_959 Depth=2
	s_or_b32 exec_lo, exec_lo, s14
	v_lshlrev_b32_e32 v4, 16, v14
	v_lshlrev_b32_e32 v5, 16, v10
	s_mov_b32 s14, exec_lo
                                        ; implicit-def: $vgpr17
	s_delay_alu instid0(VALU_DEP_1) | instskip(NEXT) | instid1(VALU_DEP_1)
	v_mul_f32_e32 v4, v5, v4
	v_and_b32_e32 v5, 0x7f800000, v4
	s_delay_alu instid0(VALU_DEP_1)
	v_cmpx_ne_u32_e32 0x7f800000, v5
	s_xor_b32 s14, exec_lo, s14
; %bb.1699:                             ;   in Loop: Header=BB8_959 Depth=2
	v_bfe_u32 v5, v4, 16, 1
	s_delay_alu instid0(VALU_DEP_1)
	v_add3_u32 v17, v4, v5, 0x7fff
                                        ; implicit-def: $vgpr4
; %bb.1700:                             ;   in Loop: Header=BB8_959 Depth=2
	s_and_not1_saveexec_b32 s14, s14
; %bb.1701:                             ;   in Loop: Header=BB8_959 Depth=2
	v_and_b32_e32 v5, 0xffff, v4
	v_or_b32_e32 v8, 0x10000, v4
	s_delay_alu instid0(VALU_DEP_2) | instskip(NEXT) | instid1(VALU_DEP_2)
	v_cmp_eq_u32_e32 vcc_lo, 0, v5
	v_cndmask_b32_e32 v17, v8, v4, vcc_lo
; %bb.1702:                             ;   in Loop: Header=BB8_959 Depth=2
	s_or_b32 exec_lo, exec_lo, s14
	v_and_b32_e32 v5, 0xffff0000, v14
	v_and_b32_e32 v4, 0xffff0000, v10
	s_mov_b32 s14, exec_lo
                                        ; implicit-def: $vgpr10
	s_delay_alu instid0(VALU_DEP_2) | instskip(NEXT) | instid1(VALU_DEP_1)
	v_mov_b32_e32 v8, v5
	v_pk_mul_f32 v[8:9], v[8:9], v[4:5]
	s_delay_alu instid0(VALU_DEP_1) | instskip(NEXT) | instid1(VALU_DEP_1)
	v_and_b32_e32 v4, 0x7f800000, v8
	v_cmpx_ne_u32_e32 0x7f800000, v4
	s_xor_b32 s14, exec_lo, s14
; %bb.1703:                             ;   in Loop: Header=BB8_959 Depth=2
	v_bfe_u32 v4, v8, 16, 1
	s_delay_alu instid0(VALU_DEP_1)
	v_add3_u32 v10, v8, v4, 0x7fff
                                        ; implicit-def: $vgpr8_vgpr9
; %bb.1704:                             ;   in Loop: Header=BB8_959 Depth=2
	s_and_not1_saveexec_b32 s14, s14
; %bb.1705:                             ;   in Loop: Header=BB8_959 Depth=2
	v_and_b32_e32 v4, 0xffff, v8
	v_or_b32_e32 v5, 0x10000, v8
	s_delay_alu instid0(VALU_DEP_2) | instskip(NEXT) | instid1(VALU_DEP_2)
	v_cmp_eq_u32_e32 vcc_lo, 0, v4
	v_cndmask_b32_e32 v10, v5, v8, vcc_lo
; %bb.1706:                             ;   in Loop: Header=BB8_959 Depth=2
	s_or_b32 exec_lo, exec_lo, s14
	v_lshlrev_b32_e32 v4, 16, v11
	v_lshlrev_b32_e32 v5, 16, v15
	s_delay_alu instid0(VALU_DEP_1) | instskip(NEXT) | instid1(VALU_DEP_1)
	v_mul_f32_e32 v5, v5, v4
	v_and_b32_e32 v4, 0x7f800000, v5
	s_delay_alu instid0(VALU_DEP_1) | instskip(SKIP_1) | instid1(SALU_CYCLE_1)
	v_cmp_ne_u32_e32 vcc_lo, 0x7f800000, v4
                                        ; implicit-def: $vgpr4
	s_and_saveexec_b32 s14, vcc_lo
	s_xor_b32 s14, exec_lo, s14
; %bb.1707:                             ;   in Loop: Header=BB8_959 Depth=2
	v_bfe_u32 v4, v5, 16, 1
	s_delay_alu instid0(VALU_DEP_1)
	v_add3_u32 v4, v5, v4, 0x7fff
                                        ; implicit-def: $vgpr5
; %bb.1708:                             ;   in Loop: Header=BB8_959 Depth=2
	s_and_not1_saveexec_b32 s14, s14
; %bb.1709:                             ;   in Loop: Header=BB8_959 Depth=2
	v_and_b32_e32 v4, 0xffff, v5
	v_or_b32_e32 v8, 0x10000, v5
	s_delay_alu instid0(VALU_DEP_2) | instskip(NEXT) | instid1(VALU_DEP_2)
	v_cmp_eq_u32_e32 vcc_lo, 0, v4
	v_cndmask_b32_e32 v4, v8, v5, vcc_lo
; %bb.1710:                             ;   in Loop: Header=BB8_959 Depth=2
	s_or_b32 exec_lo, exec_lo, s14
	v_and_b32_e32 v9, 0xffff0000, v15
	v_and_b32_e32 v8, 0xffff0000, v11
	s_delay_alu instid0(VALU_DEP_2) | instskip(NEXT) | instid1(VALU_DEP_1)
	v_mov_b32_e32 v14, v9
	v_pk_mul_f32 v[8:9], v[14:15], v[8:9]
	s_delay_alu instid0(VALU_DEP_1) | instskip(NEXT) | instid1(VALU_DEP_1)
	v_and_b32_e32 v5, 0x7f800000, v8
	v_cmp_ne_u32_e32 vcc_lo, 0x7f800000, v5
                                        ; implicit-def: $vgpr5
	s_and_saveexec_b32 s14, vcc_lo
	s_delay_alu instid0(SALU_CYCLE_1)
	s_xor_b32 s14, exec_lo, s14
; %bb.1711:                             ;   in Loop: Header=BB8_959 Depth=2
	v_bfe_u32 v5, v8, 16, 1
	s_delay_alu instid0(VALU_DEP_1)
	v_add3_u32 v5, v8, v5, 0x7fff
                                        ; implicit-def: $vgpr8_vgpr9
; %bb.1712:                             ;   in Loop: Header=BB8_959 Depth=2
	s_and_not1_saveexec_b32 s14, s14
; %bb.1713:                             ;   in Loop: Header=BB8_959 Depth=2
	v_and_b32_e32 v5, 0xffff, v8
	v_or_b32_e32 v9, 0x10000, v8
	s_delay_alu instid0(VALU_DEP_2) | instskip(NEXT) | instid1(VALU_DEP_2)
	v_cmp_eq_u32_e32 vcc_lo, 0, v5
	v_cndmask_b32_e32 v5, v9, v8, vcc_lo
; %bb.1714:                             ;   in Loop: Header=BB8_959 Depth=2
	s_or_b32 exec_lo, exec_lo, s14
	v_dual_lshrrev_b32 v8, 16, v24 :: v_dual_lshrrev_b32 v9, 16, v26
	v_lshrrev_b32_e32 v11, 16, v25
	v_dual_lshrrev_b32 v14, 16, v17 :: v_dual_lshrrev_b32 v4, 16, v4
	s_delay_alu instid0(VALU_DEP_3) | instskip(SKIP_4) | instid1(VALU_DEP_4)
	v_and_or_b32 v25, 0xffff0000, v21, v8
	v_lshrrev_b32_e32 v8, 16, v22
	v_and_or_b32 v24, 0xffff0000, v20, v9
	v_and_or_b32 v26, 0xffff0000, v18, v11
	v_dual_lshrrev_b32 v9, 16, v16 :: v_dual_lshrrev_b32 v11, 16, v23
	v_and_or_b32 v27, 0xffff0000, v19, v8
	v_and_or_b32 v10, 0xffff0000, v10, v14
	s_delay_alu instid0(VALU_DEP_3) | instskip(NEXT) | instid1(VALU_DEP_4)
	v_and_or_b32 v9, 0xffff0000, v13, v9
	v_and_or_b32 v8, 0xffff0000, v12, v11
	;; [unrolled: 1-line block ×3, first 2 shown]
	s_clause 0x1
	global_store_b128 v[90:91], v[24:27], off th:TH_STORE_NT
	global_store_b128 v[90:91], v[8:11], off offset:512 th:TH_STORE_NT
.LBB8_1715:                             ;   in Loop: Header=BB8_959 Depth=2
	s_wait_xcnt 0x0
	s_or_b32 exec_lo, exec_lo, s13
	v_lshlrev_b32_e32 v24, 10, v75
	s_mov_b32 s77, exec_lo
                                        ; implicit-def: $vgpr14
                                        ; implicit-def: $vgpr15
                                        ; implicit-def: $vgpr8
	s_delay_alu instid0(VALU_DEP_1)
	v_cmpx_ne_u32_e64 v73, v24
	s_cbranch_execz .LBB8_1830
; %bb.1716:                             ;   in Loop: Header=BB8_959 Depth=2
	v_dual_lshlrev_b32 v4, 5, v106 :: v_dual_sub_nc_u32 v10, v73, v24
	s_mov_b32 s15, 0
	s_mov_b32 s78, exec_lo
	s_delay_alu instid0(VALU_DEP_1) | instskip(NEXT) | instid1(VALU_DEP_1)
	v_dual_sub_nc_u32 v4, v0, v4 :: v_dual_ashrrev_i32 v9, 31, v10
	v_ashrrev_i32_e32 v5, 31, v4
	s_delay_alu instid0(VALU_DEP_1) | instskip(NEXT) | instid1(VALU_DEP_1)
	v_lshrrev_b32_e32 v5, 27, v5
	v_add_nc_u32_e32 v5, v4, v5
	s_delay_alu instid0(VALU_DEP_1) | instskip(NEXT) | instid1(VALU_DEP_1)
	v_and_b32_e32 v8, 0xffffffe0, v5
	v_dual_sub_nc_u32 v26, v4, v8 :: v_dual_lshrrev_b32 v4, 23, v9
	s_delay_alu instid0(VALU_DEP_1) | instskip(NEXT) | instid1(VALU_DEP_2)
	v_dual_ashrrev_i32 v5, 5, v5 :: v_dual_lshlrev_b32 v8, 4, v26
	v_add_nc_u32_e32 v4, v10, v4
	s_delay_alu instid0(VALU_DEP_2) | instskip(NEXT) | instid1(VALU_DEP_2)
	v_lshl_add_u32 v11, v5, 9, v8
	v_and_b32_e32 v25, 0xfffffe00, v4
	s_delay_alu instid0(VALU_DEP_2) | instskip(NEXT) | instid1(VALU_DEP_2)
	v_dual_ashrrev_i32 v4, 9, v4 :: v_dual_sub_nc_u32 v33, v10, v11
	v_dual_add_nc_u32 v8, v11, v24 :: v_dual_sub_nc_u32 v27, v10, v25
	s_delay_alu instid0(VALU_DEP_1) | instskip(NEXT) | instid1(VALU_DEP_1)
	v_cmp_lt_i32_e64 s13, 15, v27
	v_add_co_ci_u32_e64 v4, null, 0, v4, s13
	s_delay_alu instid0(VALU_DEP_1) | instskip(NEXT) | instid1(VALU_DEP_1)
	v_dual_ashrrev_i32 v9, 31, v8 :: v_dual_sub_nc_u32 v32, v4, v5
	v_add_nc_u64_e32 v[16:17], v[8:9], v[88:89]
	v_cmpx_lt_i32_e32 15, v33
	s_cbranch_execz .LBB8_1793
; %bb.1717:                             ;   in Loop: Header=BB8_959 Depth=2
	s_trap 2
	ds_load_b64 v[4:5], v0
	v_add_nc_u64_e32 v[18:19], v[8:9], v[78:79]
	s_mov_b32 s89, 0
	s_mov_b32 s79, 0
                                        ; implicit-def: $sgpr88
	s_wait_dscnt 0x0
	v_add_nc_u64_e32 v[20:21], v[4:5], v[8:9]
	s_branch .LBB8_1719
.LBB8_1718:                             ;   in Loop: Header=BB8_1719 Depth=3
	s_or_b32 exec_lo, exec_lo, s14
	s_delay_alu instid0(VALU_DEP_1) | instskip(SKIP_3) | instid1(SALU_CYCLE_1)
	v_cmp_gt_i32_e32 vcc_lo, 16, v33
	s_or_b32 s79, vcc_lo, s79
	s_and_not1_b32 s14, s88, exec_lo
	s_and_b32 s15, s89, exec_lo
	s_or_b32 s88, s14, s15
	s_and_not1_b32 exec_lo, exec_lo, s79
	s_cbranch_execz .LBB8_1792
.LBB8_1719:                             ;   Parent Loop BB8_47 Depth=1
                                        ;     Parent Loop BB8_959 Depth=2
                                        ; =>    This Loop Header: Depth=3
                                        ;         Child Loop BB8_1720 Depth 4
                                        ;         Child Loop BB8_1757 Depth 4
	s_add_co_i32 s14, s33, 0xc0
	s_mov_b64 s[40:41], 0
	s_mov_b32 s90, s14
	s_mov_b32 s91, -1
.LBB8_1720:                             ;   Parent Loop BB8_47 Depth=1
                                        ;     Parent Loop BB8_959 Depth=2
                                        ;       Parent Loop BB8_1719 Depth=3
                                        ; =>      This Inner Loop Header: Depth=4
	s_cmp_eq_u32 s40, 1
	s_cselect_b32 vcc_lo, -1, 0
	s_cmp_eq_u32 s40, 0
	v_dual_cndmask_b32 v5, v19, v21 :: v_dual_cndmask_b32 v4, v18, v20
	s_cselect_b32 s14, -1, 0
	s_and_b32 s15, exec_lo, s91
	s_mov_b64 s[40:41], 1
	s_mov_b32 s91, 0
	global_load_b128 v[8:11], v[4:5], off th:TH_LOAD_NT
	s_wait_xcnt 0x0
	v_add_nc_u64_e32 v[4:5], 0x200, v[4:5]
	s_delay_alu instid0(VALU_DEP_1)
	v_dual_cndmask_b32 v19, v19, v5, s14 :: v_dual_cndmask_b32 v18, v18, v4, s14
	v_dual_cndmask_b32 v21, v21, v5 :: v_dual_cndmask_b32 v20, v20, v4
	s_mov_b32 vcc_lo, s15
	s_wait_loadcnt 0x0
	scratch_store_b128 off, v[8:11], s90
	s_wait_xcnt 0x0
	s_mov_b32 s90, s60
	s_cbranch_vccnz .LBB8_1720
; %bb.1721:                             ;   in Loop: Header=BB8_1719 Depth=3
	s_and_saveexec_b32 s14, s89
	s_cbranch_execz .LBB8_1755
; %bb.1722:                             ;   in Loop: Header=BB8_1719 Depth=3
	s_clause 0x1
	scratch_load_b128 v[8:11], off, s33 offset:224
	scratch_load_b128 v[12:15], off, s33 offset:240
	s_mov_b32 s15, exec_lo
                                        ; implicit-def: $vgpr34
	s_wait_loadcnt 0x1
	v_lshlrev_b32_e32 v4, 16, v8
	s_wait_loadcnt 0x0
	v_lshlrev_b32_e32 v5, 16, v12
	s_delay_alu instid0(VALU_DEP_1) | instskip(NEXT) | instid1(VALU_DEP_1)
	v_mul_f32_e32 v4, v4, v5
	v_and_b32_e32 v5, 0x7f800000, v4
	s_wait_xcnt 0x0
	s_delay_alu instid0(VALU_DEP_1)
	v_cmpx_ne_u32_e32 0x7f800000, v5
	s_xor_b32 s15, exec_lo, s15
; %bb.1723:                             ;   in Loop: Header=BB8_1719 Depth=3
	v_bfe_u32 v5, v4, 16, 1
	s_delay_alu instid0(VALU_DEP_1)
	v_add3_u32 v34, v4, v5, 0x7fff
                                        ; implicit-def: $vgpr4
; %bb.1724:                             ;   in Loop: Header=BB8_1719 Depth=3
	s_and_not1_saveexec_b32 s15, s15
; %bb.1725:                             ;   in Loop: Header=BB8_1719 Depth=3
	v_and_b32_e32 v5, 0xffff, v4
	v_or_b32_e32 v22, 0x10000, v4
	s_delay_alu instid0(VALU_DEP_2) | instskip(NEXT) | instid1(VALU_DEP_2)
	v_cmp_eq_u32_e32 vcc_lo, 0, v5
	v_cndmask_b32_e32 v34, v22, v4, vcc_lo
; %bb.1726:                             ;   in Loop: Header=BB8_1719 Depth=3
	s_or_b32 exec_lo, exec_lo, s15
	v_and_b32_e32 v5, 0xffff0000, v12
	v_and_b32_e32 v4, 0xffff0000, v8
	s_mov_b32 s15, exec_lo
                                        ; implicit-def: $vgpr12
	s_delay_alu instid0(VALU_DEP_2) | instskip(NEXT) | instid1(VALU_DEP_1)
	v_mov_b32_e32 v8, v5
	v_pk_mul_f32 v[22:23], v[8:9], v[4:5]
	s_delay_alu instid0(VALU_DEP_1) | instskip(NEXT) | instid1(VALU_DEP_1)
	v_and_b32_e32 v4, 0x7f800000, v22
	v_cmpx_ne_u32_e32 0x7f800000, v4
	s_xor_b32 s15, exec_lo, s15
; %bb.1727:                             ;   in Loop: Header=BB8_1719 Depth=3
	v_bfe_u32 v4, v22, 16, 1
	s_delay_alu instid0(VALU_DEP_1)
	v_add3_u32 v12, v22, v4, 0x7fff
                                        ; implicit-def: $vgpr22_vgpr23
; %bb.1728:                             ;   in Loop: Header=BB8_1719 Depth=3
	s_and_not1_saveexec_b32 s15, s15
; %bb.1729:                             ;   in Loop: Header=BB8_1719 Depth=3
	v_and_b32_e32 v4, 0xffff, v22
	v_or_b32_e32 v5, 0x10000, v22
	s_delay_alu instid0(VALU_DEP_2) | instskip(NEXT) | instid1(VALU_DEP_2)
	v_cmp_eq_u32_e32 vcc_lo, 0, v4
	v_cndmask_b32_e32 v12, v5, v22, vcc_lo
; %bb.1730:                             ;   in Loop: Header=BB8_1719 Depth=3
	s_or_b32 exec_lo, exec_lo, s15
	v_lshlrev_b32_e32 v4, 16, v9
	v_lshlrev_b32_e32 v5, 16, v13
	s_mov_b32 s15, exec_lo
                                        ; implicit-def: $vgpr22
	s_delay_alu instid0(VALU_DEP_1) | instskip(NEXT) | instid1(VALU_DEP_1)
	v_mul_f32_e32 v4, v5, v4
	v_and_b32_e32 v5, 0x7f800000, v4
	s_delay_alu instid0(VALU_DEP_1)
	v_cmpx_ne_u32_e32 0x7f800000, v5
	s_xor_b32 s15, exec_lo, s15
; %bb.1731:                             ;   in Loop: Header=BB8_1719 Depth=3
	v_bfe_u32 v5, v4, 16, 1
	s_delay_alu instid0(VALU_DEP_1)
	v_add3_u32 v22, v4, v5, 0x7fff
                                        ; implicit-def: $vgpr4
; %bb.1732:                             ;   in Loop: Header=BB8_1719 Depth=3
	s_and_not1_saveexec_b32 s15, s15
; %bb.1733:                             ;   in Loop: Header=BB8_1719 Depth=3
	v_and_b32_e32 v5, 0xffff, v4
	v_or_b32_e32 v8, 0x10000, v4
	s_delay_alu instid0(VALU_DEP_2) | instskip(NEXT) | instid1(VALU_DEP_2)
	v_cmp_eq_u32_e32 vcc_lo, 0, v5
	v_cndmask_b32_e32 v22, v8, v4, vcc_lo
; %bb.1734:                             ;   in Loop: Header=BB8_1719 Depth=3
	s_or_b32 exec_lo, exec_lo, s15
	v_and_b32_e32 v5, 0xffff0000, v13
	v_and_b32_e32 v4, 0xffff0000, v9
	s_mov_b32 s15, exec_lo
                                        ; implicit-def: $vgpr13
	s_delay_alu instid0(VALU_DEP_2) | instskip(NEXT) | instid1(VALU_DEP_1)
	v_mov_b32_e32 v8, v5
	v_pk_mul_f32 v[8:9], v[8:9], v[4:5]
	s_delay_alu instid0(VALU_DEP_1) | instskip(NEXT) | instid1(VALU_DEP_1)
	v_and_b32_e32 v4, 0x7f800000, v8
	v_cmpx_ne_u32_e32 0x7f800000, v4
	s_xor_b32 s15, exec_lo, s15
; %bb.1735:                             ;   in Loop: Header=BB8_1719 Depth=3
	v_bfe_u32 v4, v8, 16, 1
	s_delay_alu instid0(VALU_DEP_1)
	v_add3_u32 v13, v8, v4, 0x7fff
                                        ; implicit-def: $vgpr8_vgpr9
; %bb.1736:                             ;   in Loop: Header=BB8_1719 Depth=3
	s_and_not1_saveexec_b32 s15, s15
; %bb.1737:                             ;   in Loop: Header=BB8_1719 Depth=3
	v_and_b32_e32 v4, 0xffff, v8
	v_or_b32_e32 v5, 0x10000, v8
	s_delay_alu instid0(VALU_DEP_2) | instskip(NEXT) | instid1(VALU_DEP_2)
	v_cmp_eq_u32_e32 vcc_lo, 0, v4
	v_cndmask_b32_e32 v13, v5, v8, vcc_lo
; %bb.1738:                             ;   in Loop: Header=BB8_1719 Depth=3
	s_or_b32 exec_lo, exec_lo, s15
	v_lshlrev_b32_e32 v4, 16, v10
	v_lshlrev_b32_e32 v5, 16, v14
	s_mov_b32 s15, exec_lo
                                        ; implicit-def: $vgpr23
	s_delay_alu instid0(VALU_DEP_1) | instskip(NEXT) | instid1(VALU_DEP_1)
	v_mul_f32_e32 v4, v5, v4
	v_and_b32_e32 v5, 0x7f800000, v4
	s_delay_alu instid0(VALU_DEP_1)
	v_cmpx_ne_u32_e32 0x7f800000, v5
	s_xor_b32 s15, exec_lo, s15
; %bb.1739:                             ;   in Loop: Header=BB8_1719 Depth=3
	v_bfe_u32 v5, v4, 16, 1
	s_delay_alu instid0(VALU_DEP_1)
	v_add3_u32 v23, v4, v5, 0x7fff
                                        ; implicit-def: $vgpr4
; %bb.1740:                             ;   in Loop: Header=BB8_1719 Depth=3
	s_and_not1_saveexec_b32 s15, s15
; %bb.1741:                             ;   in Loop: Header=BB8_1719 Depth=3
	v_and_b32_e32 v5, 0xffff, v4
	v_or_b32_e32 v8, 0x10000, v4
	s_delay_alu instid0(VALU_DEP_2) | instskip(NEXT) | instid1(VALU_DEP_2)
	v_cmp_eq_u32_e32 vcc_lo, 0, v5
	v_cndmask_b32_e32 v23, v8, v4, vcc_lo
; %bb.1742:                             ;   in Loop: Header=BB8_1719 Depth=3
	s_or_b32 exec_lo, exec_lo, s15
	v_and_b32_e32 v5, 0xffff0000, v14
	v_and_b32_e32 v4, 0xffff0000, v10
	s_mov_b32 s15, exec_lo
                                        ; implicit-def: $vgpr10
	s_delay_alu instid0(VALU_DEP_2) | instskip(NEXT) | instid1(VALU_DEP_1)
	v_mov_b32_e32 v8, v5
	v_pk_mul_f32 v[8:9], v[8:9], v[4:5]
	s_delay_alu instid0(VALU_DEP_1) | instskip(NEXT) | instid1(VALU_DEP_1)
	v_and_b32_e32 v4, 0x7f800000, v8
	v_cmpx_ne_u32_e32 0x7f800000, v4
	s_xor_b32 s15, exec_lo, s15
; %bb.1743:                             ;   in Loop: Header=BB8_1719 Depth=3
	v_bfe_u32 v4, v8, 16, 1
	s_delay_alu instid0(VALU_DEP_1)
	v_add3_u32 v10, v8, v4, 0x7fff
                                        ; implicit-def: $vgpr8_vgpr9
; %bb.1744:                             ;   in Loop: Header=BB8_1719 Depth=3
	s_and_not1_saveexec_b32 s15, s15
; %bb.1745:                             ;   in Loop: Header=BB8_1719 Depth=3
	v_and_b32_e32 v4, 0xffff, v8
	v_or_b32_e32 v5, 0x10000, v8
	s_delay_alu instid0(VALU_DEP_2) | instskip(NEXT) | instid1(VALU_DEP_2)
	v_cmp_eq_u32_e32 vcc_lo, 0, v4
	v_cndmask_b32_e32 v10, v5, v8, vcc_lo
; %bb.1746:                             ;   in Loop: Header=BB8_1719 Depth=3
	s_or_b32 exec_lo, exec_lo, s15
	v_lshlrev_b32_e32 v4, 16, v11
	v_lshlrev_b32_e32 v5, 16, v15
	s_delay_alu instid0(VALU_DEP_1) | instskip(NEXT) | instid1(VALU_DEP_1)
	v_mul_f32_e32 v5, v5, v4
	v_and_b32_e32 v4, 0x7f800000, v5
	s_delay_alu instid0(VALU_DEP_1) | instskip(SKIP_1) | instid1(SALU_CYCLE_1)
	v_cmp_ne_u32_e32 vcc_lo, 0x7f800000, v4
                                        ; implicit-def: $vgpr4
	s_and_saveexec_b32 s15, vcc_lo
	s_xor_b32 s15, exec_lo, s15
; %bb.1747:                             ;   in Loop: Header=BB8_1719 Depth=3
	v_bfe_u32 v4, v5, 16, 1
	s_delay_alu instid0(VALU_DEP_1)
	v_add3_u32 v4, v5, v4, 0x7fff
                                        ; implicit-def: $vgpr5
; %bb.1748:                             ;   in Loop: Header=BB8_1719 Depth=3
	s_and_not1_saveexec_b32 s15, s15
; %bb.1749:                             ;   in Loop: Header=BB8_1719 Depth=3
	v_and_b32_e32 v4, 0xffff, v5
	v_or_b32_e32 v8, 0x10000, v5
	s_delay_alu instid0(VALU_DEP_2) | instskip(NEXT) | instid1(VALU_DEP_2)
	v_cmp_eq_u32_e32 vcc_lo, 0, v4
	v_cndmask_b32_e32 v4, v8, v5, vcc_lo
; %bb.1750:                             ;   in Loop: Header=BB8_1719 Depth=3
	s_or_b32 exec_lo, exec_lo, s15
	v_and_b32_e32 v9, 0xffff0000, v15
	v_and_b32_e32 v8, 0xffff0000, v11
	s_delay_alu instid0(VALU_DEP_2) | instskip(NEXT) | instid1(VALU_DEP_1)
	v_mov_b32_e32 v14, v9
	v_pk_mul_f32 v[8:9], v[14:15], v[8:9]
	s_delay_alu instid0(VALU_DEP_1) | instskip(NEXT) | instid1(VALU_DEP_1)
	v_and_b32_e32 v5, 0x7f800000, v8
	v_cmp_ne_u32_e32 vcc_lo, 0x7f800000, v5
                                        ; implicit-def: $vgpr5
	s_and_saveexec_b32 s15, vcc_lo
	s_delay_alu instid0(SALU_CYCLE_1)
	s_xor_b32 s15, exec_lo, s15
; %bb.1751:                             ;   in Loop: Header=BB8_1719 Depth=3
	v_bfe_u32 v5, v8, 16, 1
	s_delay_alu instid0(VALU_DEP_1)
	v_add3_u32 v5, v8, v5, 0x7fff
                                        ; implicit-def: $vgpr8_vgpr9
; %bb.1752:                             ;   in Loop: Header=BB8_1719 Depth=3
	s_and_not1_saveexec_b32 s15, s15
; %bb.1753:                             ;   in Loop: Header=BB8_1719 Depth=3
	v_and_b32_e32 v5, 0xffff, v8
	v_or_b32_e32 v9, 0x10000, v8
	s_delay_alu instid0(VALU_DEP_2) | instskip(NEXT) | instid1(VALU_DEP_2)
	v_cmp_eq_u32_e32 vcc_lo, 0, v5
	v_cndmask_b32_e32 v5, v9, v8, vcc_lo
; %bb.1754:                             ;   in Loop: Header=BB8_1719 Depth=3
	s_or_b32 exec_lo, exec_lo, s15
	v_dual_lshrrev_b32 v8, 16, v22 :: v_dual_lshrrev_b32 v14, 16, v23
	v_dual_lshrrev_b32 v11, 16, v34 :: v_dual_lshrrev_b32 v4, 16, v4
	s_delay_alu instid0(VALU_DEP_2) | instskip(NEXT) | instid1(VALU_DEP_3)
	v_and_or_b32 v9, 0xffff0000, v13, v8
	v_and_or_b32 v10, 0xffff0000, v10, v14
	s_delay_alu instid0(VALU_DEP_3) | instskip(NEXT) | instid1(VALU_DEP_4)
	v_and_or_b32 v8, 0xffff0000, v12, v11
	v_and_or_b32 v11, 0xffff0000, v5, v4
	global_store_b128 v[16:17], v[8:11], off th:TH_STORE_NT
	s_wait_xcnt 0x0
	v_add_nc_u64_e32 v[16:17], v[40:41], v[16:17]
	scratch_store_b128 off, v[8:11], s33 offset:224
.LBB8_1755:                             ;   in Loop: Header=BB8_1719 Depth=3
	s_wait_xcnt 0x0
	s_or_b32 exec_lo, exec_lo, s14
	v_sub_nc_u32_e32 v33, v33, v122
	v_add_nc_u64_e32 v[18:19], v[18:19], v[112:113]
	v_add_nc_u64_e32 v[20:21], v[20:21], v[112:113]
	s_delay_alu instid0(VALU_DEP_3)
	v_cmp_lt_i32_e64 s89, 15, v33
	s_and_saveexec_b32 s90, s89
	s_cbranch_execz .LBB8_1758
; %bb.1756:                             ;   in Loop: Header=BB8_1719 Depth=3
	s_add_co_i32 s14, s33, 0xe0
	s_mov_b64 s[40:41], 0
	s_mov_b32 s91, s14
	s_mov_b32 s92, -1
.LBB8_1757:                             ;   Parent Loop BB8_47 Depth=1
                                        ;     Parent Loop BB8_959 Depth=2
                                        ;       Parent Loop BB8_1719 Depth=3
                                        ; =>      This Inner Loop Header: Depth=4
	s_cmp_eq_u32 s40, 1
	s_cselect_b32 vcc_lo, -1, 0
	s_cmp_eq_u32 s40, 0
	v_dual_cndmask_b32 v5, v19, v21 :: v_dual_cndmask_b32 v4, v18, v20
	s_cselect_b32 s14, -1, 0
	s_and_b32 s15, exec_lo, s92
	s_mov_b64 s[40:41], 1
	s_mov_b32 s92, 0
	global_load_b128 v[8:11], v[4:5], off th:TH_LOAD_NT
	s_wait_xcnt 0x0
	v_add_nc_u64_e32 v[4:5], 0x200, v[4:5]
	s_delay_alu instid0(VALU_DEP_1)
	v_dual_cndmask_b32 v19, v19, v5, s14 :: v_dual_cndmask_b32 v18, v18, v4, s14
	v_dual_cndmask_b32 v21, v21, v5 :: v_dual_cndmask_b32 v20, v20, v4
	s_mov_b32 vcc_lo, s15
	s_wait_loadcnt 0x0
	scratch_store_b128 off, v[8:11], s91
	s_wait_xcnt 0x0
	s_mov_b32 s91, s59
	s_cbranch_vccnz .LBB8_1757
.LBB8_1758:                             ;   in Loop: Header=BB8_1719 Depth=3
	s_or_b32 exec_lo, exec_lo, s90
	s_clause 0x1
	scratch_load_b128 v[8:11], off, s33 offset:192
	scratch_load_b128 v[12:15], off, s33 offset:208
	s_mov_b32 s14, exec_lo
                                        ; implicit-def: $vgpr34
	s_wait_loadcnt 0x1
	v_lshlrev_b32_e32 v4, 16, v8
	s_wait_loadcnt 0x0
	v_lshlrev_b32_e32 v5, 16, v12
	s_delay_alu instid0(VALU_DEP_1) | instskip(NEXT) | instid1(VALU_DEP_1)
	v_mul_f32_e32 v4, v4, v5
	v_and_b32_e32 v5, 0x7f800000, v4
	s_wait_xcnt 0x0
	s_delay_alu instid0(VALU_DEP_1)
	v_cmpx_ne_u32_e32 0x7f800000, v5
	s_xor_b32 s14, exec_lo, s14
; %bb.1759:                             ;   in Loop: Header=BB8_1719 Depth=3
	v_bfe_u32 v5, v4, 16, 1
	s_delay_alu instid0(VALU_DEP_1)
	v_add3_u32 v34, v4, v5, 0x7fff
                                        ; implicit-def: $vgpr4
; %bb.1760:                             ;   in Loop: Header=BB8_1719 Depth=3
	s_and_not1_saveexec_b32 s14, s14
; %bb.1761:                             ;   in Loop: Header=BB8_1719 Depth=3
	v_and_b32_e32 v5, 0xffff, v4
	v_or_b32_e32 v22, 0x10000, v4
	s_delay_alu instid0(VALU_DEP_2) | instskip(NEXT) | instid1(VALU_DEP_2)
	v_cmp_eq_u32_e32 vcc_lo, 0, v5
	v_cndmask_b32_e32 v34, v22, v4, vcc_lo
; %bb.1762:                             ;   in Loop: Header=BB8_1719 Depth=3
	s_or_b32 exec_lo, exec_lo, s14
	v_and_b32_e32 v5, 0xffff0000, v12
	v_and_b32_e32 v4, 0xffff0000, v8
	s_mov_b32 s14, exec_lo
                                        ; implicit-def: $vgpr12
	s_delay_alu instid0(VALU_DEP_2) | instskip(NEXT) | instid1(VALU_DEP_1)
	v_mov_b32_e32 v8, v5
	v_pk_mul_f32 v[22:23], v[8:9], v[4:5]
	s_delay_alu instid0(VALU_DEP_1) | instskip(NEXT) | instid1(VALU_DEP_1)
	v_and_b32_e32 v4, 0x7f800000, v22
	v_cmpx_ne_u32_e32 0x7f800000, v4
	s_xor_b32 s14, exec_lo, s14
; %bb.1763:                             ;   in Loop: Header=BB8_1719 Depth=3
	v_bfe_u32 v4, v22, 16, 1
	s_delay_alu instid0(VALU_DEP_1)
	v_add3_u32 v12, v22, v4, 0x7fff
                                        ; implicit-def: $vgpr22_vgpr23
; %bb.1764:                             ;   in Loop: Header=BB8_1719 Depth=3
	s_and_not1_saveexec_b32 s14, s14
; %bb.1765:                             ;   in Loop: Header=BB8_1719 Depth=3
	v_and_b32_e32 v4, 0xffff, v22
	v_or_b32_e32 v5, 0x10000, v22
	s_delay_alu instid0(VALU_DEP_2) | instskip(NEXT) | instid1(VALU_DEP_2)
	v_cmp_eq_u32_e32 vcc_lo, 0, v4
	v_cndmask_b32_e32 v12, v5, v22, vcc_lo
; %bb.1766:                             ;   in Loop: Header=BB8_1719 Depth=3
	s_or_b32 exec_lo, exec_lo, s14
	v_lshlrev_b32_e32 v4, 16, v9
	v_lshlrev_b32_e32 v5, 16, v13
	s_mov_b32 s14, exec_lo
                                        ; implicit-def: $vgpr22
	s_delay_alu instid0(VALU_DEP_1) | instskip(NEXT) | instid1(VALU_DEP_1)
	v_mul_f32_e32 v4, v5, v4
	v_and_b32_e32 v5, 0x7f800000, v4
	s_delay_alu instid0(VALU_DEP_1)
	v_cmpx_ne_u32_e32 0x7f800000, v5
	s_xor_b32 s14, exec_lo, s14
; %bb.1767:                             ;   in Loop: Header=BB8_1719 Depth=3
	v_bfe_u32 v5, v4, 16, 1
	s_delay_alu instid0(VALU_DEP_1)
	v_add3_u32 v22, v4, v5, 0x7fff
                                        ; implicit-def: $vgpr4
; %bb.1768:                             ;   in Loop: Header=BB8_1719 Depth=3
	s_and_not1_saveexec_b32 s14, s14
; %bb.1769:                             ;   in Loop: Header=BB8_1719 Depth=3
	v_and_b32_e32 v5, 0xffff, v4
	v_or_b32_e32 v8, 0x10000, v4
	s_delay_alu instid0(VALU_DEP_2) | instskip(NEXT) | instid1(VALU_DEP_2)
	v_cmp_eq_u32_e32 vcc_lo, 0, v5
	v_cndmask_b32_e32 v22, v8, v4, vcc_lo
; %bb.1770:                             ;   in Loop: Header=BB8_1719 Depth=3
	s_or_b32 exec_lo, exec_lo, s14
	v_and_b32_e32 v5, 0xffff0000, v13
	v_and_b32_e32 v4, 0xffff0000, v9
	s_mov_b32 s14, exec_lo
                                        ; implicit-def: $vgpr13
	s_delay_alu instid0(VALU_DEP_2) | instskip(NEXT) | instid1(VALU_DEP_1)
	v_mov_b32_e32 v8, v5
	v_pk_mul_f32 v[8:9], v[8:9], v[4:5]
	s_delay_alu instid0(VALU_DEP_1) | instskip(NEXT) | instid1(VALU_DEP_1)
	v_and_b32_e32 v4, 0x7f800000, v8
	v_cmpx_ne_u32_e32 0x7f800000, v4
	s_xor_b32 s14, exec_lo, s14
; %bb.1771:                             ;   in Loop: Header=BB8_1719 Depth=3
	v_bfe_u32 v4, v8, 16, 1
	s_delay_alu instid0(VALU_DEP_1)
	v_add3_u32 v13, v8, v4, 0x7fff
                                        ; implicit-def: $vgpr8_vgpr9
; %bb.1772:                             ;   in Loop: Header=BB8_1719 Depth=3
	s_and_not1_saveexec_b32 s14, s14
; %bb.1773:                             ;   in Loop: Header=BB8_1719 Depth=3
	v_and_b32_e32 v4, 0xffff, v8
	v_or_b32_e32 v5, 0x10000, v8
	s_delay_alu instid0(VALU_DEP_2) | instskip(NEXT) | instid1(VALU_DEP_2)
	v_cmp_eq_u32_e32 vcc_lo, 0, v4
	v_cndmask_b32_e32 v13, v5, v8, vcc_lo
; %bb.1774:                             ;   in Loop: Header=BB8_1719 Depth=3
	s_or_b32 exec_lo, exec_lo, s14
	v_lshlrev_b32_e32 v4, 16, v10
	v_lshlrev_b32_e32 v5, 16, v14
	s_mov_b32 s14, exec_lo
                                        ; implicit-def: $vgpr23
	s_delay_alu instid0(VALU_DEP_1) | instskip(NEXT) | instid1(VALU_DEP_1)
	v_mul_f32_e32 v4, v5, v4
	v_and_b32_e32 v5, 0x7f800000, v4
	s_delay_alu instid0(VALU_DEP_1)
	v_cmpx_ne_u32_e32 0x7f800000, v5
	s_xor_b32 s14, exec_lo, s14
; %bb.1775:                             ;   in Loop: Header=BB8_1719 Depth=3
	v_bfe_u32 v5, v4, 16, 1
	s_delay_alu instid0(VALU_DEP_1)
	v_add3_u32 v23, v4, v5, 0x7fff
                                        ; implicit-def: $vgpr4
; %bb.1776:                             ;   in Loop: Header=BB8_1719 Depth=3
	s_and_not1_saveexec_b32 s14, s14
; %bb.1777:                             ;   in Loop: Header=BB8_1719 Depth=3
	v_and_b32_e32 v5, 0xffff, v4
	v_or_b32_e32 v8, 0x10000, v4
	s_delay_alu instid0(VALU_DEP_2) | instskip(NEXT) | instid1(VALU_DEP_2)
	v_cmp_eq_u32_e32 vcc_lo, 0, v5
	v_cndmask_b32_e32 v23, v8, v4, vcc_lo
; %bb.1778:                             ;   in Loop: Header=BB8_1719 Depth=3
	s_or_b32 exec_lo, exec_lo, s14
	v_and_b32_e32 v5, 0xffff0000, v14
	v_and_b32_e32 v4, 0xffff0000, v10
	s_mov_b32 s14, exec_lo
                                        ; implicit-def: $vgpr10
	s_delay_alu instid0(VALU_DEP_2) | instskip(NEXT) | instid1(VALU_DEP_1)
	v_mov_b32_e32 v8, v5
	v_pk_mul_f32 v[8:9], v[8:9], v[4:5]
	s_delay_alu instid0(VALU_DEP_1) | instskip(NEXT) | instid1(VALU_DEP_1)
	v_and_b32_e32 v4, 0x7f800000, v8
	v_cmpx_ne_u32_e32 0x7f800000, v4
	s_xor_b32 s14, exec_lo, s14
; %bb.1779:                             ;   in Loop: Header=BB8_1719 Depth=3
	v_bfe_u32 v4, v8, 16, 1
	s_delay_alu instid0(VALU_DEP_1)
	v_add3_u32 v10, v8, v4, 0x7fff
                                        ; implicit-def: $vgpr8_vgpr9
; %bb.1780:                             ;   in Loop: Header=BB8_1719 Depth=3
	s_and_not1_saveexec_b32 s14, s14
; %bb.1781:                             ;   in Loop: Header=BB8_1719 Depth=3
	v_and_b32_e32 v4, 0xffff, v8
	v_or_b32_e32 v5, 0x10000, v8
	s_delay_alu instid0(VALU_DEP_2) | instskip(NEXT) | instid1(VALU_DEP_2)
	v_cmp_eq_u32_e32 vcc_lo, 0, v4
	v_cndmask_b32_e32 v10, v5, v8, vcc_lo
; %bb.1782:                             ;   in Loop: Header=BB8_1719 Depth=3
	s_or_b32 exec_lo, exec_lo, s14
	v_lshlrev_b32_e32 v4, 16, v11
	v_lshlrev_b32_e32 v5, 16, v15
	s_delay_alu instid0(VALU_DEP_1) | instskip(NEXT) | instid1(VALU_DEP_1)
	v_mul_f32_e32 v5, v5, v4
	v_and_b32_e32 v4, 0x7f800000, v5
	s_delay_alu instid0(VALU_DEP_1) | instskip(SKIP_1) | instid1(SALU_CYCLE_1)
	v_cmp_ne_u32_e32 vcc_lo, 0x7f800000, v4
                                        ; implicit-def: $vgpr4
	s_and_saveexec_b32 s14, vcc_lo
	s_xor_b32 s14, exec_lo, s14
; %bb.1783:                             ;   in Loop: Header=BB8_1719 Depth=3
	v_bfe_u32 v4, v5, 16, 1
	s_delay_alu instid0(VALU_DEP_1)
	v_add3_u32 v4, v5, v4, 0x7fff
                                        ; implicit-def: $vgpr5
; %bb.1784:                             ;   in Loop: Header=BB8_1719 Depth=3
	s_and_not1_saveexec_b32 s14, s14
; %bb.1785:                             ;   in Loop: Header=BB8_1719 Depth=3
	v_and_b32_e32 v4, 0xffff, v5
	v_or_b32_e32 v8, 0x10000, v5
	s_delay_alu instid0(VALU_DEP_2) | instskip(NEXT) | instid1(VALU_DEP_2)
	v_cmp_eq_u32_e32 vcc_lo, 0, v4
	v_cndmask_b32_e32 v4, v8, v5, vcc_lo
; %bb.1786:                             ;   in Loop: Header=BB8_1719 Depth=3
	s_or_b32 exec_lo, exec_lo, s14
	v_and_b32_e32 v9, 0xffff0000, v15
	v_and_b32_e32 v8, 0xffff0000, v11
	s_delay_alu instid0(VALU_DEP_2) | instskip(NEXT) | instid1(VALU_DEP_1)
	v_mov_b32_e32 v14, v9
	v_pk_mul_f32 v[8:9], v[14:15], v[8:9]
	s_delay_alu instid0(VALU_DEP_1) | instskip(NEXT) | instid1(VALU_DEP_1)
	v_and_b32_e32 v5, 0x7f800000, v8
	v_cmp_ne_u32_e32 vcc_lo, 0x7f800000, v5
                                        ; implicit-def: $vgpr5
	s_and_saveexec_b32 s14, vcc_lo
	s_delay_alu instid0(SALU_CYCLE_1)
	s_xor_b32 s14, exec_lo, s14
; %bb.1787:                             ;   in Loop: Header=BB8_1719 Depth=3
	v_bfe_u32 v5, v8, 16, 1
	s_delay_alu instid0(VALU_DEP_1)
	v_add3_u32 v5, v8, v5, 0x7fff
                                        ; implicit-def: $vgpr8_vgpr9
; %bb.1788:                             ;   in Loop: Header=BB8_1719 Depth=3
	s_and_not1_saveexec_b32 s14, s14
; %bb.1789:                             ;   in Loop: Header=BB8_1719 Depth=3
	v_and_b32_e32 v5, 0xffff, v8
	v_or_b32_e32 v9, 0x10000, v8
	s_delay_alu instid0(VALU_DEP_2) | instskip(NEXT) | instid1(VALU_DEP_2)
	v_cmp_eq_u32_e32 vcc_lo, 0, v5
	v_cndmask_b32_e32 v5, v9, v8, vcc_lo
; %bb.1790:                             ;   in Loop: Header=BB8_1719 Depth=3
	s_or_b32 exec_lo, exec_lo, s14
	v_dual_lshrrev_b32 v8, 16, v22 :: v_dual_lshrrev_b32 v14, 16, v23
	v_dual_lshrrev_b32 v11, 16, v34 :: v_dual_lshrrev_b32 v4, 16, v4
	v_sub_nc_u32_e32 v32, v32, v84
	s_delay_alu instid0(VALU_DEP_3) | instskip(NEXT) | instid1(VALU_DEP_4)
	v_and_or_b32 v9, 0xffff0000, v13, v8
	v_and_or_b32 v10, 0xffff0000, v10, v14
	s_delay_alu instid0(VALU_DEP_4)
	v_and_or_b32 v8, 0xffff0000, v12, v11
	v_and_or_b32 v11, 0xffff0000, v5, v4
	global_store_b128 v[16:17], v[8:11], off th:TH_STORE_NT
	s_wait_xcnt 0x0
	v_add_nc_u64_e32 v[16:17], 0x200, v[16:17]
	scratch_store_b128 off, v[8:11], s33 offset:192
	s_wait_xcnt 0x0
	s_and_saveexec_b32 s14, s89
	s_cbranch_execz .LBB8_1718
; %bb.1791:                             ;   in Loop: Header=BB8_1719 Depth=3
	v_add_nc_u64_e32 v[18:19], v[18:19], v[112:113]
	v_add_nc_u64_e32 v[20:21], v[20:21], v[112:113]
	;; [unrolled: 1-line block ×3, first 2 shown]
	v_dual_sub_nc_u32 v33, v33, v122 :: v_dual_sub_nc_u32 v32, v32, v84
	s_branch .LBB8_1718
.LBB8_1792:                             ;   in Loop: Header=BB8_959 Depth=2
	s_or_b32 exec_lo, exec_lo, s79
	s_delay_alu instid0(SALU_CYCLE_1)
	s_and_b32 s15, s88, exec_lo
.LBB8_1793:                             ;   in Loop: Header=BB8_959 Depth=2
	s_or_b32 exec_lo, exec_lo, s78
	s_and_saveexec_b32 s14, s15
	s_cbranch_execz .LBB8_1827
; %bb.1794:                             ;   in Loop: Header=BB8_959 Depth=2
	s_clause 0x1
	scratch_load_b128 v[8:11], off, s33 offset:224
	scratch_load_b128 v[12:15], off, s33 offset:240
	s_mov_b32 s15, exec_lo
                                        ; implicit-def: $vgpr20
	s_wait_loadcnt 0x1
	v_lshlrev_b32_e32 v4, 16, v8
	s_wait_loadcnt 0x0
	v_lshlrev_b32_e32 v5, 16, v12
	s_delay_alu instid0(VALU_DEP_1) | instskip(NEXT) | instid1(VALU_DEP_1)
	v_mul_f32_e32 v4, v4, v5
	v_and_b32_e32 v5, 0x7f800000, v4
	s_wait_xcnt 0x0
	s_delay_alu instid0(VALU_DEP_1)
	v_cmpx_ne_u32_e32 0x7f800000, v5
	s_xor_b32 s15, exec_lo, s15
; %bb.1795:                             ;   in Loop: Header=BB8_959 Depth=2
	v_bfe_u32 v5, v4, 16, 1
	s_delay_alu instid0(VALU_DEP_1)
	v_add3_u32 v20, v4, v5, 0x7fff
                                        ; implicit-def: $vgpr4
; %bb.1796:                             ;   in Loop: Header=BB8_959 Depth=2
	s_and_not1_saveexec_b32 s15, s15
; %bb.1797:                             ;   in Loop: Header=BB8_959 Depth=2
	v_and_b32_e32 v5, 0xffff, v4
	v_or_b32_e32 v18, 0x10000, v4
	s_delay_alu instid0(VALU_DEP_2) | instskip(NEXT) | instid1(VALU_DEP_2)
	v_cmp_eq_u32_e32 vcc_lo, 0, v5
	v_cndmask_b32_e32 v20, v18, v4, vcc_lo
; %bb.1798:                             ;   in Loop: Header=BB8_959 Depth=2
	s_or_b32 exec_lo, exec_lo, s15
	v_and_b32_e32 v5, 0xffff0000, v12
	v_and_b32_e32 v4, 0xffff0000, v8
	s_mov_b32 s15, exec_lo
                                        ; implicit-def: $vgpr12
	s_delay_alu instid0(VALU_DEP_2) | instskip(NEXT) | instid1(VALU_DEP_1)
	v_mov_b32_e32 v8, v5
	v_pk_mul_f32 v[18:19], v[8:9], v[4:5]
	s_delay_alu instid0(VALU_DEP_1) | instskip(NEXT) | instid1(VALU_DEP_1)
	v_and_b32_e32 v4, 0x7f800000, v18
	v_cmpx_ne_u32_e32 0x7f800000, v4
	s_xor_b32 s15, exec_lo, s15
; %bb.1799:                             ;   in Loop: Header=BB8_959 Depth=2
	v_bfe_u32 v4, v18, 16, 1
	s_delay_alu instid0(VALU_DEP_1)
	v_add3_u32 v12, v18, v4, 0x7fff
                                        ; implicit-def: $vgpr18_vgpr19
; %bb.1800:                             ;   in Loop: Header=BB8_959 Depth=2
	s_and_not1_saveexec_b32 s15, s15
; %bb.1801:                             ;   in Loop: Header=BB8_959 Depth=2
	v_and_b32_e32 v4, 0xffff, v18
	v_or_b32_e32 v5, 0x10000, v18
	s_delay_alu instid0(VALU_DEP_2) | instskip(NEXT) | instid1(VALU_DEP_2)
	v_cmp_eq_u32_e32 vcc_lo, 0, v4
	v_cndmask_b32_e32 v12, v5, v18, vcc_lo
; %bb.1802:                             ;   in Loop: Header=BB8_959 Depth=2
	s_or_b32 exec_lo, exec_lo, s15
	v_lshlrev_b32_e32 v4, 16, v9
	v_lshlrev_b32_e32 v5, 16, v13
	s_mov_b32 s15, exec_lo
                                        ; implicit-def: $vgpr18
	s_delay_alu instid0(VALU_DEP_1) | instskip(NEXT) | instid1(VALU_DEP_1)
	v_mul_f32_e32 v4, v5, v4
	v_and_b32_e32 v5, 0x7f800000, v4
	s_delay_alu instid0(VALU_DEP_1)
	v_cmpx_ne_u32_e32 0x7f800000, v5
	s_xor_b32 s15, exec_lo, s15
; %bb.1803:                             ;   in Loop: Header=BB8_959 Depth=2
	v_bfe_u32 v5, v4, 16, 1
	s_delay_alu instid0(VALU_DEP_1)
	v_add3_u32 v18, v4, v5, 0x7fff
                                        ; implicit-def: $vgpr4
; %bb.1804:                             ;   in Loop: Header=BB8_959 Depth=2
	s_and_not1_saveexec_b32 s15, s15
; %bb.1805:                             ;   in Loop: Header=BB8_959 Depth=2
	v_and_b32_e32 v5, 0xffff, v4
	v_or_b32_e32 v8, 0x10000, v4
	s_delay_alu instid0(VALU_DEP_2) | instskip(NEXT) | instid1(VALU_DEP_2)
	v_cmp_eq_u32_e32 vcc_lo, 0, v5
	v_cndmask_b32_e32 v18, v8, v4, vcc_lo
; %bb.1806:                             ;   in Loop: Header=BB8_959 Depth=2
	s_or_b32 exec_lo, exec_lo, s15
	v_and_b32_e32 v5, 0xffff0000, v13
	v_and_b32_e32 v4, 0xffff0000, v9
	s_mov_b32 s15, exec_lo
                                        ; implicit-def: $vgpr13
	s_delay_alu instid0(VALU_DEP_2) | instskip(NEXT) | instid1(VALU_DEP_1)
	v_mov_b32_e32 v8, v5
	v_pk_mul_f32 v[8:9], v[8:9], v[4:5]
	s_delay_alu instid0(VALU_DEP_1) | instskip(NEXT) | instid1(VALU_DEP_1)
	v_and_b32_e32 v4, 0x7f800000, v8
	v_cmpx_ne_u32_e32 0x7f800000, v4
	s_xor_b32 s15, exec_lo, s15
; %bb.1807:                             ;   in Loop: Header=BB8_959 Depth=2
	v_bfe_u32 v4, v8, 16, 1
	s_delay_alu instid0(VALU_DEP_1)
	v_add3_u32 v13, v8, v4, 0x7fff
                                        ; implicit-def: $vgpr8_vgpr9
; %bb.1808:                             ;   in Loop: Header=BB8_959 Depth=2
	s_and_not1_saveexec_b32 s15, s15
; %bb.1809:                             ;   in Loop: Header=BB8_959 Depth=2
	v_and_b32_e32 v4, 0xffff, v8
	v_or_b32_e32 v5, 0x10000, v8
	s_delay_alu instid0(VALU_DEP_2) | instskip(NEXT) | instid1(VALU_DEP_2)
	v_cmp_eq_u32_e32 vcc_lo, 0, v4
	v_cndmask_b32_e32 v13, v5, v8, vcc_lo
; %bb.1810:                             ;   in Loop: Header=BB8_959 Depth=2
	s_or_b32 exec_lo, exec_lo, s15
	v_lshlrev_b32_e32 v4, 16, v10
	v_lshlrev_b32_e32 v5, 16, v14
	s_mov_b32 s15, exec_lo
                                        ; implicit-def: $vgpr19
	s_delay_alu instid0(VALU_DEP_1) | instskip(NEXT) | instid1(VALU_DEP_1)
	v_mul_f32_e32 v4, v5, v4
	v_and_b32_e32 v5, 0x7f800000, v4
	s_delay_alu instid0(VALU_DEP_1)
	v_cmpx_ne_u32_e32 0x7f800000, v5
	s_xor_b32 s15, exec_lo, s15
; %bb.1811:                             ;   in Loop: Header=BB8_959 Depth=2
	v_bfe_u32 v5, v4, 16, 1
	s_delay_alu instid0(VALU_DEP_1)
	v_add3_u32 v19, v4, v5, 0x7fff
                                        ; implicit-def: $vgpr4
; %bb.1812:                             ;   in Loop: Header=BB8_959 Depth=2
	s_and_not1_saveexec_b32 s15, s15
; %bb.1813:                             ;   in Loop: Header=BB8_959 Depth=2
	v_and_b32_e32 v5, 0xffff, v4
	v_or_b32_e32 v8, 0x10000, v4
	s_delay_alu instid0(VALU_DEP_2) | instskip(NEXT) | instid1(VALU_DEP_2)
	v_cmp_eq_u32_e32 vcc_lo, 0, v5
	v_cndmask_b32_e32 v19, v8, v4, vcc_lo
; %bb.1814:                             ;   in Loop: Header=BB8_959 Depth=2
	s_or_b32 exec_lo, exec_lo, s15
	v_and_b32_e32 v5, 0xffff0000, v14
	v_and_b32_e32 v4, 0xffff0000, v10
	s_mov_b32 s15, exec_lo
                                        ; implicit-def: $vgpr10
	s_delay_alu instid0(VALU_DEP_2) | instskip(NEXT) | instid1(VALU_DEP_1)
	v_mov_b32_e32 v8, v5
	v_pk_mul_f32 v[8:9], v[8:9], v[4:5]
	s_delay_alu instid0(VALU_DEP_1) | instskip(NEXT) | instid1(VALU_DEP_1)
	v_and_b32_e32 v4, 0x7f800000, v8
	v_cmpx_ne_u32_e32 0x7f800000, v4
	s_xor_b32 s15, exec_lo, s15
; %bb.1815:                             ;   in Loop: Header=BB8_959 Depth=2
	v_bfe_u32 v4, v8, 16, 1
	s_delay_alu instid0(VALU_DEP_1)
	v_add3_u32 v10, v8, v4, 0x7fff
                                        ; implicit-def: $vgpr8_vgpr9
; %bb.1816:                             ;   in Loop: Header=BB8_959 Depth=2
	s_and_not1_saveexec_b32 s15, s15
; %bb.1817:                             ;   in Loop: Header=BB8_959 Depth=2
	v_and_b32_e32 v4, 0xffff, v8
	v_or_b32_e32 v5, 0x10000, v8
	s_delay_alu instid0(VALU_DEP_2) | instskip(NEXT) | instid1(VALU_DEP_2)
	v_cmp_eq_u32_e32 vcc_lo, 0, v4
	v_cndmask_b32_e32 v10, v5, v8, vcc_lo
; %bb.1818:                             ;   in Loop: Header=BB8_959 Depth=2
	s_or_b32 exec_lo, exec_lo, s15
	v_lshlrev_b32_e32 v4, 16, v11
	v_lshlrev_b32_e32 v5, 16, v15
	s_delay_alu instid0(VALU_DEP_1) | instskip(NEXT) | instid1(VALU_DEP_1)
	v_mul_f32_e32 v5, v5, v4
	v_and_b32_e32 v4, 0x7f800000, v5
	s_delay_alu instid0(VALU_DEP_1) | instskip(SKIP_1) | instid1(SALU_CYCLE_1)
	v_cmp_ne_u32_e32 vcc_lo, 0x7f800000, v4
                                        ; implicit-def: $vgpr4
	s_and_saveexec_b32 s15, vcc_lo
	s_xor_b32 s15, exec_lo, s15
; %bb.1819:                             ;   in Loop: Header=BB8_959 Depth=2
	v_bfe_u32 v4, v5, 16, 1
	s_delay_alu instid0(VALU_DEP_1)
	v_add3_u32 v4, v5, v4, 0x7fff
                                        ; implicit-def: $vgpr5
; %bb.1820:                             ;   in Loop: Header=BB8_959 Depth=2
	s_and_not1_saveexec_b32 s15, s15
; %bb.1821:                             ;   in Loop: Header=BB8_959 Depth=2
	v_and_b32_e32 v4, 0xffff, v5
	v_or_b32_e32 v8, 0x10000, v5
	s_delay_alu instid0(VALU_DEP_2) | instskip(NEXT) | instid1(VALU_DEP_2)
	v_cmp_eq_u32_e32 vcc_lo, 0, v4
	v_cndmask_b32_e32 v4, v8, v5, vcc_lo
; %bb.1822:                             ;   in Loop: Header=BB8_959 Depth=2
	s_or_b32 exec_lo, exec_lo, s15
	v_and_b32_e32 v9, 0xffff0000, v15
	v_and_b32_e32 v8, 0xffff0000, v11
	s_delay_alu instid0(VALU_DEP_2) | instskip(NEXT) | instid1(VALU_DEP_1)
	v_mov_b32_e32 v14, v9
	v_pk_mul_f32 v[8:9], v[14:15], v[8:9]
	s_delay_alu instid0(VALU_DEP_1) | instskip(NEXT) | instid1(VALU_DEP_1)
	v_and_b32_e32 v5, 0x7f800000, v8
	v_cmp_ne_u32_e32 vcc_lo, 0x7f800000, v5
                                        ; implicit-def: $vgpr5
	s_and_saveexec_b32 s15, vcc_lo
	s_delay_alu instid0(SALU_CYCLE_1)
	s_xor_b32 s15, exec_lo, s15
; %bb.1823:                             ;   in Loop: Header=BB8_959 Depth=2
	v_bfe_u32 v5, v8, 16, 1
	s_delay_alu instid0(VALU_DEP_1)
	v_add3_u32 v5, v8, v5, 0x7fff
                                        ; implicit-def: $vgpr8_vgpr9
; %bb.1824:                             ;   in Loop: Header=BB8_959 Depth=2
	s_and_not1_saveexec_b32 s15, s15
; %bb.1825:                             ;   in Loop: Header=BB8_959 Depth=2
	v_and_b32_e32 v5, 0xffff, v8
	v_or_b32_e32 v9, 0x10000, v8
	s_delay_alu instid0(VALU_DEP_2) | instskip(NEXT) | instid1(VALU_DEP_2)
	v_cmp_eq_u32_e32 vcc_lo, 0, v5
	v_cndmask_b32_e32 v5, v9, v8, vcc_lo
; %bb.1826:                             ;   in Loop: Header=BB8_959 Depth=2
	s_or_b32 exec_lo, exec_lo, s15
	v_dual_lshrrev_b32 v8, 16, v18 :: v_dual_lshrrev_b32 v11, 16, v20
	v_dual_lshrrev_b32 v14, 16, v19 :: v_dual_lshrrev_b32 v4, 16, v4
	s_delay_alu instid0(VALU_DEP_2) | instskip(NEXT) | instid1(VALU_DEP_3)
	v_and_or_b32 v9, 0xffff0000, v13, v8
	v_and_or_b32 v8, 0xffff0000, v12, v11
	s_delay_alu instid0(VALU_DEP_3) | instskip(NEXT) | instid1(VALU_DEP_4)
	v_and_or_b32 v10, 0xffff0000, v10, v14
	v_and_or_b32 v11, 0xffff0000, v5, v4
	global_store_b128 v[16:17], v[8:11], off th:TH_STORE_NT
.LBB8_1827:                             ;   in Loop: Header=BB8_959 Depth=2
	s_wait_xcnt 0x0
	s_or_b32 exec_lo, exec_lo, s14
	v_and_b32_e32 v4, 14, v73
	s_mov_b32 s15, s76
	s_mov_b32 s14, exec_lo
                                        ; implicit-def: $vgpr14
                                        ; implicit-def: $vgpr15
                                        ; implicit-def: $vgpr8
	s_delay_alu instid0(VALU_DEP_1) | instskip(NEXT) | instid1(VALU_DEP_1)
	v_cndmask_b32_e64 v73, v27, v4, s13
	v_cmpx_ne_u32_e32 0, v73
	s_cbranch_execz .LBB8_1829
; %bb.1828:                             ;   in Loop: Header=BB8_959 Depth=2
	v_cmp_lt_i32_e32 vcc_lo, 0, v32
	s_or_b32 s15, s76, exec_lo
	v_sub_nc_u32_e32 v4, v27, v4
	v_cndmask_b32_e32 v5, 0, v84, vcc_lo
	s_delay_alu instid0(VALU_DEP_2) | instskip(NEXT) | instid1(VALU_DEP_2)
	v_cndmask_b32_e64 v4, 0, v4, s13
	v_sub_nc_u32_e32 v5, v5, v32
	s_delay_alu instid0(VALU_DEP_2) | instskip(NEXT) | instid1(VALU_DEP_2)
	v_add3_u32 v14, v25, v24, v4
	v_lshl_add_u32 v5, v5, 5, v26
	s_delay_alu instid0(VALU_DEP_1) | instskip(NEXT) | instid1(VALU_DEP_1)
	v_ashrrev_i32_e32 v8, 31, v5
	v_lshrrev_b32_e32 v8, 27, v8
	s_delay_alu instid0(VALU_DEP_1) | instskip(NEXT) | instid1(VALU_DEP_1)
	v_add_nc_u32_e32 v8, v5, v8
	v_and_b32_e32 v9, 0xffffffe0, v8
	s_delay_alu instid0(VALU_DEP_1)
	v_dual_ashrrev_i32 v8, 5, v8 :: v_dual_sub_nc_u32 v15, v5, v9
.LBB8_1829:                             ;   in Loop: Header=BB8_959 Depth=2
	s_or_b32 exec_lo, exec_lo, s14
	s_delay_alu instid0(SALU_CYCLE_1) | instskip(SKIP_1) | instid1(SALU_CYCLE_1)
	s_and_not1_b32 s13, s76, exec_lo
	s_and_b32 s14, s15, exec_lo
	s_or_b32 s76, s13, s14
.LBB8_1830:                             ;   in Loop: Header=BB8_959 Depth=2
	s_or_b32 exec_lo, exec_lo, s77
	s_and_saveexec_b32 s15, s76
	s_cbranch_execz .LBB8_1962
.LBB8_1831:                             ;   in Loop: Header=BB8_959 Depth=2
	s_delay_alu instid0(VALU_DEP_1) | instskip(SKIP_1) | instid1(VALU_DEP_2)
	v_dual_ashrrev_i32 v4, 31, v73 :: v_dual_lshlrev_b32 v5, 9, v8
	v_dual_lshlrev_b32 v9, 1, v15 :: v_dual_mov_b32 v49, 0
	v_dual_mov_b32 v38, 0 :: v_dual_lshrrev_b32 v4, 23, v4
	v_dual_mov_b32 v35, 0 :: v_dual_mov_b32 v29, 0
	s_delay_alu instid0(VALU_DEP_3) | instskip(SKIP_1) | instid1(VALU_DEP_4)
	v_add3_u32 v12, v14, v9, v5
	v_dual_mov_b32 v28, 0 :: v_dual_mov_b32 v19, 0
	v_dual_add_nc_u32 v11, v73, v4 :: v_dual_mov_b32 v17, 0
	s_delay_alu instid0(VALU_DEP_3) | instskip(NEXT) | instid1(VALU_DEP_2)
	v_dual_ashrrev_i32 v13, 31, v12 :: v_dual_mov_b32 v21, 0
	v_dual_mov_b32 v39, 0 :: v_dual_ashrrev_i32 v16, 9, v11
	v_dual_mov_b32 v10, 0 :: v_dual_mov_b32 v4, 0
	v_dual_mov_b32 v36, 0 :: v_dual_mov_b32 v34, 0
	s_delay_alu instid0(VALU_DEP_3)
	v_dual_mov_b32 v20, 0 :: v_dual_sub_nc_u32 v25, v16, v8
	v_add_nc_u64_e32 v[8:9], v[88:89], v[12:13]
	v_dual_mov_b32 v18, 0 :: v_dual_mov_b32 v11, 0
	s_mov_b32 s14, 0
	s_mov_b32 s13, exec_lo
	v_cmpx_lt_i32_e32 0, v25
	s_cbranch_execz .LBB8_1903
; %bb.1832:                             ;   in Loop: Header=BB8_959 Depth=2
	s_trap 2
	ds_load_b64 v[4:5], v0
	v_add_nc_u64_e32 v[10:11], v[12:13], v[78:79]
	s_mov_b32 s41, 0
	s_mov_b32 s40, 0
                                        ; implicit-def: $sgpr14
                                        ; implicit-def: $vgpr53
                                        ; implicit-def: $vgpr51
                                        ; implicit-def: $vgpr48
                                        ; implicit-def: $vgpr37
                                        ; implicit-def: $vgpr33
                                        ; implicit-def: $vgpr32
                                        ; implicit-def: $vgpr27
                                        ; implicit-def: $vgpr26
                                        ; implicit-def: $vgpr17
                                        ; implicit-def: $vgpr18
                                        ; implicit-def: $vgpr19
                                        ; implicit-def: $vgpr20
                                        ; implicit-def: $vgpr21
                                        ; implicit-def: $vgpr22
                                        ; implicit-def: $vgpr23
                                        ; implicit-def: $vgpr24
	s_wait_dscnt 0x0
	v_add_nc_u64_e32 v[12:13], v[4:5], v[12:13]
	s_branch .LBB8_1834
.LBB8_1833:                             ;   in Loop: Header=BB8_1834 Depth=3
	s_or_b32 exec_lo, exec_lo, s76
	v_dual_cndmask_b32 v5, 0, v84, s41 :: v_dual_cndmask_b32 v91, 0, v41, s41
	v_add_nc_u64_e32 v[34:35], v[10:11], v[112:113]
	v_add_nc_u64_e32 v[98:99], v[12:13], v[112:113]
	v_cndmask_b32_e64 v90, 0x200, v40, s41
	s_delay_alu instid0(VALU_DEP_4)
	v_sub_nc_u32_e32 v25, v25, v5
	s_clause 0x7
	flat_store_d16_hi_b16 v[8:9], v54 th:TH_STORE_NT
	flat_store_d16_hi_b16 v[8:9], v28 offset:64 th:TH_STORE_NT
	flat_store_d16_hi_b16 v[8:9], v29 offset:128 th:TH_STORE_NT
	;; [unrolled: 1-line block ×7, first 2 shown]
	v_cndmask_b32_e64 v11, v11, v35, s41
	v_cmp_gt_i32_e32 vcc_lo, 1, v25
	s_wait_xcnt 0x0
	v_add_nc_u64_e32 v[8:9], v[8:9], v[90:91]
	v_dual_cndmask_b32 v10, v10, v34, s41 :: v_dual_cndmask_b32 v13, v13, v99, s41
	v_cndmask_b32_e64 v12, v12, v98, s41
	s_or_b32 s40, vcc_lo, s40
	s_and_not1_b32 s14, s14, exec_lo
	s_and_b32 s76, s41, exec_lo
	s_delay_alu instid0(SALU_CYCLE_1)
	s_or_b32 s14, s14, s76
	s_and_not1_b32 exec_lo, exec_lo, s40
	s_cbranch_execz .LBB8_1902
.LBB8_1834:                             ;   Parent Loop BB8_47 Depth=1
                                        ;     Parent Loop BB8_959 Depth=2
                                        ; =>    This Inner Loop Header: Depth=3
	s_clause 0x7
	flat_load_u16 v95, v[10:11] th:TH_LOAD_NT
	flat_load_u16 v93, v[10:11] offset:64 th:TH_LOAD_NT
	flat_load_u16 v91, v[10:11] offset:128 th:TH_LOAD_NT
	;; [unrolled: 1-line block ×7, first 2 shown]
	s_clause 0x7
	flat_load_u16 v104, v[12:13] th:TH_LOAD_NT
	flat_load_u16 v94, v[12:13] offset:64 th:TH_LOAD_NT
	flat_load_u16 v92, v[12:13] offset:128 th:TH_LOAD_NT
	;; [unrolled: 1-line block ×7, first 2 shown]
	s_wait_xcnt 0x0
	s_and_saveexec_b32 s76, s41
	s_cbranch_execz .LBB8_1868
; %bb.1835:                             ;   in Loop: Header=BB8_1834 Depth=3
	v_lshlrev_b32_e32 v4, 16, v53
	v_lshlrev_b32_e32 v5, 16, v17
	s_mov_b32 s41, exec_lo
                                        ; implicit-def: $vgpr53
	s_delay_alu instid0(VALU_DEP_1) | instskip(NEXT) | instid1(VALU_DEP_1)
	v_mul_f32_e32 v4, v4, v5
	v_and_b32_e32 v5, 0x7f800000, v4
	s_delay_alu instid0(VALU_DEP_1)
	v_cmpx_ne_u32_e32 0x7f800000, v5
	s_xor_b32 s41, exec_lo, s41
; %bb.1836:                             ;   in Loop: Header=BB8_1834 Depth=3
	v_bfe_u32 v5, v4, 16, 1
	s_delay_alu instid0(VALU_DEP_1)
	v_add3_u32 v53, v4, v5, 0x7fff
                                        ; implicit-def: $vgpr4
; %bb.1837:                             ;   in Loop: Header=BB8_1834 Depth=3
	s_and_not1_saveexec_b32 s41, s41
; %bb.1838:                             ;   in Loop: Header=BB8_1834 Depth=3
	v_and_b32_e32 v5, 0xffff, v4
	v_or_b32_e32 v28, 0x10000, v4
	s_delay_alu instid0(VALU_DEP_2) | instskip(NEXT) | instid1(VALU_DEP_2)
	v_cmp_eq_u32_e32 vcc_lo, 0, v5
	v_cndmask_b32_e32 v53, v28, v4, vcc_lo
; %bb.1839:                             ;   in Loop: Header=BB8_1834 Depth=3
	s_or_b32 exec_lo, exec_lo, s41
	v_dual_lshlrev_b32 v4, 16, v51 :: v_dual_lshlrev_b32 v5, 16, v18
	s_mov_b32 s41, exec_lo
                                        ; implicit-def: $vgpr28
	s_delay_alu instid0(VALU_DEP_1) | instskip(NEXT) | instid1(VALU_DEP_1)
	v_mul_f32_e32 v4, v4, v5
	v_and_b32_e32 v5, 0x7f800000, v4
	s_delay_alu instid0(VALU_DEP_1)
	v_cmpx_ne_u32_e32 0x7f800000, v5
	s_xor_b32 s41, exec_lo, s41
; %bb.1840:                             ;   in Loop: Header=BB8_1834 Depth=3
	v_bfe_u32 v5, v4, 16, 1
	s_delay_alu instid0(VALU_DEP_1)
	v_add3_u32 v28, v4, v5, 0x7fff
                                        ; implicit-def: $vgpr4
; %bb.1841:                             ;   in Loop: Header=BB8_1834 Depth=3
	s_and_not1_saveexec_b32 s41, s41
; %bb.1842:                             ;   in Loop: Header=BB8_1834 Depth=3
	v_and_b32_e32 v5, 0xffff, v4
	v_or_b32_e32 v28, 0x10000, v4
	s_delay_alu instid0(VALU_DEP_2) | instskip(NEXT) | instid1(VALU_DEP_2)
	v_cmp_eq_u32_e32 vcc_lo, 0, v5
	v_cndmask_b32_e32 v28, v28, v4, vcc_lo
; %bb.1843:                             ;   in Loop: Header=BB8_1834 Depth=3
	s_or_b32 exec_lo, exec_lo, s41
	v_dual_lshlrev_b32 v4, 16, v48 :: v_dual_lshlrev_b32 v5, 16, v19
	s_mov_b32 s41, exec_lo
                                        ; implicit-def: $vgpr29
	s_delay_alu instid0(VALU_DEP_1) | instskip(NEXT) | instid1(VALU_DEP_1)
	v_mul_f32_e32 v4, v4, v5
	v_and_b32_e32 v5, 0x7f800000, v4
	s_delay_alu instid0(VALU_DEP_1)
	v_cmpx_ne_u32_e32 0x7f800000, v5
	s_xor_b32 s41, exec_lo, s41
; %bb.1844:                             ;   in Loop: Header=BB8_1834 Depth=3
	v_bfe_u32 v5, v4, 16, 1
	s_delay_alu instid0(VALU_DEP_1)
	v_add3_u32 v29, v4, v5, 0x7fff
                                        ; implicit-def: $vgpr4
; %bb.1845:                             ;   in Loop: Header=BB8_1834 Depth=3
	s_and_not1_saveexec_b32 s41, s41
; %bb.1846:                             ;   in Loop: Header=BB8_1834 Depth=3
	v_and_b32_e32 v5, 0xffff, v4
	v_or_b32_e32 v29, 0x10000, v4
	s_delay_alu instid0(VALU_DEP_2) | instskip(NEXT) | instid1(VALU_DEP_2)
	v_cmp_eq_u32_e32 vcc_lo, 0, v5
	v_cndmask_b32_e32 v29, v29, v4, vcc_lo
; %bb.1847:                             ;   in Loop: Header=BB8_1834 Depth=3
	s_or_b32 exec_lo, exec_lo, s41
	v_dual_lshlrev_b32 v4, 16, v37 :: v_dual_lshlrev_b32 v5, 16, v20
	s_mov_b32 s41, exec_lo
                                        ; implicit-def: $vgpr37
	s_delay_alu instid0(VALU_DEP_1) | instskip(NEXT) | instid1(VALU_DEP_1)
	v_mul_f32_e32 v4, v4, v5
	v_and_b32_e32 v5, 0x7f800000, v4
	s_delay_alu instid0(VALU_DEP_1)
	v_cmpx_ne_u32_e32 0x7f800000, v5
	s_xor_b32 s41, exec_lo, s41
; %bb.1848:                             ;   in Loop: Header=BB8_1834 Depth=3
	v_bfe_u32 v5, v4, 16, 1
	s_delay_alu instid0(VALU_DEP_1)
	v_add3_u32 v37, v4, v5, 0x7fff
                                        ; implicit-def: $vgpr4
; %bb.1849:                             ;   in Loop: Header=BB8_1834 Depth=3
	s_and_not1_saveexec_b32 s41, s41
; %bb.1850:                             ;   in Loop: Header=BB8_1834 Depth=3
	v_and_b32_e32 v5, 0xffff, v4
	v_or_b32_e32 v37, 0x10000, v4
	s_delay_alu instid0(VALU_DEP_2) | instskip(NEXT) | instid1(VALU_DEP_2)
	v_cmp_eq_u32_e32 vcc_lo, 0, v5
	v_cndmask_b32_e32 v37, v37, v4, vcc_lo
; %bb.1851:                             ;   in Loop: Header=BB8_1834 Depth=3
	s_or_b32 exec_lo, exec_lo, s41
	v_lshlrev_b32_e32 v4, 16, v33
	v_lshlrev_b32_e32 v5, 16, v21
	s_mov_b32 s41, exec_lo
                                        ; implicit-def: $vgpr33
	s_delay_alu instid0(VALU_DEP_1) | instskip(NEXT) | instid1(VALU_DEP_1)
	v_mul_f32_e32 v4, v4, v5
	v_and_b32_e32 v5, 0x7f800000, v4
	s_delay_alu instid0(VALU_DEP_1)
	v_cmpx_ne_u32_e32 0x7f800000, v5
	s_xor_b32 s41, exec_lo, s41
; %bb.1852:                             ;   in Loop: Header=BB8_1834 Depth=3
	v_bfe_u32 v5, v4, 16, 1
	s_delay_alu instid0(VALU_DEP_1)
	v_add3_u32 v33, v4, v5, 0x7fff
                                        ; implicit-def: $vgpr4
; %bb.1853:                             ;   in Loop: Header=BB8_1834 Depth=3
	s_and_not1_saveexec_b32 s41, s41
; %bb.1854:                             ;   in Loop: Header=BB8_1834 Depth=3
	v_and_b32_e32 v5, 0xffff, v4
	v_or_b32_e32 v33, 0x10000, v4
	s_delay_alu instid0(VALU_DEP_2) | instskip(NEXT) | instid1(VALU_DEP_2)
	v_cmp_eq_u32_e32 vcc_lo, 0, v5
	v_cndmask_b32_e32 v33, v33, v4, vcc_lo
; %bb.1855:                             ;   in Loop: Header=BB8_1834 Depth=3
	s_or_b32 exec_lo, exec_lo, s41
	v_dual_lshlrev_b32 v4, 16, v32 :: v_dual_lshlrev_b32 v5, 16, v22
	s_mov_b32 s41, exec_lo
                                        ; implicit-def: $vgpr32
	s_delay_alu instid0(VALU_DEP_1) | instskip(NEXT) | instid1(VALU_DEP_1)
	v_mul_f32_e32 v4, v4, v5
	v_and_b32_e32 v5, 0x7f800000, v4
	s_delay_alu instid0(VALU_DEP_1)
	v_cmpx_ne_u32_e32 0x7f800000, v5
	s_xor_b32 s41, exec_lo, s41
; %bb.1856:                             ;   in Loop: Header=BB8_1834 Depth=3
	v_bfe_u32 v5, v4, 16, 1
	s_delay_alu instid0(VALU_DEP_1)
	v_add3_u32 v32, v4, v5, 0x7fff
                                        ; implicit-def: $vgpr4
; %bb.1857:                             ;   in Loop: Header=BB8_1834 Depth=3
	s_and_not1_saveexec_b32 s41, s41
; %bb.1858:                             ;   in Loop: Header=BB8_1834 Depth=3
	v_and_b32_e32 v5, 0xffff, v4
	v_or_b32_e32 v32, 0x10000, v4
	s_delay_alu instid0(VALU_DEP_2) | instskip(NEXT) | instid1(VALU_DEP_2)
	v_cmp_eq_u32_e32 vcc_lo, 0, v5
	v_cndmask_b32_e32 v32, v32, v4, vcc_lo
; %bb.1859:                             ;   in Loop: Header=BB8_1834 Depth=3
	s_or_b32 exec_lo, exec_lo, s41
	v_lshlrev_b32_e32 v4, 16, v27
	v_lshlrev_b32_e32 v5, 16, v23
	s_delay_alu instid0(VALU_DEP_1) | instskip(NEXT) | instid1(VALU_DEP_1)
	v_mul_f32_e32 v5, v4, v5
	v_and_b32_e32 v4, 0x7f800000, v5
	s_delay_alu instid0(VALU_DEP_1) | instskip(SKIP_1) | instid1(SALU_CYCLE_1)
	v_cmp_ne_u32_e32 vcc_lo, 0x7f800000, v4
                                        ; implicit-def: $vgpr4
	s_and_saveexec_b32 s41, vcc_lo
	s_xor_b32 s41, exec_lo, s41
; %bb.1860:                             ;   in Loop: Header=BB8_1834 Depth=3
	v_bfe_u32 v4, v5, 16, 1
	s_delay_alu instid0(VALU_DEP_1)
	v_add3_u32 v4, v5, v4, 0x7fff
                                        ; implicit-def: $vgpr5
; %bb.1861:                             ;   in Loop: Header=BB8_1834 Depth=3
	s_and_not1_saveexec_b32 s41, s41
; %bb.1862:                             ;   in Loop: Header=BB8_1834 Depth=3
	v_and_b32_e32 v4, 0xffff, v5
	v_or_b32_e32 v27, 0x10000, v5
	s_delay_alu instid0(VALU_DEP_2) | instskip(NEXT) | instid1(VALU_DEP_2)
	v_cmp_eq_u32_e32 vcc_lo, 0, v4
	v_cndmask_b32_e32 v4, v27, v5, vcc_lo
; %bb.1863:                             ;   in Loop: Header=BB8_1834 Depth=3
	s_or_b32 exec_lo, exec_lo, s41
	v_dual_lshlrev_b32 v5, 16, v26 :: v_dual_lshlrev_b32 v26, 16, v24
	s_delay_alu instid0(VALU_DEP_1) | instskip(NEXT) | instid1(VALU_DEP_1)
	v_mul_f32_e32 v26, v5, v26
	v_and_b32_e32 v5, 0x7f800000, v26
	s_delay_alu instid0(VALU_DEP_1) | instskip(SKIP_1) | instid1(SALU_CYCLE_1)
	v_cmp_ne_u32_e32 vcc_lo, 0x7f800000, v5
                                        ; implicit-def: $vgpr5
	s_and_saveexec_b32 s41, vcc_lo
	s_xor_b32 s41, exec_lo, s41
; %bb.1864:                             ;   in Loop: Header=BB8_1834 Depth=3
	v_bfe_u32 v5, v26, 16, 1
	s_delay_alu instid0(VALU_DEP_1)
	v_add3_u32 v5, v26, v5, 0x7fff
                                        ; implicit-def: $vgpr26
; %bb.1865:                             ;   in Loop: Header=BB8_1834 Depth=3
	s_and_not1_saveexec_b32 s41, s41
; %bb.1866:                             ;   in Loop: Header=BB8_1834 Depth=3
	v_and_b32_e32 v5, 0xffff, v26
	v_or_b32_e32 v27, 0x10000, v26
	s_delay_alu instid0(VALU_DEP_2) | instskip(NEXT) | instid1(VALU_DEP_2)
	v_cmp_eq_u32_e32 vcc_lo, 0, v5
	v_cndmask_b32_e32 v5, v27, v26, vcc_lo
; %bb.1867:                             ;   in Loop: Header=BB8_1834 Depth=3
	s_or_b32 exec_lo, exec_lo, s41
	v_dual_lshrrev_b32 v32, 16, v32 :: v_dual_lshrrev_b32 v53, 16, v53
	v_dual_lshrrev_b32 v51, 16, v28 :: v_dual_lshrrev_b32 v48, 16, v29
	;; [unrolled: 1-line block ×3, first 2 shown]
	v_lshrrev_b32_e32 v33, 16, v33
	v_lshrrev_b32_e32 v26, 16, v5
	s_clause 0x7
	flat_store_b16 v[8:9], v53 th:TH_STORE_NT
	flat_store_b16 v[8:9], v51 offset:64 th:TH_STORE_NT
	flat_store_b16 v[8:9], v48 offset:128 th:TH_STORE_NT
	;; [unrolled: 1-line block ×7, first 2 shown]
	s_wait_xcnt 0x0
	v_add_nc_u64_e32 v[8:9], v[8:9], v[40:41]
.LBB8_1868:                             ;   in Loop: Header=BB8_1834 Depth=3
	s_or_b32 exec_lo, exec_lo, s76
	v_sub_nc_u32_e32 v25, v25, v84
	v_add_nc_u64_e32 v[10:11], v[10:11], v[40:41]
	v_add_nc_u64_e32 v[12:13], v[12:13], v[40:41]
	s_delay_alu instid0(VALU_DEP_3)
	v_cmp_lt_i32_e64 s41, 0, v25
	s_and_saveexec_b32 s76, s41
	s_cbranch_execz .LBB8_1870
; %bb.1869:                             ;   in Loop: Header=BB8_1834 Depth=3
	s_clause 0x7
	flat_load_u16 v53, v[10:11] th:TH_LOAD_NT
	flat_load_u16 v51, v[10:11] offset:64 th:TH_LOAD_NT
	flat_load_u16 v48, v[10:11] offset:128 th:TH_LOAD_NT
	;; [unrolled: 1-line block ×7, first 2 shown]
	s_clause 0x7
	flat_load_u16 v17, v[12:13] th:TH_LOAD_NT
	flat_load_u16 v18, v[12:13] offset:64 th:TH_LOAD_NT
	flat_load_u16 v19, v[12:13] offset:128 th:TH_LOAD_NT
	;; [unrolled: 1-line block ×7, first 2 shown]
	s_wait_xcnt 0x8
	v_add_nc_u64_e32 v[10:11], 0x200, v[10:11]
	s_wait_xcnt 0x0
	v_add_nc_u64_e32 v[12:13], 0x200, v[12:13]
.LBB8_1870:                             ;   in Loop: Header=BB8_1834 Depth=3
	s_or_b32 exec_lo, exec_lo, s76
	s_wait_loadcnt_dscnt 0x707
	v_dual_lshlrev_b32 v4, 16, v95 :: v_dual_lshlrev_b32 v5, 16, v104
	s_mov_b32 s76, exec_lo
                                        ; implicit-def: $vgpr54
	s_delay_alu instid0(VALU_DEP_1) | instskip(NEXT) | instid1(VALU_DEP_1)
	v_mul_f32_e32 v4, v5, v4
	v_and_b32_e32 v5, 0x7f800000, v4
	s_delay_alu instid0(VALU_DEP_1)
	v_cmpx_ne_u32_e32 0x7f800000, v5
	s_xor_b32 s76, exec_lo, s76
; %bb.1871:                             ;   in Loop: Header=BB8_1834 Depth=3
	v_bfe_u32 v5, v4, 16, 1
	s_delay_alu instid0(VALU_DEP_1)
	v_add3_u32 v54, v4, v5, 0x7fff
                                        ; implicit-def: $vgpr4
; %bb.1872:                             ;   in Loop: Header=BB8_1834 Depth=3
	s_and_not1_saveexec_b32 s76, s76
; %bb.1873:                             ;   in Loop: Header=BB8_1834 Depth=3
	v_and_b32_e32 v5, 0xffff, v4
	v_or_b32_e32 v28, 0x10000, v4
	s_delay_alu instid0(VALU_DEP_2) | instskip(NEXT) | instid1(VALU_DEP_2)
	v_cmp_eq_u32_e32 vcc_lo, 0, v5
	v_cndmask_b32_e32 v54, v28, v4, vcc_lo
; %bb.1874:                             ;   in Loop: Header=BB8_1834 Depth=3
	s_or_b32 exec_lo, exec_lo, s76
	s_wait_loadcnt_dscnt 0x606
	v_dual_lshlrev_b32 v4, 16, v93 :: v_dual_lshlrev_b32 v5, 16, v94
	s_mov_b32 s76, exec_lo
                                        ; implicit-def: $vgpr28
	s_delay_alu instid0(VALU_DEP_1) | instskip(NEXT) | instid1(VALU_DEP_1)
	v_mul_f32_e32 v4, v5, v4
	v_and_b32_e32 v5, 0x7f800000, v4
	s_delay_alu instid0(VALU_DEP_1)
	v_cmpx_ne_u32_e32 0x7f800000, v5
	s_xor_b32 s76, exec_lo, s76
; %bb.1875:                             ;   in Loop: Header=BB8_1834 Depth=3
	v_bfe_u32 v5, v4, 16, 1
	s_delay_alu instid0(VALU_DEP_1)
	v_add3_u32 v28, v4, v5, 0x7fff
                                        ; implicit-def: $vgpr4
; %bb.1876:                             ;   in Loop: Header=BB8_1834 Depth=3
	s_and_not1_saveexec_b32 s76, s76
; %bb.1877:                             ;   in Loop: Header=BB8_1834 Depth=3
	v_and_b32_e32 v5, 0xffff, v4
	v_or_b32_e32 v28, 0x10000, v4
	s_delay_alu instid0(VALU_DEP_2) | instskip(NEXT) | instid1(VALU_DEP_2)
	v_cmp_eq_u32_e32 vcc_lo, 0, v5
	v_cndmask_b32_e32 v28, v28, v4, vcc_lo
; %bb.1878:                             ;   in Loop: Header=BB8_1834 Depth=3
	s_or_b32 exec_lo, exec_lo, s76
	s_wait_loadcnt_dscnt 0x505
	v_dual_lshlrev_b32 v4, 16, v91 :: v_dual_lshlrev_b32 v5, 16, v92
	s_mov_b32 s76, exec_lo
                                        ; implicit-def: $vgpr29
	s_delay_alu instid0(VALU_DEP_1) | instskip(NEXT) | instid1(VALU_DEP_1)
	v_mul_f32_e32 v4, v5, v4
	v_and_b32_e32 v5, 0x7f800000, v4
	s_delay_alu instid0(VALU_DEP_1)
	v_cmpx_ne_u32_e32 0x7f800000, v5
	s_xor_b32 s76, exec_lo, s76
; %bb.1879:                             ;   in Loop: Header=BB8_1834 Depth=3
	v_bfe_u32 v5, v4, 16, 1
	s_delay_alu instid0(VALU_DEP_1)
	v_add3_u32 v29, v4, v5, 0x7fff
                                        ; implicit-def: $vgpr4
; %bb.1880:                             ;   in Loop: Header=BB8_1834 Depth=3
	s_and_not1_saveexec_b32 s76, s76
; %bb.1881:                             ;   in Loop: Header=BB8_1834 Depth=3
	v_and_b32_e32 v5, 0xffff, v4
	v_or_b32_e32 v29, 0x10000, v4
	s_delay_alu instid0(VALU_DEP_2) | instskip(NEXT) | instid1(VALU_DEP_2)
	v_cmp_eq_u32_e32 vcc_lo, 0, v5
	v_cndmask_b32_e32 v29, v29, v4, vcc_lo
; %bb.1882:                             ;   in Loop: Header=BB8_1834 Depth=3
	s_or_b32 exec_lo, exec_lo, s76
	s_wait_loadcnt_dscnt 0x404
	v_dual_lshlrev_b32 v4, 16, v52 :: v_dual_lshlrev_b32 v5, 16, v90
	s_mov_b32 s76, exec_lo
                                        ; implicit-def: $vgpr52
	s_delay_alu instid0(VALU_DEP_1) | instskip(NEXT) | instid1(VALU_DEP_1)
	v_mul_f32_e32 v4, v5, v4
	v_and_b32_e32 v5, 0x7f800000, v4
	s_delay_alu instid0(VALU_DEP_1)
	v_cmpx_ne_u32_e32 0x7f800000, v5
	s_xor_b32 s76, exec_lo, s76
; %bb.1883:                             ;   in Loop: Header=BB8_1834 Depth=3
	v_bfe_u32 v5, v4, 16, 1
	s_delay_alu instid0(VALU_DEP_1)
	v_add3_u32 v52, v4, v5, 0x7fff
                                        ; implicit-def: $vgpr4
; %bb.1884:                             ;   in Loop: Header=BB8_1834 Depth=3
	s_and_not1_saveexec_b32 s76, s76
; %bb.1885:                             ;   in Loop: Header=BB8_1834 Depth=3
	v_and_b32_e32 v5, 0xffff, v4
	v_or_b32_e32 v52, 0x10000, v4
	s_delay_alu instid0(VALU_DEP_2) | instskip(NEXT) | instid1(VALU_DEP_2)
	v_cmp_eq_u32_e32 vcc_lo, 0, v5
	v_cndmask_b32_e32 v52, v52, v4, vcc_lo
; %bb.1886:                             ;   in Loop: Header=BB8_1834 Depth=3
	s_or_b32 exec_lo, exec_lo, s76
	s_wait_loadcnt_dscnt 0x303
	v_dual_lshlrev_b32 v4, 16, v50 :: v_dual_lshlrev_b32 v5, 16, v75
	s_mov_b32 s76, exec_lo
                                        ; implicit-def: $vgpr50
	s_delay_alu instid0(VALU_DEP_1) | instskip(NEXT) | instid1(VALU_DEP_1)
	v_mul_f32_e32 v4, v5, v4
	v_and_b32_e32 v5, 0x7f800000, v4
	s_delay_alu instid0(VALU_DEP_1)
	v_cmpx_ne_u32_e32 0x7f800000, v5
	s_xor_b32 s76, exec_lo, s76
; %bb.1887:                             ;   in Loop: Header=BB8_1834 Depth=3
	v_bfe_u32 v5, v4, 16, 1
	s_delay_alu instid0(VALU_DEP_1)
	v_add3_u32 v50, v4, v5, 0x7fff
                                        ; implicit-def: $vgpr4
; %bb.1888:                             ;   in Loop: Header=BB8_1834 Depth=3
	s_and_not1_saveexec_b32 s76, s76
; %bb.1889:                             ;   in Loop: Header=BB8_1834 Depth=3
	v_and_b32_e32 v5, 0xffff, v4
	v_or_b32_e32 v50, 0x10000, v4
	s_delay_alu instid0(VALU_DEP_2) | instskip(NEXT) | instid1(VALU_DEP_2)
	v_cmp_eq_u32_e32 vcc_lo, 0, v5
	v_cndmask_b32_e32 v50, v50, v4, vcc_lo
; %bb.1890:                             ;   in Loop: Header=BB8_1834 Depth=3
	s_or_b32 exec_lo, exec_lo, s76
	s_wait_loadcnt_dscnt 0x202
	v_dual_lshlrev_b32 v4, 16, v39 :: v_dual_lshlrev_b32 v5, 16, v49
	s_mov_b32 s76, exec_lo
                                        ; implicit-def: $vgpr39
	s_delay_alu instid0(VALU_DEP_1) | instskip(NEXT) | instid1(VALU_DEP_1)
	v_mul_f32_e32 v4, v5, v4
	v_and_b32_e32 v5, 0x7f800000, v4
	s_delay_alu instid0(VALU_DEP_1)
	v_cmpx_ne_u32_e32 0x7f800000, v5
	s_xor_b32 s76, exec_lo, s76
; %bb.1891:                             ;   in Loop: Header=BB8_1834 Depth=3
	v_bfe_u32 v5, v4, 16, 1
	s_delay_alu instid0(VALU_DEP_1)
	v_add3_u32 v39, v4, v5, 0x7fff
                                        ; implicit-def: $vgpr4
; %bb.1892:                             ;   in Loop: Header=BB8_1834 Depth=3
	s_and_not1_saveexec_b32 s76, s76
; %bb.1893:                             ;   in Loop: Header=BB8_1834 Depth=3
	v_and_b32_e32 v5, 0xffff, v4
	v_or_b32_e32 v39, 0x10000, v4
	s_delay_alu instid0(VALU_DEP_2) | instskip(NEXT) | instid1(VALU_DEP_2)
	v_cmp_eq_u32_e32 vcc_lo, 0, v5
	v_cndmask_b32_e32 v39, v39, v4, vcc_lo
; %bb.1894:                             ;   in Loop: Header=BB8_1834 Depth=3
	s_or_b32 exec_lo, exec_lo, s76
	s_wait_loadcnt_dscnt 0x101
	v_dual_lshlrev_b32 v4, 16, v36 :: v_dual_lshlrev_b32 v5, 16, v38
	s_mov_b32 s76, exec_lo
                                        ; implicit-def: $vgpr36
	s_delay_alu instid0(VALU_DEP_1) | instskip(NEXT) | instid1(VALU_DEP_1)
	v_mul_f32_e32 v4, v5, v4
	v_and_b32_e32 v5, 0x7f800000, v4
	s_delay_alu instid0(VALU_DEP_1)
	v_cmpx_ne_u32_e32 0x7f800000, v5
	s_xor_b32 s76, exec_lo, s76
; %bb.1895:                             ;   in Loop: Header=BB8_1834 Depth=3
	v_bfe_u32 v5, v4, 16, 1
	s_delay_alu instid0(VALU_DEP_1)
	v_add3_u32 v36, v4, v5, 0x7fff
                                        ; implicit-def: $vgpr4
; %bb.1896:                             ;   in Loop: Header=BB8_1834 Depth=3
	s_and_not1_saveexec_b32 s76, s76
; %bb.1897:                             ;   in Loop: Header=BB8_1834 Depth=3
	v_and_b32_e32 v5, 0xffff, v4
	v_or_b32_e32 v36, 0x10000, v4
	s_delay_alu instid0(VALU_DEP_2) | instskip(NEXT) | instid1(VALU_DEP_2)
	v_cmp_eq_u32_e32 vcc_lo, 0, v5
	v_cndmask_b32_e32 v36, v36, v4, vcc_lo
; %bb.1898:                             ;   in Loop: Header=BB8_1834 Depth=3
	s_or_b32 exec_lo, exec_lo, s76
	s_wait_loadcnt_dscnt 0x0
	v_dual_lshlrev_b32 v4, 16, v34 :: v_dual_lshlrev_b32 v5, 16, v35
	s_delay_alu instid0(VALU_DEP_1) | instskip(NEXT) | instid1(VALU_DEP_1)
	v_mul_f32_e32 v5, v5, v4
	v_and_b32_e32 v4, 0x7f800000, v5
	s_delay_alu instid0(VALU_DEP_1) | instskip(SKIP_1) | instid1(SALU_CYCLE_1)
	v_cmp_ne_u32_e32 vcc_lo, 0x7f800000, v4
                                        ; implicit-def: $vgpr4
	s_and_saveexec_b32 s76, vcc_lo
	s_xor_b32 s76, exec_lo, s76
; %bb.1899:                             ;   in Loop: Header=BB8_1834 Depth=3
	v_bfe_u32 v4, v5, 16, 1
	s_delay_alu instid0(VALU_DEP_1)
	v_add3_u32 v4, v5, v4, 0x7fff
                                        ; implicit-def: $vgpr5
; %bb.1900:                             ;   in Loop: Header=BB8_1834 Depth=3
	s_and_not1_saveexec_b32 s76, s76
	s_cbranch_execz .LBB8_1833
; %bb.1901:                             ;   in Loop: Header=BB8_1834 Depth=3
	v_and_b32_e32 v4, 0xffff, v5
	v_or_b32_e32 v34, 0x10000, v5
	s_delay_alu instid0(VALU_DEP_2) | instskip(NEXT) | instid1(VALU_DEP_2)
	v_cmp_eq_u32_e32 vcc_lo, 0, v4
	v_cndmask_b32_e32 v4, v34, v5, vcc_lo
	s_branch .LBB8_1833
.LBB8_1902:                             ;   in Loop: Header=BB8_959 Depth=2
	s_or_b32 exec_lo, exec_lo, s40
	v_dual_lshlrev_b32 v49, 16, v53 :: v_dual_lshlrev_b32 v38, 16, v51
	v_dual_lshlrev_b32 v4, 16, v17 :: v_dual_lshlrev_b32 v39, 16, v18
	;; [unrolled: 1-line block ×8, first 2 shown]
	s_and_b32 s14, s14, exec_lo
.LBB8_1903:                             ;   in Loop: Header=BB8_959 Depth=2
	s_or_b32 exec_lo, exec_lo, s13
	s_and_saveexec_b32 s13, s14
	s_cbranch_execz .LBB8_1937
; %bb.1904:                             ;   in Loop: Header=BB8_959 Depth=2
	v_mul_f32_e32 v4, v4, v49
	s_mov_b32 s14, exec_lo
                                        ; implicit-def: $vgpr12
	s_delay_alu instid0(VALU_DEP_1) | instskip(NEXT) | instid1(VALU_DEP_1)
	v_and_b32_e32 v5, 0x7f800000, v4
	v_cmpx_ne_u32_e32 0x7f800000, v5
	s_xor_b32 s14, exec_lo, s14
; %bb.1905:                             ;   in Loop: Header=BB8_959 Depth=2
	v_bfe_u32 v5, v4, 16, 1
	s_delay_alu instid0(VALU_DEP_1)
	v_add3_u32 v12, v4, v5, 0x7fff
                                        ; implicit-def: $vgpr4
; %bb.1906:                             ;   in Loop: Header=BB8_959 Depth=2
	s_and_not1_saveexec_b32 s14, s14
; %bb.1907:                             ;   in Loop: Header=BB8_959 Depth=2
	v_and_b32_e32 v5, 0xffff, v4
	v_or_b32_e32 v12, 0x10000, v4
	s_delay_alu instid0(VALU_DEP_2) | instskip(NEXT) | instid1(VALU_DEP_2)
	v_cmp_eq_u32_e32 vcc_lo, 0, v5
	v_cndmask_b32_e32 v12, v12, v4, vcc_lo
; %bb.1908:                             ;   in Loop: Header=BB8_959 Depth=2
	s_or_b32 exec_lo, exec_lo, s14
	v_mul_f32_e32 v4, v39, v38
	s_mov_b32 s14, exec_lo
                                        ; implicit-def: $vgpr13
	s_delay_alu instid0(VALU_DEP_1) | instskip(NEXT) | instid1(VALU_DEP_1)
	v_and_b32_e32 v5, 0x7f800000, v4
	v_cmpx_ne_u32_e32 0x7f800000, v5
	s_xor_b32 s14, exec_lo, s14
; %bb.1909:                             ;   in Loop: Header=BB8_959 Depth=2
	v_bfe_u32 v5, v4, 16, 1
	s_delay_alu instid0(VALU_DEP_1)
	v_add3_u32 v13, v4, v5, 0x7fff
                                        ; implicit-def: $vgpr4
; %bb.1910:                             ;   in Loop: Header=BB8_959 Depth=2
	s_and_not1_saveexec_b32 s14, s14
; %bb.1911:                             ;   in Loop: Header=BB8_959 Depth=2
	v_and_b32_e32 v5, 0xffff, v4
	v_or_b32_e32 v13, 0x10000, v4
	s_delay_alu instid0(VALU_DEP_2) | instskip(NEXT) | instid1(VALU_DEP_2)
	v_cmp_eq_u32_e32 vcc_lo, 0, v5
	v_cndmask_b32_e32 v13, v13, v4, vcc_lo
; %bb.1912:                             ;   in Loop: Header=BB8_959 Depth=2
	s_or_b32 exec_lo, exec_lo, s14
	v_mul_f32_e32 v4, v36, v35
	s_mov_b32 s14, exec_lo
                                        ; implicit-def: $vgpr22
	s_delay_alu instid0(VALU_DEP_1) | instskip(NEXT) | instid1(VALU_DEP_1)
	v_and_b32_e32 v5, 0x7f800000, v4
	v_cmpx_ne_u32_e32 0x7f800000, v5
	s_xor_b32 s14, exec_lo, s14
; %bb.1913:                             ;   in Loop: Header=BB8_959 Depth=2
	v_bfe_u32 v5, v4, 16, 1
	s_delay_alu instid0(VALU_DEP_1)
	v_add3_u32 v22, v4, v5, 0x7fff
                                        ; implicit-def: $vgpr4
; %bb.1914:                             ;   in Loop: Header=BB8_959 Depth=2
	s_and_not1_saveexec_b32 s14, s14
; %bb.1915:                             ;   in Loop: Header=BB8_959 Depth=2
	v_and_b32_e32 v5, 0xffff, v4
	v_or_b32_e32 v22, 0x10000, v4
	s_delay_alu instid0(VALU_DEP_2) | instskip(NEXT) | instid1(VALU_DEP_2)
	v_cmp_eq_u32_e32 vcc_lo, 0, v5
	v_cndmask_b32_e32 v22, v22, v4, vcc_lo
; %bb.1916:                             ;   in Loop: Header=BB8_959 Depth=2
	s_or_b32 exec_lo, exec_lo, s14
	v_mul_f32_e32 v4, v34, v29
	s_mov_b32 s14, exec_lo
                                        ; implicit-def: $vgpr23
	s_delay_alu instid0(VALU_DEP_1) | instskip(NEXT) | instid1(VALU_DEP_1)
	v_and_b32_e32 v5, 0x7f800000, v4
	v_cmpx_ne_u32_e32 0x7f800000, v5
	s_xor_b32 s14, exec_lo, s14
; %bb.1917:                             ;   in Loop: Header=BB8_959 Depth=2
	v_bfe_u32 v5, v4, 16, 1
	s_delay_alu instid0(VALU_DEP_1)
	v_add3_u32 v23, v4, v5, 0x7fff
                                        ; implicit-def: $vgpr4
; %bb.1918:                             ;   in Loop: Header=BB8_959 Depth=2
	s_and_not1_saveexec_b32 s14, s14
; %bb.1919:                             ;   in Loop: Header=BB8_959 Depth=2
	v_and_b32_e32 v5, 0xffff, v4
	v_or_b32_e32 v23, 0x10000, v4
	s_delay_alu instid0(VALU_DEP_2) | instskip(NEXT) | instid1(VALU_DEP_2)
	v_cmp_eq_u32_e32 vcc_lo, 0, v5
	v_cndmask_b32_e32 v23, v23, v4, vcc_lo
; %bb.1920:                             ;   in Loop: Header=BB8_959 Depth=2
	s_or_b32 exec_lo, exec_lo, s14
	v_mul_f32_e32 v4, v21, v28
	s_mov_b32 s14, exec_lo
                                        ; implicit-def: $vgpr21
	s_delay_alu instid0(VALU_DEP_1) | instskip(NEXT) | instid1(VALU_DEP_1)
	v_and_b32_e32 v5, 0x7f800000, v4
	v_cmpx_ne_u32_e32 0x7f800000, v5
	s_xor_b32 s14, exec_lo, s14
; %bb.1921:                             ;   in Loop: Header=BB8_959 Depth=2
	v_bfe_u32 v5, v4, 16, 1
	s_delay_alu instid0(VALU_DEP_1)
	v_add3_u32 v21, v4, v5, 0x7fff
                                        ; implicit-def: $vgpr4
; %bb.1922:                             ;   in Loop: Header=BB8_959 Depth=2
	s_and_not1_saveexec_b32 s14, s14
; %bb.1923:                             ;   in Loop: Header=BB8_959 Depth=2
	v_and_b32_e32 v5, 0xffff, v4
	v_or_b32_e32 v21, 0x10000, v4
	s_delay_alu instid0(VALU_DEP_2) | instskip(NEXT) | instid1(VALU_DEP_2)
	v_cmp_eq_u32_e32 vcc_lo, 0, v5
	v_cndmask_b32_e32 v21, v21, v4, vcc_lo
; %bb.1924:                             ;   in Loop: Header=BB8_959 Depth=2
	s_or_b32 exec_lo, exec_lo, s14
	v_mul_f32_e32 v4, v20, v19
	s_mov_b32 s14, exec_lo
                                        ; implicit-def: $vgpr19
	s_delay_alu instid0(VALU_DEP_1) | instskip(NEXT) | instid1(VALU_DEP_1)
	v_and_b32_e32 v5, 0x7f800000, v4
	v_cmpx_ne_u32_e32 0x7f800000, v5
	s_xor_b32 s14, exec_lo, s14
; %bb.1925:                             ;   in Loop: Header=BB8_959 Depth=2
	v_bfe_u32 v5, v4, 16, 1
	s_delay_alu instid0(VALU_DEP_1)
	v_add3_u32 v19, v4, v5, 0x7fff
                                        ; implicit-def: $vgpr4
; %bb.1926:                             ;   in Loop: Header=BB8_959 Depth=2
	s_and_not1_saveexec_b32 s14, s14
; %bb.1927:                             ;   in Loop: Header=BB8_959 Depth=2
	v_and_b32_e32 v5, 0xffff, v4
	v_or_b32_e32 v19, 0x10000, v4
	s_delay_alu instid0(VALU_DEP_2) | instskip(NEXT) | instid1(VALU_DEP_2)
	v_cmp_eq_u32_e32 vcc_lo, 0, v5
	v_cndmask_b32_e32 v19, v19, v4, vcc_lo
; %bb.1928:                             ;   in Loop: Header=BB8_959 Depth=2
	s_or_b32 exec_lo, exec_lo, s14
	v_mul_f32_e32 v5, v18, v17
	s_delay_alu instid0(VALU_DEP_1) | instskip(NEXT) | instid1(VALU_DEP_1)
	v_and_b32_e32 v4, 0x7f800000, v5
	v_cmp_ne_u32_e32 vcc_lo, 0x7f800000, v4
                                        ; implicit-def: $vgpr4
	s_and_saveexec_b32 s14, vcc_lo
	s_delay_alu instid0(SALU_CYCLE_1)
	s_xor_b32 s14, exec_lo, s14
; %bb.1929:                             ;   in Loop: Header=BB8_959 Depth=2
	v_bfe_u32 v4, v5, 16, 1
	s_delay_alu instid0(VALU_DEP_1)
	v_add3_u32 v4, v5, v4, 0x7fff
                                        ; implicit-def: $vgpr5
; %bb.1930:                             ;   in Loop: Header=BB8_959 Depth=2
	s_and_not1_saveexec_b32 s14, s14
; %bb.1931:                             ;   in Loop: Header=BB8_959 Depth=2
	v_and_b32_e32 v4, 0xffff, v5
	v_or_b32_e32 v17, 0x10000, v5
	s_delay_alu instid0(VALU_DEP_2) | instskip(NEXT) | instid1(VALU_DEP_2)
	v_cmp_eq_u32_e32 vcc_lo, 0, v4
	v_cndmask_b32_e32 v4, v17, v5, vcc_lo
; %bb.1932:                             ;   in Loop: Header=BB8_959 Depth=2
	s_or_b32 exec_lo, exec_lo, s14
	v_mul_f32_e32 v10, v11, v10
	s_delay_alu instid0(VALU_DEP_1) | instskip(NEXT) | instid1(VALU_DEP_1)
	v_and_b32_e32 v5, 0x7f800000, v10
	v_cmp_ne_u32_e32 vcc_lo, 0x7f800000, v5
                                        ; implicit-def: $vgpr5
	s_and_saveexec_b32 s14, vcc_lo
	s_delay_alu instid0(SALU_CYCLE_1)
	s_xor_b32 s14, exec_lo, s14
; %bb.1933:                             ;   in Loop: Header=BB8_959 Depth=2
	v_bfe_u32 v5, v10, 16, 1
	s_delay_alu instid0(VALU_DEP_1)
	v_add3_u32 v5, v10, v5, 0x7fff
                                        ; implicit-def: $vgpr10
; %bb.1934:                             ;   in Loop: Header=BB8_959 Depth=2
	s_and_not1_saveexec_b32 s14, s14
; %bb.1935:                             ;   in Loop: Header=BB8_959 Depth=2
	v_and_b32_e32 v5, 0xffff, v10
	v_or_b32_e32 v11, 0x10000, v10
	s_delay_alu instid0(VALU_DEP_2) | instskip(NEXT) | instid1(VALU_DEP_2)
	v_cmp_eq_u32_e32 vcc_lo, 0, v5
	v_cndmask_b32_e32 v5, v11, v10, vcc_lo
; %bb.1936:                             ;   in Loop: Header=BB8_959 Depth=2
	s_or_b32 exec_lo, exec_lo, s14
	s_clause 0x7
	flat_store_d16_hi_b16 v[8:9], v12 th:TH_STORE_NT
	flat_store_d16_hi_b16 v[8:9], v13 offset:64 th:TH_STORE_NT
	flat_store_d16_hi_b16 v[8:9], v22 offset:128 th:TH_STORE_NT
	flat_store_d16_hi_b16 v[8:9], v23 offset:192 th:TH_STORE_NT
	flat_store_d16_hi_b16 v[8:9], v21 offset:256 th:TH_STORE_NT
	flat_store_d16_hi_b16 v[8:9], v19 offset:320 th:TH_STORE_NT
	flat_store_d16_hi_b16 v[8:9], v4 offset:384 th:TH_STORE_NT
	flat_store_d16_hi_b16 v[8:9], v5 offset:448 th:TH_STORE_NT
.LBB8_1937:                             ;   in Loop: Header=BB8_959 Depth=2
	s_wait_xcnt 0x0
	s_or_b32 exec_lo, exec_lo, s13
	v_lshlrev_b32_e32 v4, 9, v16
	s_delay_alu instid0(VALU_DEP_1)
	v_cmp_ne_u32_e32 vcc_lo, v73, v4
	s_and_b32 exec_lo, exec_lo, vcc_lo
	s_cbranch_execz .LBB8_1962
; %bb.1938:                             ;   in Loop: Header=BB8_959 Depth=2
	v_lshlrev_b32_e32 v5, 5, v25
	s_delay_alu instid0(VALU_DEP_1) | instskip(NEXT) | instid1(VALU_DEP_1)
	v_sub_nc_u32_e32 v5, v15, v5
	v_ashrrev_i32_e32 v8, 31, v5
	s_delay_alu instid0(VALU_DEP_1) | instskip(NEXT) | instid1(VALU_DEP_1)
	v_lshrrev_b32_e32 v8, 27, v8
	v_add_nc_u32_e32 v8, v5, v8
	s_delay_alu instid0(VALU_DEP_1) | instskip(NEXT) | instid1(VALU_DEP_1)
	v_and_b32_e32 v9, 0x7fffffe0, v8
	v_dual_lshlrev_b32 v8, 1, v8 :: v_dual_sub_nc_u32 v5, v5, v9
	s_delay_alu instid0(VALU_DEP_1) | instskip(NEXT) | instid1(VALU_DEP_2)
	v_and_b32_e32 v8, 0xffffffc0, v8
	v_lshlrev_b32_e32 v5, 1, v5
	s_delay_alu instid0(VALU_DEP_1) | instskip(NEXT) | instid1(VALU_DEP_1)
	v_add3_u32 v4, v8, v5, v4
	v_sub_nc_u32_e32 v15, v73, v4
	s_delay_alu instid0(VALU_DEP_1)
	v_cmp_lt_i32_e32 vcc_lo, 1, v15
	s_and_b32 exec_lo, exec_lo, vcc_lo
	s_cbranch_execz .LBB8_1962
; %bb.1939:                             ;   in Loop: Header=BB8_959 Depth=2
	s_trap 2
	ds_load_b64 v[10:11], v0
	v_add_nc_u32_e32 v4, v4, v14
	s_mov_b32 s78, 0
	s_mov_b32 s76, 0
                                        ; implicit-def: $sgpr77
	s_delay_alu instid0(VALU_DEP_1) | instskip(NEXT) | instid1(VALU_DEP_1)
	v_ashrrev_i32_e32 v5, 31, v4
	v_add_nc_u64_e32 v[8:9], v[88:89], v[4:5]
	v_add_nc_u64_e32 v[12:13], v[4:5], v[78:79]
	s_wait_dscnt 0x0
	v_add_nc_u64_e32 v[10:11], v[10:11], v[4:5]
	s_branch .LBB8_1941
.LBB8_1940:                             ;   in Loop: Header=BB8_1941 Depth=3
	s_or_b32 exec_lo, exec_lo, s13
	s_delay_alu instid0(VALU_DEP_1) | instskip(SKIP_2) | instid1(VALU_DEP_3)
	v_dual_cndmask_b32 v15, 0, v123, s78 :: v_dual_lshrrev_b32 v20, 16, v4
	v_add_nc_u64_e32 v[4:5], v[10:11], v[114:115]
	v_dual_cndmask_b32 v17, 0, v45, s78 :: v_dual_cndmask_b32 v16, 64, v44, s78
	v_sub_nc_u32_e32 v15, v14, v15
	v_add_nc_u64_e32 v[18:19], v[12:13], v[114:115]
	flat_store_b16 v[8:9], v20 th:TH_STORE_NT
	scratch_store_b16 off, v20, s33 offset:192
	v_cndmask_b32_e64 v11, v11, v5, s78
	v_cmp_gt_i32_e32 vcc_lo, 2, v15
	s_wait_xcnt 0x1
	v_add_nc_u64_e32 v[8:9], v[8:9], v[16:17]
	v_dual_cndmask_b32 v10, v10, v4, s78 :: v_dual_cndmask_b32 v13, v13, v19, s78
	v_cndmask_b32_e64 v12, v12, v18, s78
	s_or_b32 s76, vcc_lo, s76
	s_and_not1_b32 s13, s77, exec_lo
	s_and_b32 s14, s78, exec_lo
	s_delay_alu instid0(SALU_CYCLE_1)
	s_or_b32 s77, s13, s14
	s_wait_xcnt 0x0
	s_and_not1_b32 exec_lo, exec_lo, s76
	s_cbranch_execz .LBB8_1956
.LBB8_1941:                             ;   Parent Loop BB8_47 Depth=1
                                        ;     Parent Loop BB8_959 Depth=2
                                        ; =>    This Loop Header: Depth=3
                                        ;         Child Loop BB8_1942 Depth 4
                                        ;         Child Loop BB8_1951 Depth 4
	s_add_co_i32 s13, s33, 0xc0
	s_mov_b64 s[40:41], 0
	s_mov_b32 s79, s13
	s_mov_b32 s88, -1
.LBB8_1942:                             ;   Parent Loop BB8_47 Depth=1
                                        ;     Parent Loop BB8_959 Depth=2
                                        ;       Parent Loop BB8_1941 Depth=3
                                        ; =>      This Inner Loop Header: Depth=4
	s_cmp_eq_u32 s40, 1
	s_cselect_b32 vcc_lo, -1, 0
	s_cmp_eq_u32 s40, 0
	v_dual_cndmask_b32 v5, v13, v11 :: v_dual_cndmask_b32 v4, v12, v10
	s_cselect_b32 s13, -1, 0
	s_and_b32 s14, exec_lo, s88
	s_mov_b64 s[40:41], 1
	s_mov_b32 s88, 0
	flat_load_u16 v14, v[4:5] th:TH_LOAD_NT
	s_wait_xcnt 0x0
	v_add_nc_u64_e32 v[4:5], 64, v[4:5]
	s_delay_alu instid0(VALU_DEP_1)
	v_dual_cndmask_b32 v11, v11, v5 :: v_dual_cndmask_b32 v10, v10, v4
	v_dual_cndmask_b32 v13, v13, v5, s13 :: v_dual_cndmask_b32 v12, v12, v4, s13
	s_add_co_i32 s13, s33, 0xe0
	s_mov_b32 vcc_lo, s14
	s_wait_loadcnt_dscnt 0x0
	scratch_store_b16 off, v14, s79
	s_wait_xcnt 0x0
	s_mov_b32 s79, s13
	s_cbranch_vccnz .LBB8_1942
; %bb.1943:                             ;   in Loop: Header=BB8_1941 Depth=3
	s_and_saveexec_b32 s13, s78
	s_cbranch_execz .LBB8_1949
; %bb.1944:                             ;   in Loop: Header=BB8_1941 Depth=3
	s_clause 0x1
	scratch_load_u16 v4, off, s33 offset:188
	scratch_load_u16 v5, off, s33 offset:190
	s_wait_loadcnt 0x0
	v_dual_lshlrev_b32 v4, 16, v4 :: v_dual_lshlrev_b32 v5, 16, v5
	s_delay_alu instid0(VALU_DEP_1) | instskip(NEXT) | instid1(VALU_DEP_1)
	v_mul_f32_e32 v4, v5, v4
	v_and_b32_e32 v5, 0x7f800000, v4
	s_delay_alu instid0(VALU_DEP_1) | instskip(SKIP_2) | instid1(SALU_CYCLE_1)
	v_cmp_ne_u32_e32 vcc_lo, 0x7f800000, v5
                                        ; implicit-def: $vgpr5
	s_wait_xcnt 0x0
	s_and_saveexec_b32 s14, vcc_lo
	s_xor_b32 s14, exec_lo, s14
; %bb.1945:                             ;   in Loop: Header=BB8_1941 Depth=3
	v_bfe_u32 v5, v4, 16, 1
	s_delay_alu instid0(VALU_DEP_1)
	v_add3_u32 v5, v4, v5, 0x7fff
                                        ; implicit-def: $vgpr4
; %bb.1946:                             ;   in Loop: Header=BB8_1941 Depth=3
	s_and_not1_saveexec_b32 s14, s14
; %bb.1947:                             ;   in Loop: Header=BB8_1941 Depth=3
	v_and_b32_e32 v5, 0xffff, v4
	v_or_b32_e32 v14, 0x10000, v4
	s_delay_alu instid0(VALU_DEP_2) | instskip(NEXT) | instid1(VALU_DEP_2)
	v_cmp_eq_u32_e32 vcc_lo, 0, v5
	v_cndmask_b32_e32 v5, v14, v4, vcc_lo
; %bb.1948:                             ;   in Loop: Header=BB8_1941 Depth=3
	s_or_b32 exec_lo, exec_lo, s14
	s_delay_alu instid0(VALU_DEP_1)
	v_lshrrev_b32_e32 v4, 16, v5
	flat_store_b16 v[8:9], v4 th:TH_STORE_NT
	s_wait_xcnt 0x0
	v_add_nc_u64_e32 v[8:9], v[8:9], v[44:45]
	scratch_store_b16 off, v4, s33 offset:188
.LBB8_1949:                             ;   in Loop: Header=BB8_1941 Depth=3
	s_wait_xcnt 0x0
	s_or_b32 exec_lo, exec_lo, s13
	v_sub_nc_u32_e32 v14, v15, v123
	v_add_nc_u64_e32 v[12:13], v[12:13], v[114:115]
	v_add_nc_u64_e32 v[10:11], v[10:11], v[114:115]
	s_delay_alu instid0(VALU_DEP_3)
	v_cmp_lt_i32_e64 s78, 1, v14
	s_and_saveexec_b32 s79, s78
	s_cbranch_execz .LBB8_1952
; %bb.1950:                             ;   in Loop: Header=BB8_1941 Depth=3
	s_add_co_i32 s13, s33, 0xbc
	s_mov_b64 s[40:41], 0
	s_mov_b32 s88, s13
	s_mov_b32 s89, -1
.LBB8_1951:                             ;   Parent Loop BB8_47 Depth=1
                                        ;     Parent Loop BB8_959 Depth=2
                                        ;       Parent Loop BB8_1941 Depth=3
                                        ; =>      This Inner Loop Header: Depth=4
	s_cmp_eq_u32 s40, 1
	s_cselect_b32 vcc_lo, -1, 0
	s_cmp_eq_u32 s40, 0
	v_dual_cndmask_b32 v5, v13, v11 :: v_dual_cndmask_b32 v4, v12, v10
	s_cselect_b32 s13, -1, 0
	s_and_b32 s14, exec_lo, s89
	s_mov_b64 s[40:41], 1
	s_mov_b32 s89, 0
	flat_load_u16 v15, v[4:5] th:TH_LOAD_NT
	s_wait_xcnt 0x0
	v_add_nc_u64_e32 v[4:5], 64, v[4:5]
	s_delay_alu instid0(VALU_DEP_1)
	v_dual_cndmask_b32 v13, v13, v5, s13 :: v_dual_cndmask_b32 v12, v12, v4, s13
	v_dual_cndmask_b32 v11, v11, v5 :: v_dual_cndmask_b32 v10, v10, v4
	s_add_co_i32 s13, s33, 0xbe
	s_mov_b32 vcc_lo, s14
	s_wait_loadcnt_dscnt 0x0
	scratch_store_b16 off, v15, s88
	s_wait_xcnt 0x0
	s_mov_b32 s88, s13
	s_cbranch_vccnz .LBB8_1951
.LBB8_1952:                             ;   in Loop: Header=BB8_1941 Depth=3
	s_or_b32 exec_lo, exec_lo, s79
	s_clause 0x1
	scratch_load_u16 v4, off, s33 offset:192
	scratch_load_u16 v5, off, s33 offset:224
	s_wait_loadcnt 0x0
	v_dual_lshlrev_b32 v4, 16, v4 :: v_dual_lshlrev_b32 v5, 16, v5
	s_delay_alu instid0(VALU_DEP_1) | instskip(NEXT) | instid1(VALU_DEP_1)
	v_mul_f32_e32 v5, v5, v4
	v_and_b32_e32 v4, 0x7f800000, v5
	s_delay_alu instid0(VALU_DEP_1) | instskip(SKIP_2) | instid1(SALU_CYCLE_1)
	v_cmp_ne_u32_e32 vcc_lo, 0x7f800000, v4
                                        ; implicit-def: $vgpr4
	s_wait_xcnt 0x0
	s_and_saveexec_b32 s13, vcc_lo
	s_xor_b32 s13, exec_lo, s13
; %bb.1953:                             ;   in Loop: Header=BB8_1941 Depth=3
	v_bfe_u32 v4, v5, 16, 1
	s_delay_alu instid0(VALU_DEP_1)
	v_add3_u32 v4, v5, v4, 0x7fff
                                        ; implicit-def: $vgpr5
; %bb.1954:                             ;   in Loop: Header=BB8_1941 Depth=3
	s_and_not1_saveexec_b32 s13, s13
	s_cbranch_execz .LBB8_1940
; %bb.1955:                             ;   in Loop: Header=BB8_1941 Depth=3
	v_and_b32_e32 v4, 0xffff, v5
	v_or_b32_e32 v15, 0x10000, v5
	s_delay_alu instid0(VALU_DEP_2) | instskip(NEXT) | instid1(VALU_DEP_2)
	v_cmp_eq_u32_e32 vcc_lo, 0, v4
	v_cndmask_b32_e32 v4, v15, v5, vcc_lo
	s_branch .LBB8_1940
.LBB8_1956:                             ;   in Loop: Header=BB8_959 Depth=2
	s_or_b32 exec_lo, exec_lo, s76
	s_delay_alu instid0(SALU_CYCLE_1)
	s_and_b32 exec_lo, exec_lo, s77
	s_cbranch_execz .LBB8_1962
; %bb.1957:                             ;   in Loop: Header=BB8_959 Depth=2
	s_clause 0x1
	scratch_load_u16 v4, off, s33 offset:188
	scratch_load_u16 v5, off, s33 offset:190
	s_wait_loadcnt 0x0
	v_dual_lshlrev_b32 v4, 16, v4 :: v_dual_lshlrev_b32 v5, 16, v5
	s_delay_alu instid0(VALU_DEP_1) | instskip(NEXT) | instid1(VALU_DEP_1)
	v_mul_f32_e32 v4, v5, v4
	v_and_b32_e32 v5, 0x7f800000, v4
	s_delay_alu instid0(VALU_DEP_1) | instskip(SKIP_2) | instid1(SALU_CYCLE_1)
	v_cmp_ne_u32_e32 vcc_lo, 0x7f800000, v5
                                        ; implicit-def: $vgpr5
	s_wait_xcnt 0x0
	s_and_saveexec_b32 s13, vcc_lo
	s_xor_b32 s13, exec_lo, s13
; %bb.1958:                             ;   in Loop: Header=BB8_959 Depth=2
	v_bfe_u32 v5, v4, 16, 1
	s_delay_alu instid0(VALU_DEP_1)
	v_add3_u32 v5, v4, v5, 0x7fff
                                        ; implicit-def: $vgpr4
; %bb.1959:                             ;   in Loop: Header=BB8_959 Depth=2
	s_and_not1_saveexec_b32 s13, s13
; %bb.1960:                             ;   in Loop: Header=BB8_959 Depth=2
	v_and_b32_e32 v5, 0xffff, v4
	v_or_b32_e32 v10, 0x10000, v4
	s_delay_alu instid0(VALU_DEP_2) | instskip(NEXT) | instid1(VALU_DEP_2)
	v_cmp_eq_u32_e32 vcc_lo, 0, v5
	v_cndmask_b32_e32 v5, v10, v4, vcc_lo
; %bb.1961:                             ;   in Loop: Header=BB8_959 Depth=2
	s_or_b32 exec_lo, exec_lo, s13
	flat_store_d16_hi_b16 v[8:9], v5 th:TH_STORE_NT
.LBB8_1962:                             ;   in Loop: Header=BB8_959 Depth=2
	s_wait_xcnt 0x0
	s_or_b32 exec_lo, exec_lo, s15
	v_cmp_lt_i32_e64 s13, 0, v2
	s_and_saveexec_b32 s14, s2
	s_cbranch_execz .LBB8_1981
.LBB8_1963:                             ;   in Loop: Header=BB8_959 Depth=2
	s_and_saveexec_b32 s15, s3
	s_delay_alu instid0(SALU_CYCLE_1)
	s_xor_b32 s15, exec_lo, s15
	s_cbranch_execz .LBB8_1978
; %bb.1964:                             ;   in Loop: Header=BB8_959 Depth=2
	s_and_saveexec_b32 s40, s6
	s_cbranch_execz .LBB8_1977
; %bb.1965:                             ;   in Loop: Header=BB8_959 Depth=2
	s_mov_b32 s76, exec_lo
	s_mov_b32 s41, exec_lo
	v_mbcnt_lo_u32_b32 v2, s76, 0
	global_wb scope:SCOPE_DEV
	s_wait_storecnt 0x0
	s_wait_loadcnt_dscnt 0x0
	global_inv scope:SCOPE_DEV
	v_cmpx_eq_u32_e32 0, v2
	s_cbranch_execz .LBB8_1967
; %bb.1966:                             ;   in Loop: Header=BB8_959 Depth=2
	s_bcnt1_i32_b32 s76, s76
	s_delay_alu instid0(SALU_CYCLE_1)
	v_mov_b32_e32 v2, s76
	s_wait_loadcnt 0x0
	ds_add_u64 v0, v[2:3]
	s_trap 2
.LBB8_1967:                             ;   in Loop: Header=BB8_959 Depth=2
	s_or_b32 exec_lo, exec_lo, s41
	s_trap 2
	ds_load_b64 v[4:5], v0
	s_wait_dscnt 0x0
	v_add_nc_u64_e32 v[80:81], v[80:81], v[84:85]
	s_mov_b32 s41, exec_lo
	s_delay_alu instid0(VALU_DEP_1)
	v_cmpx_lt_u64_e64 v[4:5], v[80:81]
	s_cbranch_execz .LBB8_1976
; %bb.1968:                             ;   in Loop: Header=BB8_959 Depth=2
	s_mov_b32 s76, 0
	s_mov_b32 s79, 0
                                        ; implicit-def: $sgpr77
                                        ; implicit-def: $sgpr78
	s_branch .LBB8_1970
.LBB8_1969:                             ;   in Loop: Header=BB8_1970 Depth=3
	s_or_b32 exec_lo, exec_lo, s89
	s_delay_alu instid0(SALU_CYCLE_1) | instskip(NEXT) | instid1(SALU_CYCLE_1)
	s_and_b32 s88, exec_lo, s90
	s_or_b32 s76, s88, s76
	s_and_not1_b32 s77, s77, exec_lo
	s_and_b32 s88, s78, exec_lo
	s_delay_alu instid0(SALU_CYCLE_1)
	s_or_b32 s77, s77, s88
	s_and_not1_b32 exec_lo, exec_lo, s76
	s_cbranch_execz .LBB8_1974
.LBB8_1970:                             ;   Parent Loop BB8_47 Depth=1
                                        ;     Parent Loop BB8_959 Depth=2
                                        ; =>    This Inner Loop Header: Depth=3
	s_add_co_i32 s79, s79, 1
	s_delay_alu instid0(SALU_CYCLE_1) | instskip(SKIP_1) | instid1(SALU_CYCLE_1)
	s_cmp_lg_u32 s79, 0x2710
	s_cselect_b32 s88, -1, 0
	s_and_b32 vcc_lo, exec_lo, s88
	s_cbranch_vccz .LBB8_1972
; %bb.1971:                             ;   in Loop: Header=BB8_1970 Depth=3
	s_mov_b32 s90, -1
	s_or_b32 s78, s78, exec_lo
	s_and_saveexec_b32 s89, s88
	s_cbranch_execz .LBB8_1969
	s_branch .LBB8_1973
.LBB8_1972:                             ;   in Loop: Header=BB8_1970 Depth=3
	s_trap 2
	ds_load_b64 v[4:5], v0
	s_and_not1_b32 s88, s88, exec_lo
	s_mov_b32 s79, 0
	s_wait_loadcnt_dscnt 0x0
	flat_load_b32 v2, v[4:5] scope:SCOPE_SYS
	s_wait_loadcnt_dscnt 0x0
	global_inv scope:SCOPE_SYS
	v_cmp_eq_u32_e32 vcc_lo, 0, v2
	s_and_b32 s89, vcc_lo, exec_lo
	s_delay_alu instid0(SALU_CYCLE_1)
	s_or_b32 s88, s88, s89
	s_mov_b32 s90, -1
	s_or_b32 s78, s78, exec_lo
	s_wait_xcnt 0x0
	s_and_saveexec_b32 s89, s88
	s_cbranch_execz .LBB8_1969
.LBB8_1973:                             ;   in Loop: Header=BB8_1970 Depth=3
	s_sleep 1
	s_trap 2
	ds_load_b64 v[4:5], v0
	s_wait_dscnt 0x0
	s_and_not1_b32 s78, s78, exec_lo
	v_cmp_ge_u64_e32 vcc_lo, v[4:5], v[80:81]
	s_or_not1_b32 s90, vcc_lo, exec_lo
	s_branch .LBB8_1969
.LBB8_1974:                             ;   in Loop: Header=BB8_959 Depth=2
	s_or_b32 exec_lo, exec_lo, s76
	s_and_saveexec_b32 s76, s77
	s_delay_alu instid0(SALU_CYCLE_1)
	s_xor_b32 s76, exec_lo, s76
	s_cbranch_execz .LBB8_1976
; %bb.1975:                             ;   in Loop: Header=BB8_959 Depth=2
	ds_store_b32 v0, v111
	s_trap 2
.LBB8_1976:                             ;   in Loop: Header=BB8_959 Depth=2
	s_or_b32 exec_lo, exec_lo, s41
	;;#ASMSTART
	s_wakeup
	;;#ASMEND
.LBB8_1977:                             ;   in Loop: Header=BB8_959 Depth=2
	s_or_b32 exec_lo, exec_lo, s40
.LBB8_1978:                             ;   in Loop: Header=BB8_959 Depth=2
	s_and_not1_saveexec_b32 s15, s15
	s_cbranch_execz .LBB8_1980
; %bb.1979:                             ;   in Loop: Header=BB8_959 Depth=2
	global_wb scope:SCOPE_DEV
	s_wait_storecnt 0x0
	s_wait_loadcnt_dscnt 0x0
	global_inv scope:SCOPE_DEV
	s_barrier_signal -1
	s_barrier_wait -1
.LBB8_1980:                             ;   in Loop: Header=BB8_959 Depth=2
	s_or_b32 exec_lo, exec_lo, s15
.LBB8_1981:                             ;   in Loop: Header=BB8_959 Depth=2
	s_delay_alu instid0(SALU_CYCLE_1) | instskip(SKIP_2) | instid1(SALU_CYCLE_1)
	s_or_b32 exec_lo, exec_lo, s14
	v_and_b32_e32 v8, 16, v30
	s_and_saveexec_b32 s14, s10
	s_xor_b32 s14, exec_lo, s14
	s_cbranch_execz .LBB8_1985
; %bb.1982:                             ;   in Loop: Header=BB8_959 Depth=2
	v_and_b32_e32 v2, 16, v30
	v_and_b32_e32 v8, 16, v30
	s_delay_alu instid0(VALU_DEP_2) | instskip(SKIP_1) | instid1(SALU_CYCLE_1)
	v_cmp_ne_u32_e32 vcc_lo, 0, v2
	s_and_b32 s15, vcc_lo, s13
	s_and_saveexec_b32 s13, s15
	s_cbranch_execz .LBB8_1984
; %bb.1983:                             ;   in Loop: Header=BB8_959 Depth=2
	v_mov_b32_e32 v8, 1
	global_wb scope:SCOPE_SYS
	s_wait_storecnt 0x0
	s_wait_loadcnt_dscnt 0x0
	global_inv scope:SCOPE_SYS
.LBB8_1984:                             ;   in Loop: Header=BB8_959 Depth=2
	s_or_b32 exec_lo, exec_lo, s13
.LBB8_1985:                             ;   in Loop: Header=BB8_959 Depth=2
	s_and_not1_saveexec_b32 s13, s14
	s_cbranch_execz .LBB8_2004
; %bb.1986:                             ;   in Loop: Header=BB8_959 Depth=2
	s_and_saveexec_b32 s14, s3
	s_delay_alu instid0(SALU_CYCLE_1)
	s_xor_b32 s14, exec_lo, s14
	s_cbranch_execz .LBB8_2001
; %bb.1987:                             ;   in Loop: Header=BB8_959 Depth=2
	s_and_saveexec_b32 s15, s6
	s_cbranch_execz .LBB8_2000
; %bb.1988:                             ;   in Loop: Header=BB8_959 Depth=2
	s_mov_b32 s41, exec_lo
	s_mov_b32 s40, exec_lo
	v_mbcnt_lo_u32_b32 v2, s41, 0
	;;#ASMSTART
	s_waitcnt lgkmcnt(0) vmcnt(0)
	;;#ASMEND
	s_delay_alu instid0(VALU_DEP_1)
	v_cmpx_eq_u32_e32 0, v2
	s_cbranch_execz .LBB8_1990
; %bb.1989:                             ;   in Loop: Header=BB8_959 Depth=2
	s_bcnt1_i32_b32 s41, s41
	s_delay_alu instid0(SALU_CYCLE_1)
	v_mov_b32_e32 v2, s41
	s_wait_storecnt 0x0
	s_wait_loadcnt_dscnt 0x0
	ds_add_u64 v0, v[2:3]
	s_trap 2
.LBB8_1990:                             ;   in Loop: Header=BB8_959 Depth=2
	s_or_b32 exec_lo, exec_lo, s40
	s_trap 2
	ds_load_b64 v[4:5], v0
	s_wait_dscnt 0x0
	v_add_nc_u64_e32 v[80:81], v[80:81], v[84:85]
	s_mov_b32 s40, exec_lo
	s_delay_alu instid0(VALU_DEP_1)
	v_cmpx_lt_u64_e64 v[4:5], v[80:81]
	s_cbranch_execz .LBB8_1999
; %bb.1991:                             ;   in Loop: Header=BB8_959 Depth=2
	s_mov_b32 s41, 0
	s_mov_b32 s78, 0
                                        ; implicit-def: $sgpr76
                                        ; implicit-def: $sgpr77
	s_branch .LBB8_1993
.LBB8_1992:                             ;   in Loop: Header=BB8_1993 Depth=3
	s_or_b32 exec_lo, exec_lo, s88
	s_delay_alu instid0(SALU_CYCLE_1) | instskip(NEXT) | instid1(SALU_CYCLE_1)
	s_and_b32 s79, exec_lo, s89
	s_or_b32 s41, s79, s41
	s_and_not1_b32 s76, s76, exec_lo
	s_and_b32 s79, s77, exec_lo
	s_delay_alu instid0(SALU_CYCLE_1)
	s_or_b32 s76, s76, s79
	s_and_not1_b32 exec_lo, exec_lo, s41
	s_cbranch_execz .LBB8_1997
.LBB8_1993:                             ;   Parent Loop BB8_47 Depth=1
                                        ;     Parent Loop BB8_959 Depth=2
                                        ; =>    This Inner Loop Header: Depth=3
	s_add_co_i32 s78, s78, 1
	s_delay_alu instid0(SALU_CYCLE_1) | instskip(SKIP_1) | instid1(SALU_CYCLE_1)
	s_cmp_lg_u32 s78, 0x2710
	s_cselect_b32 s79, -1, 0
	s_and_b32 vcc_lo, exec_lo, s79
	s_cbranch_vccz .LBB8_1995
; %bb.1994:                             ;   in Loop: Header=BB8_1993 Depth=3
	s_mov_b32 s89, -1
	s_or_b32 s77, s77, exec_lo
	s_and_saveexec_b32 s88, s79
	s_cbranch_execz .LBB8_1992
	s_branch .LBB8_1996
.LBB8_1995:                             ;   in Loop: Header=BB8_1993 Depth=3
	s_trap 2
	ds_load_b64 v[4:5], v0
	s_and_not1_b32 s79, s79, exec_lo
	s_mov_b32 s78, 0
	s_wait_storecnt 0x0
	s_wait_loadcnt_dscnt 0x0
	flat_load_b32 v2, v[4:5] scope:SCOPE_SYS
	s_wait_loadcnt_dscnt 0x0
	global_inv scope:SCOPE_SYS
	v_cmp_eq_u32_e32 vcc_lo, 0, v2
	s_and_b32 s88, vcc_lo, exec_lo
	s_delay_alu instid0(SALU_CYCLE_1)
	s_or_b32 s79, s79, s88
	s_mov_b32 s89, -1
	s_or_b32 s77, s77, exec_lo
	s_wait_xcnt 0x0
	s_and_saveexec_b32 s88, s79
	s_cbranch_execz .LBB8_1992
.LBB8_1996:                             ;   in Loop: Header=BB8_1993 Depth=3
	s_sleep 1
	s_trap 2
	ds_load_b64 v[4:5], v0
	s_wait_dscnt 0x0
	s_and_not1_b32 s77, s77, exec_lo
	v_cmp_ge_u64_e32 vcc_lo, v[4:5], v[80:81]
	s_or_not1_b32 s89, vcc_lo, exec_lo
	s_branch .LBB8_1992
.LBB8_1997:                             ;   in Loop: Header=BB8_959 Depth=2
	s_or_b32 exec_lo, exec_lo, s41
	s_and_saveexec_b32 s41, s76
	s_delay_alu instid0(SALU_CYCLE_1)
	s_xor_b32 s41, exec_lo, s41
	s_cbranch_execz .LBB8_1999
; %bb.1998:                             ;   in Loop: Header=BB8_959 Depth=2
	ds_store_b32 v0, v111
	s_trap 2
.LBB8_1999:                             ;   in Loop: Header=BB8_959 Depth=2
	s_or_b32 exec_lo, exec_lo, s40
	;;#ASMSTART
	s_wakeup
	;;#ASMEND
.LBB8_2000:                             ;   in Loop: Header=BB8_959 Depth=2
	s_or_b32 exec_lo, exec_lo, s15
.LBB8_2001:                             ;   in Loop: Header=BB8_959 Depth=2
	s_and_not1_saveexec_b32 s14, s14
	s_cbranch_execz .LBB8_2003
; %bb.2002:                             ;   in Loop: Header=BB8_959 Depth=2
	;;#ASMSTART
	s_waitcnt lgkmcnt(0) vmcnt(0)
	;;#ASMEND
	s_barrier_signal -1
	s_barrier_wait -1
.LBB8_2003:                             ;   in Loop: Header=BB8_959 Depth=2
	s_or_b32 exec_lo, exec_lo, s14
.LBB8_2004:                             ;   in Loop: Header=BB8_959 Depth=2
	s_delay_alu instid0(SALU_CYCLE_1) | instskip(SKIP_2) | instid1(SALU_CYCLE_1)
	s_or_b32 exec_lo, exec_lo, s13
	v_cmp_ne_u32_e32 vcc_lo, 0, v8
	s_xor_b32 s13, s4, -1
	s_and_b32 s14, vcc_lo, s13
	s_delay_alu instid0(SALU_CYCLE_1)
	s_and_saveexec_b32 s13, s14
	s_cbranch_execz .LBB8_2006
; %bb.2005:                             ;   in Loop: Header=BB8_959 Depth=2
	global_wb scope:SCOPE_SYS
	s_wait_storecnt 0x0
	s_wait_loadcnt_dscnt 0x0
	flat_store_b32 v[70:71], v111 scope:SCOPE_SYS
.LBB8_2006:                             ;   in Loop: Header=BB8_959 Depth=2
	s_wait_xcnt 0x0
	s_or_b32 exec_lo, exec_lo, s13
	v_and_b32_e32 v2, 48, v30
	s_mov_b32 s13, exec_lo
	s_delay_alu instid0(VALU_DEP_1)
	v_cmpx_ne_u32_e32 0, v2
	s_cbranch_execz .LBB8_958
; %bb.2007:                             ;   in Loop: Header=BB8_959 Depth=2
	v_add_nc_u64_e32 v[58:59], 2, v[58:59]
	global_wb scope:SCOPE_SYS
	s_wait_storecnt 0x0
	s_wait_loadcnt_dscnt 0x0
	flat_store_b64 v[64:65], v[58:59] scope:SCOPE_SYS
	s_branch .LBB8_958
.LBB8_2008:                             ;   in Loop: Header=BB8_47 Depth=1
	s_or_b32 exec_lo, exec_lo, s27
.LBB8_2009:                             ;   in Loop: Header=BB8_47 Depth=1
	s_delay_alu instid0(SALU_CYCLE_1) | instskip(NEXT) | instid1(SALU_CYCLE_1)
	s_or_b32 exec_lo, exec_lo, s18
	s_mov_b32 s14, exec_lo
	v_cmpx_gt_i32_e32 2, v2
	s_cbranch_execz .LBB8_2085
; %bb.2010:                             ;   in Loop: Header=BB8_47 Depth=1
	v_cmp_eq_u32_e64 s18, 0, v2
	s_mov_b32 s15, 0
	s_branch .LBB8_2012
.LBB8_2011:                             ;   in Loop: Header=BB8_2012 Depth=2
	s_wait_xcnt 0x0
	s_or_b32 exec_lo, exec_lo, s13
	v_add_nc_u32_e32 v74, v72, v74
	s_mov_b32 s18, 0
	s_and_not1_b32 exec_lo, exec_lo, s15
	s_cbranch_execz .LBB8_2084
.LBB8_2012:                             ;   Parent Loop BB8_47 Depth=1
                                        ; =>  This Loop Header: Depth=2
                                        ;       Child Loop BB8_2018 Depth 3
                                        ;       Child Loop BB8_2046 Depth 3
                                        ;       Child Loop BB8_2069 Depth 3
	s_delay_alu instid0(VALU_DEP_1) | instskip(SKIP_2) | instid1(VALU_DEP_2)
	v_sub_nc_u32_e32 v2, v125, v74
	v_and_b32_e32 v4, 12, v30
	s_mov_b32 s27, exec_lo
	v_min_i32_e32 v72, v72, v2
	s_delay_alu instid0(VALU_DEP_2)
	v_cmpx_ne_u32_e32 0, v4
	s_cbranch_execz .LBB8_2038
; %bb.2013:                             ;   in Loop: Header=BB8_2012 Depth=2
	v_and_b32_e32 v2, 8, v30
	v_add_nc_u64_e32 v[8:9], 2, v[58:59]
	s_mov_b32 s40, exec_lo
	s_wait_loadcnt_dscnt 0x1
	s_delay_alu instid0(VALU_DEP_2) | instskip(NEXT) | instid1(VALU_DEP_1)
	v_add_nc_u64_e32 v[4:5], v[82:83], v[2:3]
	v_cmpx_lt_u64_e64 v[4:5], v[8:9]
	s_cbranch_execz .LBB8_2025
; %bb.2014:                             ;   in Loop: Header=BB8_2012 Depth=2
	v_and_b32_e32 v4, 64, v30
	s_mov_b32 s41, 0
	s_mov_b32 s77, 0
                                        ; implicit-def: $sgpr74
                                        ; implicit-def: $sgpr75
                                        ; implicit-def: $sgpr76
	s_delay_alu instid0(VALU_DEP_1)
	v_cmp_eq_u32_e32 vcc_lo, 0, v4
	s_branch .LBB8_2018
.LBB8_2015:                             ;   in Loop: Header=BB8_2018 Depth=3
	s_wait_loadcnt_dscnt 0x0
	v_add_nc_u64_e32 v[4:5], v[82:83], v[2:3]
	s_or_b32 s88, s88, exec_lo
	s_delay_alu instid0(VALU_DEP_1)
	v_cmp_ge_u64_e64 s13, v[4:5], v[8:9]
	s_or_not1_b32 s79, s13, exec_lo
.LBB8_2016:                             ;   in Loop: Header=BB8_2018 Depth=3
	s_or_b32 exec_lo, exec_lo, s90
	s_delay_alu instid0(SALU_CYCLE_1)
	s_and_not1_b32 s13, s76, exec_lo
	s_and_b32 s76, s88, exec_lo
	s_and_not1_b32 s75, s75, exec_lo
	s_and_b32 s79, s79, exec_lo
	s_or_b32 s76, s13, s76
	s_or_b32 s75, s75, s79
.LBB8_2017:                             ;   in Loop: Header=BB8_2018 Depth=3
	s_or_b32 exec_lo, exec_lo, s78
	s_delay_alu instid0(SALU_CYCLE_1) | instskip(NEXT) | instid1(SALU_CYCLE_1)
	s_and_b32 s13, exec_lo, s75
	s_or_b32 s41, s13, s41
	s_and_not1_b32 s13, s74, exec_lo
	s_and_b32 s74, s76, exec_lo
	s_delay_alu instid0(SALU_CYCLE_1)
	s_or_b32 s74, s13, s74
	s_and_not1_b32 exec_lo, exec_lo, s41
	s_cbranch_execz .LBB8_2022
.LBB8_2018:                             ;   Parent Loop BB8_47 Depth=1
                                        ;     Parent Loop BB8_2012 Depth=2
                                        ; =>    This Inner Loop Header: Depth=3
	s_sleep 1
	s_wait_loadcnt_dscnt 0x0
	flat_load_b64 v[82:83], v[64:65] scope:SCOPE_SYS
	s_or_b32 s76, s76, exec_lo
	s_or_b32 s75, s75, exec_lo
                                        ; implicit-def: $vgpr10
	s_wait_xcnt 0x0
	s_and_saveexec_b32 s78, vcc_lo
	s_cbranch_execz .LBB8_2017
; %bb.2019:                             ;   in Loop: Header=BB8_2018 Depth=3
	s_cmp_lt_i32 s77, 0x270f
	s_mov_b32 s79, -1
	s_cselect_b32 s89, -1, 0
	s_cmp_gt_i32 s77, 0x270e
	s_cbranch_scc0 .LBB8_2021
; %bb.2020:                             ;   in Loop: Header=BB8_2018 Depth=3
	s_trap 2
	ds_load_b64 v[4:5], v0
	s_and_not1_b32 s77, s89, exec_lo
	s_mov_b32 s88, 0
	s_wait_storecnt 0x0
	s_wait_loadcnt_dscnt 0x0
	flat_load_b32 v10, v[4:5] scope:SCOPE_SYS
	s_wait_loadcnt_dscnt 0x0
	global_inv scope:SCOPE_SYS
	v_cmp_eq_u32_e64 s13, 0, v10
	s_and_b32 s13, s13, exec_lo
	s_delay_alu instid0(SALU_CYCLE_1)
	s_or_b32 s89, s77, s13
	s_mov_b32 s77, 0
	s_wait_xcnt 0x0
	s_and_saveexec_b32 s90, s89
	s_cbranch_execz .LBB8_2016
	s_branch .LBB8_2015
.LBB8_2021:                             ;   in Loop: Header=BB8_2018 Depth=3
	s_add_co_i32 s77, s77, 1
	s_mov_b32 s88, -1
                                        ; implicit-def: $vgpr10
	s_and_saveexec_b32 s90, s89
	s_cbranch_execz .LBB8_2016
	s_branch .LBB8_2015
.LBB8_2022:                             ;   in Loop: Header=BB8_2012 Depth=2
	s_or_b32 exec_lo, exec_lo, s41
	s_xor_b32 s13, s74, -1
	s_delay_alu instid0(SALU_CYCLE_1) | instskip(NEXT) | instid1(SALU_CYCLE_1)
	s_and_saveexec_b32 s41, s13
	s_xor_b32 s13, exec_lo, s41
	s_cbranch_execz .LBB8_2024
; %bb.2023:                             ;   in Loop: Header=BB8_2012 Depth=2
	v_or_b32_e32 v30, 64, v30
	s_wait_storecnt 0x0
	s_wait_loadcnt_dscnt 0x0
	ds_store_b32 v0, v10
	s_trap 2
.LBB8_2024:                             ;   in Loop: Header=BB8_2012 Depth=2
	s_or_b32 exec_lo, exec_lo, s13
.LBB8_2025:                             ;   in Loop: Header=BB8_2012 Depth=2
	s_delay_alu instid0(SALU_CYCLE_1) | instskip(SKIP_4) | instid1(VALU_DEP_2)
	s_or_b32 exec_lo, exec_lo, s40
	v_and_b32_e32 v4, 0x108, v30
	v_and_b32_e32 v10, 7, v58
	s_mov_b32 s13, exec_lo
	;;#ASMSTART
	s_wakeup
	;;#ASMEND
	v_cmpx_ne_u32_e32 0x108, v4
	s_xor_b32 s13, exec_lo, s13
; %bb.2026:                             ;   in Loop: Header=BB8_2012 Depth=2
	v_mov_b32_e32 v11, v3
; %bb.2027:                             ;   in Loop: Header=BB8_2012 Depth=2
	s_and_not1_saveexec_b32 s13, s13
	s_cbranch_execz .LBB8_2029
; %bb.2028:                             ;   in Loop: Header=BB8_2012 Depth=2
	v_dual_ashrrev_i32 v73, 31, v72 :: v_dual_mov_b32 v11, v3
	v_mad_nc_u64_u32 v[4:5], v10, 24, v[6:7]
	s_delay_alu instid0(VALU_DEP_2)
	v_lshlrev_b64_e32 v[12:13], 1, v[72:73]
	flat_store_b64 v[4:5], v[12:13] offset:8
.LBB8_2029:                             ;   in Loop: Header=BB8_2012 Depth=2
	s_wait_xcnt 0x0
	s_or_b32 exec_lo, exec_lo, s13
	v_and_b32_e32 v4, 0x100, v30
	s_mov_b32 s13, -1
	s_mov_b32 s40, exec_lo
                                        ; implicit-def: $vgpr12_vgpr13
	s_delay_alu instid0(VALU_DEP_1)
	v_cmpx_ne_u32_e32 0, v4
	s_cbranch_execz .LBB8_2033
; %bb.2030:                             ;   in Loop: Header=BB8_2012 Depth=2
	v_mad_nc_u64_u32 v[14:15], v10, 24, v[6:7]
	s_mov_b32 s41, exec_lo
                                        ; implicit-def: $vgpr12_vgpr13
	s_delay_alu instid0(VALU_DEP_1)
	v_mad_u32 v15, v11, 24, v15
	flat_load_b32 v4, v[14:15]
	s_wait_loadcnt_dscnt 0x0
	v_cmp_ne_u32_e32 vcc_lo, 1, v4
	s_wait_xcnt 0x0
	v_cmpx_eq_u32_e32 1, v4
	s_cbranch_execz .LBB8_2032
; %bb.2031:                             ;   in Loop: Header=BB8_2012 Depth=2
	flat_load_b32 v4, v[14:15] offset:4 scope:SCOPE_SYS
	s_wait_loadcnt_dscnt 0x0
	v_ashrrev_i32_e32 v5, 31, v4
	s_delay_alu instid0(VALU_DEP_1)
	v_lshrrev_b64 v[12:13], 1, v[4:5]
.LBB8_2032:                             ;   in Loop: Header=BB8_2012 Depth=2
	s_wait_xcnt 0x0
	s_or_b32 exec_lo, exec_lo, s41
	s_delay_alu instid0(SALU_CYCLE_1)
	s_or_not1_b32 s13, vcc_lo, exec_lo
.LBB8_2033:                             ;   in Loop: Header=BB8_2012 Depth=2
	s_or_b32 exec_lo, exec_lo, s40
	s_and_saveexec_b32 s40, s13
; %bb.2034:                             ;   in Loop: Header=BB8_2012 Depth=2
	v_mul_u64_e32 v[12:13], v[10:11], v[66:67]
; %bb.2035:                             ;   in Loop: Header=BB8_2012 Depth=2
	s_or_b32 exec_lo, exec_lo, s40
	v_cmp_eq_u32_e32 vcc_lo, 0, v2
	v_and_b32_e32 v10, 0x2000, v30
	s_delay_alu instid0(VALU_DEP_3) | instskip(SKIP_2) | instid1(VALU_DEP_1)
	v_lshl_add_u64 v[4:5], v[12:13], 1, v[68:69]
	s_mov_b32 s13, exec_lo
	v_cndmask_b32_e32 v2, 0xd0, v120, vcc_lo
	v_add_nc_u32_e32 v2, v0, v2
	ds_store_b64 v2, v[4:5] offset:584
	v_cmpx_ne_u32_e32 0, v10
	s_cbranch_execz .LBB8_2037
; %bb.2036:                             ;   in Loop: Header=BB8_2012 Depth=2
	ds_load_b64 v[4:5], v0 offset:872
	s_wait_dscnt 0x0
	v_add_nc_u64_e32 v[4:5], 1, v[4:5]
	ds_store_b64 v0, v[4:5] offset:872
.LBB8_2037:                             ;   in Loop: Header=BB8_2012 Depth=2
	s_or_b32 exec_lo, exec_lo, s13
	v_mov_b64_e32 v[58:59], v[8:9]
.LBB8_2038:                             ;   in Loop: Header=BB8_2012 Depth=2
	s_or_b32 exec_lo, exec_lo, s27
	s_xor_b32 s13, s18, -1
	s_delay_alu instid0(SALU_CYCLE_1) | instskip(NEXT) | instid1(SALU_CYCLE_1)
	s_and_b32 s13, exec_lo, s13
	s_or_b32 s15, s13, s15
	s_and_saveexec_b32 s13, s2
	s_cbranch_execz .LBB8_2057
; %bb.2039:                             ;   in Loop: Header=BB8_2012 Depth=2
	s_and_saveexec_b32 s18, s3
	s_delay_alu instid0(SALU_CYCLE_1)
	s_xor_b32 s18, exec_lo, s18
	s_cbranch_execz .LBB8_2054
; %bb.2040:                             ;   in Loop: Header=BB8_2012 Depth=2
	s_and_saveexec_b32 s27, s6
	s_cbranch_execz .LBB8_2053
; %bb.2041:                             ;   in Loop: Header=BB8_2012 Depth=2
	s_mov_b32 s41, exec_lo
	s_mov_b32 s40, exec_lo
	v_mbcnt_lo_u32_b32 v2, s41, 0
	global_wb scope:SCOPE_DEV
	s_wait_storecnt 0x0
	s_wait_loadcnt_dscnt 0x0
	global_inv scope:SCOPE_DEV
	v_cmpx_eq_u32_e32 0, v2
	s_cbranch_execz .LBB8_2043
; %bb.2042:                             ;   in Loop: Header=BB8_2012 Depth=2
	s_bcnt1_i32_b32 s41, s41
	s_delay_alu instid0(SALU_CYCLE_1)
	v_mov_b32_e32 v2, s41
	s_wait_loadcnt 0x0
	ds_add_u64 v0, v[2:3]
	s_trap 2
.LBB8_2043:                             ;   in Loop: Header=BB8_2012 Depth=2
	s_or_b32 exec_lo, exec_lo, s40
	s_trap 2
	ds_load_b64 v[4:5], v0
	s_wait_dscnt 0x0
	v_add_nc_u64_e32 v[80:81], v[80:81], v[84:85]
	s_mov_b32 s40, exec_lo
	s_delay_alu instid0(VALU_DEP_1)
	v_cmpx_lt_u64_e64 v[4:5], v[80:81]
	s_cbranch_execz .LBB8_2052
; %bb.2044:                             ;   in Loop: Header=BB8_2012 Depth=2
	s_mov_b32 s41, 0
	s_mov_b32 s76, 0
                                        ; implicit-def: $sgpr74
                                        ; implicit-def: $sgpr75
	s_branch .LBB8_2046
.LBB8_2045:                             ;   in Loop: Header=BB8_2046 Depth=3
	s_or_b32 exec_lo, exec_lo, s78
	s_delay_alu instid0(SALU_CYCLE_1) | instskip(NEXT) | instid1(SALU_CYCLE_1)
	s_and_b32 s77, exec_lo, s79
	s_or_b32 s41, s77, s41
	s_and_not1_b32 s74, s74, exec_lo
	s_and_b32 s77, s75, exec_lo
	s_delay_alu instid0(SALU_CYCLE_1)
	s_or_b32 s74, s74, s77
	s_and_not1_b32 exec_lo, exec_lo, s41
	s_cbranch_execz .LBB8_2050
.LBB8_2046:                             ;   Parent Loop BB8_47 Depth=1
                                        ;     Parent Loop BB8_2012 Depth=2
                                        ; =>    This Inner Loop Header: Depth=3
	s_add_co_i32 s76, s76, 1
	s_delay_alu instid0(SALU_CYCLE_1) | instskip(SKIP_1) | instid1(SALU_CYCLE_1)
	s_cmp_lg_u32 s76, 0x2710
	s_cselect_b32 s77, -1, 0
	s_and_b32 vcc_lo, exec_lo, s77
	s_cbranch_vccz .LBB8_2048
; %bb.2047:                             ;   in Loop: Header=BB8_2046 Depth=3
	s_mov_b32 s79, -1
	s_or_b32 s75, s75, exec_lo
	s_and_saveexec_b32 s78, s77
	s_cbranch_execz .LBB8_2045
	s_branch .LBB8_2049
.LBB8_2048:                             ;   in Loop: Header=BB8_2046 Depth=3
	s_trap 2
	ds_load_b64 v[4:5], v0
	s_and_not1_b32 s77, s77, exec_lo
	s_mov_b32 s76, 0
	s_wait_loadcnt_dscnt 0x0
	flat_load_b32 v2, v[4:5] scope:SCOPE_SYS
	s_wait_loadcnt_dscnt 0x0
	global_inv scope:SCOPE_SYS
	v_cmp_eq_u32_e32 vcc_lo, 0, v2
	s_and_b32 s78, vcc_lo, exec_lo
	s_delay_alu instid0(SALU_CYCLE_1)
	s_or_b32 s77, s77, s78
	s_mov_b32 s79, -1
	s_or_b32 s75, s75, exec_lo
	s_wait_xcnt 0x0
	s_and_saveexec_b32 s78, s77
	s_cbranch_execz .LBB8_2045
.LBB8_2049:                             ;   in Loop: Header=BB8_2046 Depth=3
	s_sleep 1
	s_trap 2
	ds_load_b64 v[4:5], v0
	s_wait_dscnt 0x0
	s_and_not1_b32 s75, s75, exec_lo
	v_cmp_ge_u64_e32 vcc_lo, v[4:5], v[80:81]
	s_or_not1_b32 s79, vcc_lo, exec_lo
	s_branch .LBB8_2045
.LBB8_2050:                             ;   in Loop: Header=BB8_2012 Depth=2
	s_or_b32 exec_lo, exec_lo, s41
	s_and_saveexec_b32 s41, s74
	s_delay_alu instid0(SALU_CYCLE_1)
	s_xor_b32 s41, exec_lo, s41
	s_cbranch_execz .LBB8_2052
; %bb.2051:                             ;   in Loop: Header=BB8_2012 Depth=2
	ds_store_b32 v0, v111
	s_trap 2
.LBB8_2052:                             ;   in Loop: Header=BB8_2012 Depth=2
	s_or_b32 exec_lo, exec_lo, s40
	;;#ASMSTART
	s_wakeup
	;;#ASMEND
.LBB8_2053:                             ;   in Loop: Header=BB8_2012 Depth=2
	s_or_b32 exec_lo, exec_lo, s27
.LBB8_2054:                             ;   in Loop: Header=BB8_2012 Depth=2
	s_and_not1_saveexec_b32 s18, s18
	s_cbranch_execz .LBB8_2056
; %bb.2055:                             ;   in Loop: Header=BB8_2012 Depth=2
	global_wb scope:SCOPE_DEV
	s_wait_storecnt 0x0
	s_wait_loadcnt_dscnt 0x0
	global_inv scope:SCOPE_DEV
	s_barrier_signal -1
	s_barrier_wait -1
.LBB8_2056:                             ;   in Loop: Header=BB8_2012 Depth=2
	s_or_b32 exec_lo, exec_lo, s18
.LBB8_2057:                             ;   in Loop: Header=BB8_2012 Depth=2
	s_delay_alu instid0(SALU_CYCLE_1) | instskip(SKIP_2) | instid1(SALU_CYCLE_1)
	s_or_b32 exec_lo, exec_lo, s13
	v_and_b32_e32 v8, 16, v30
	s_and_saveexec_b32 s13, s10
	s_xor_b32 s18, exec_lo, s13
	s_cbranch_execz .LBB8_2061
; %bb.2058:                             ;   in Loop: Header=BB8_2012 Depth=2
	s_trap 2
	ds_load_b32 v2, v0
	v_cmp_lt_i32_e32 vcc_lo, 0, v72
	v_and_b32_e32 v8, 16, v30
	s_wait_dscnt 0x0
	v_readfirstlane_b32 s13, v2
	v_and_b32_e32 v2, 16, v30
	s_cmp_eq_u32 s13, 0
	s_delay_alu instid0(VALU_DEP_1) | instskip(SKIP_1) | instid1(SALU_CYCLE_1)
	v_cmp_ne_u32_e64 s13, 0, v2
	s_cselect_b32 s27, -1, 0
	s_and_b32 s27, vcc_lo, s27
	s_delay_alu instid0(SALU_CYCLE_1) | instskip(NEXT) | instid1(SALU_CYCLE_1)
	s_and_b32 s27, s13, s27
	s_and_saveexec_b32 s13, s27
	s_cbranch_execz .LBB8_2060
; %bb.2059:                             ;   in Loop: Header=BB8_2012 Depth=2
	v_mov_b32_e32 v8, 1
	global_wb scope:SCOPE_SYS
	s_wait_loadcnt 0x0
	s_wait_storecnt 0x0
	global_inv scope:SCOPE_SYS
.LBB8_2060:                             ;   in Loop: Header=BB8_2012 Depth=2
	s_or_b32 exec_lo, exec_lo, s13
.LBB8_2061:                             ;   in Loop: Header=BB8_2012 Depth=2
	s_and_not1_saveexec_b32 s13, s18
	s_cbranch_execz .LBB8_2080
; %bb.2062:                             ;   in Loop: Header=BB8_2012 Depth=2
	s_and_saveexec_b32 s18, s3
	s_delay_alu instid0(SALU_CYCLE_1)
	s_xor_b32 s18, exec_lo, s18
	s_cbranch_execz .LBB8_2077
; %bb.2063:                             ;   in Loop: Header=BB8_2012 Depth=2
	s_and_saveexec_b32 s27, s6
	s_cbranch_execz .LBB8_2076
; %bb.2064:                             ;   in Loop: Header=BB8_2012 Depth=2
	s_mov_b32 s41, exec_lo
	s_mov_b32 s40, exec_lo
	v_mbcnt_lo_u32_b32 v2, s41, 0
	;;#ASMSTART
	s_waitcnt lgkmcnt(0) vmcnt(0)
	;;#ASMEND
	s_delay_alu instid0(VALU_DEP_1)
	v_cmpx_eq_u32_e32 0, v2
	s_cbranch_execz .LBB8_2066
; %bb.2065:                             ;   in Loop: Header=BB8_2012 Depth=2
	s_bcnt1_i32_b32 s41, s41
	s_delay_alu instid0(SALU_CYCLE_1)
	v_mov_b32_e32 v2, s41
	s_wait_storecnt 0x0
	s_wait_loadcnt_dscnt 0x0
	ds_add_u64 v0, v[2:3]
	s_trap 2
.LBB8_2066:                             ;   in Loop: Header=BB8_2012 Depth=2
	s_or_b32 exec_lo, exec_lo, s40
	s_trap 2
	ds_load_b64 v[4:5], v0
	s_wait_dscnt 0x0
	v_add_nc_u64_e32 v[80:81], v[80:81], v[84:85]
	s_mov_b32 s40, exec_lo
	s_delay_alu instid0(VALU_DEP_1)
	v_cmpx_lt_u64_e64 v[4:5], v[80:81]
	s_cbranch_execz .LBB8_2075
; %bb.2067:                             ;   in Loop: Header=BB8_2012 Depth=2
	s_mov_b32 s41, 0
	s_mov_b32 s76, 0
                                        ; implicit-def: $sgpr74
                                        ; implicit-def: $sgpr75
	s_branch .LBB8_2069
.LBB8_2068:                             ;   in Loop: Header=BB8_2069 Depth=3
	s_or_b32 exec_lo, exec_lo, s78
	s_delay_alu instid0(SALU_CYCLE_1) | instskip(NEXT) | instid1(SALU_CYCLE_1)
	s_and_b32 s77, exec_lo, s79
	s_or_b32 s41, s77, s41
	s_and_not1_b32 s74, s74, exec_lo
	s_and_b32 s77, s75, exec_lo
	s_delay_alu instid0(SALU_CYCLE_1)
	s_or_b32 s74, s74, s77
	s_and_not1_b32 exec_lo, exec_lo, s41
	s_cbranch_execz .LBB8_2073
.LBB8_2069:                             ;   Parent Loop BB8_47 Depth=1
                                        ;     Parent Loop BB8_2012 Depth=2
                                        ; =>    This Inner Loop Header: Depth=3
	s_add_co_i32 s76, s76, 1
	s_delay_alu instid0(SALU_CYCLE_1) | instskip(SKIP_1) | instid1(SALU_CYCLE_1)
	s_cmp_lg_u32 s76, 0x2710
	s_cselect_b32 s77, -1, 0
	s_and_b32 vcc_lo, exec_lo, s77
	s_cbranch_vccz .LBB8_2071
; %bb.2070:                             ;   in Loop: Header=BB8_2069 Depth=3
	s_mov_b32 s79, -1
	s_or_b32 s75, s75, exec_lo
	s_and_saveexec_b32 s78, s77
	s_cbranch_execz .LBB8_2068
	s_branch .LBB8_2072
.LBB8_2071:                             ;   in Loop: Header=BB8_2069 Depth=3
	s_trap 2
	ds_load_b64 v[4:5], v0
	s_and_not1_b32 s77, s77, exec_lo
	s_mov_b32 s76, 0
	s_wait_storecnt 0x0
	s_wait_loadcnt_dscnt 0x0
	flat_load_b32 v2, v[4:5] scope:SCOPE_SYS
	s_wait_loadcnt_dscnt 0x0
	global_inv scope:SCOPE_SYS
	v_cmp_eq_u32_e32 vcc_lo, 0, v2
	s_and_b32 s78, vcc_lo, exec_lo
	s_delay_alu instid0(SALU_CYCLE_1)
	s_or_b32 s77, s77, s78
	s_mov_b32 s79, -1
	s_or_b32 s75, s75, exec_lo
	s_wait_xcnt 0x0
	s_and_saveexec_b32 s78, s77
	s_cbranch_execz .LBB8_2068
.LBB8_2072:                             ;   in Loop: Header=BB8_2069 Depth=3
	s_sleep 1
	s_trap 2
	ds_load_b64 v[4:5], v0
	s_wait_dscnt 0x0
	s_and_not1_b32 s75, s75, exec_lo
	v_cmp_ge_u64_e32 vcc_lo, v[4:5], v[80:81]
	s_or_not1_b32 s79, vcc_lo, exec_lo
	s_branch .LBB8_2068
.LBB8_2073:                             ;   in Loop: Header=BB8_2012 Depth=2
	s_or_b32 exec_lo, exec_lo, s41
	s_and_saveexec_b32 s41, s74
	s_delay_alu instid0(SALU_CYCLE_1)
	s_xor_b32 s41, exec_lo, s41
	s_cbranch_execz .LBB8_2075
; %bb.2074:                             ;   in Loop: Header=BB8_2012 Depth=2
	ds_store_b32 v0, v111
	s_trap 2
.LBB8_2075:                             ;   in Loop: Header=BB8_2012 Depth=2
	s_or_b32 exec_lo, exec_lo, s40
	;;#ASMSTART
	s_wakeup
	;;#ASMEND
.LBB8_2076:                             ;   in Loop: Header=BB8_2012 Depth=2
	s_or_b32 exec_lo, exec_lo, s27
.LBB8_2077:                             ;   in Loop: Header=BB8_2012 Depth=2
	s_and_not1_saveexec_b32 s18, s18
	s_cbranch_execz .LBB8_2079
; %bb.2078:                             ;   in Loop: Header=BB8_2012 Depth=2
	;;#ASMSTART
	s_waitcnt lgkmcnt(0) vmcnt(0)
	;;#ASMEND
	s_barrier_signal -1
	s_barrier_wait -1
.LBB8_2079:                             ;   in Loop: Header=BB8_2012 Depth=2
	s_or_b32 exec_lo, exec_lo, s18
.LBB8_2080:                             ;   in Loop: Header=BB8_2012 Depth=2
	s_delay_alu instid0(SALU_CYCLE_1) | instskip(SKIP_2) | instid1(SALU_CYCLE_1)
	s_or_b32 exec_lo, exec_lo, s13
	v_cmp_ne_u32_e32 vcc_lo, 0, v8
	s_xor_b32 s13, s4, -1
	s_and_b32 s18, vcc_lo, s13
	s_delay_alu instid0(SALU_CYCLE_1)
	s_and_saveexec_b32 s13, s18
	s_cbranch_execz .LBB8_2082
; %bb.2081:                             ;   in Loop: Header=BB8_2012 Depth=2
	global_wb scope:SCOPE_SYS
	s_wait_storecnt 0x0
	s_wait_loadcnt_dscnt 0x0
	flat_store_b32 v[70:71], v111 scope:SCOPE_SYS
.LBB8_2082:                             ;   in Loop: Header=BB8_2012 Depth=2
	s_wait_xcnt 0x0
	s_or_b32 exec_lo, exec_lo, s13
	v_and_b32_e32 v2, 48, v30
	s_mov_b32 s13, exec_lo
	s_delay_alu instid0(VALU_DEP_1)
	v_cmpx_ne_u32_e32 0, v2
	s_cbranch_execz .LBB8_2011
; %bb.2083:                             ;   in Loop: Header=BB8_2012 Depth=2
	v_add_nc_u64_e32 v[58:59], 2, v[58:59]
	global_wb scope:SCOPE_SYS
	s_wait_storecnt 0x0
	s_wait_loadcnt_dscnt 0x0
	flat_store_b64 v[64:65], v[58:59] scope:SCOPE_SYS
	s_branch .LBB8_2011
.LBB8_2084:                             ;   in Loop: Header=BB8_47 Depth=1
	s_or_b32 exec_lo, exec_lo, s15
.LBB8_2085:                             ;   in Loop: Header=BB8_47 Depth=1
	s_delay_alu instid0(SALU_CYCLE_1) | instskip(NEXT) | instid1(SALU_CYCLE_1)
	s_or_b32 exec_lo, exec_lo, s14
	s_and_not1_b32 vcc_lo, exec_lo, s46
	s_cbranch_vccnz .LBB8_2408
; %bb.2086:                             ;   in Loop: Header=BB8_47 Depth=1
	s_mov_b32 s18, 1
.LBB8_2087:                             ;   Parent Loop BB8_47 Depth=1
                                        ; =>  This Loop Header: Depth=2
                                        ;       Child Loop BB8_2090 Depth 3
                                        ;         Child Loop BB8_2098 Depth 4
                                        ;         Child Loop BB8_2126 Depth 4
	;; [unrolled: 1-line block ×5, first 2 shown]
                                        ;           Child Loop BB8_2188 Depth 5
                                        ;           Child Loop BB8_2193 Depth 5
                                        ;         Child Loop BB8_2199 Depth 4
                                        ;         Child Loop BB8_2207 Depth 4
	;; [unrolled: 1-line block ×3, first 2 shown]
                                        ;           Child Loop BB8_2219 Depth 5
                                        ;           Child Loop BB8_2224 Depth 5
                                        ;         Child Loop BB8_2228 Depth 4
                                        ;         Child Loop BB8_2240 Depth 4
	;; [unrolled: 1-line block ×7, first 2 shown]
                                        ;       Child Loop BB8_2333 Depth 3
                                        ;         Child Loop BB8_2339 Depth 4
                                        ;         Child Loop BB8_2367 Depth 4
	;; [unrolled: 1-line block ×3, first 2 shown]
	s_delay_alu instid0(SALU_CYCLE_1) | instskip(SKIP_4) | instid1(SALU_CYCLE_1)
	s_sub_co_i32 s13, s44, s18
	s_mov_b32 s74, 0
	s_cmp_ge_i32 s13, s16
	v_mov_b32_e32 v74, 0
	s_cselect_b32 s14, s16, 0
	s_sub_co_i32 s14, s13, s14
	s_delay_alu instid0(SALU_CYCLE_1) | instskip(NEXT) | instid1(SALU_CYCLE_1)
	s_ashr_i32 s15, s14, 31
	v_mul_u64_e32 v[8:9], s[14:15], v[56:57]
	s_delay_alu instid0(VALU_DEP_1) | instskip(NEXT) | instid1(VALU_DEP_1)
	v_sub_nc_u64_e32 v[4:5], v[60:61], v[8:9]
	v_min_i64 v[4:5], v[56:57], v[4:5]
	s_delay_alu instid0(VALU_DEP_1) | instskip(SKIP_1) | instid1(VALU_DEP_2)
	v_max_i32_e32 v104, 0, v4
	v_cmp_lt_i32_e32 vcc_lo, 0, v4
	v_add_nc_u32_e32 v2, 31, v104
	s_and_b32 s13, s63, vcc_lo
	s_delay_alu instid0(VALU_DEP_1) | instskip(NEXT) | instid1(VALU_DEP_1)
	v_lshrrev_b32_e32 v2, 1, v2
	v_and_b32_e32 v5, 0x3ffffff0, v2
	s_delay_alu instid0(VALU_DEP_1)
	v_dual_mov_b32 v2, 0 :: v_dual_max_i32 v72, s45, v5
	s_and_saveexec_b32 s27, s13
	s_cbranch_execz .LBB8_2330
; %bb.2088:                             ;   in Loop: Header=BB8_2087 Depth=2
	v_add_nc_u64_e32 v[4:5], v[8:9], v[62:63]
	v_mov_b32_e32 v74, 0
	s_mov_b32 s76, 1
	s_mov_b32 s75, -1
	s_delay_alu instid0(VALU_DEP_2)
	v_lshlrev_b64_e32 v[76:77], 1, v[4:5]
	s_branch .LBB8_2090
.LBB8_2089:                             ;   in Loop: Header=BB8_2090 Depth=3
	s_wait_xcnt 0x0
	s_or_b32 exec_lo, exec_lo, s13
	v_dual_add_nc_u32 v74, v72, v74 :: v_dual_mov_b32 v2, s76
	s_xor_b32 s13, s75, -1
	s_mov_b32 s75, 0
	s_mov_b32 s76, 2
	s_delay_alu instid0(VALU_DEP_1) | instskip(SKIP_1) | instid1(SALU_CYCLE_1)
	v_cmp_ge_i32_e32 vcc_lo, v74, v104
	s_or_b32 s13, s13, vcc_lo
	s_and_b32 s13, exec_lo, s13
	s_delay_alu instid0(SALU_CYCLE_1) | instskip(NEXT) | instid1(SALU_CYCLE_1)
	s_or_b32 s74, s13, s74
	s_and_not1_b32 exec_lo, exec_lo, s74
	s_cbranch_execz .LBB8_2329
.LBB8_2090:                             ;   Parent Loop BB8_47 Depth=1
                                        ;     Parent Loop BB8_2087 Depth=2
                                        ; =>    This Loop Header: Depth=3
                                        ;         Child Loop BB8_2098 Depth 4
                                        ;         Child Loop BB8_2126 Depth 4
	;; [unrolled: 1-line block ×5, first 2 shown]
                                        ;           Child Loop BB8_2188 Depth 5
                                        ;           Child Loop BB8_2193 Depth 5
                                        ;         Child Loop BB8_2199 Depth 4
                                        ;         Child Loop BB8_2207 Depth 4
                                        ;         Child Loop BB8_2217 Depth 4
                                        ;           Child Loop BB8_2219 Depth 5
                                        ;           Child Loop BB8_2224 Depth 5
                                        ;         Child Loop BB8_2228 Depth 4
                                        ;         Child Loop BB8_2240 Depth 4
                                        ;         Child Loop BB8_2254 Depth 4
                                        ;         Child Loop BB8_2270 Depth 4
                                        ;         Child Loop BB8_2281 Depth 4
                                        ;         Child Loop BB8_2295 Depth 4
                                        ;         Child Loop BB8_2314 Depth 4
	s_and_saveexec_b32 s13, s0
	s_cbranch_execz .LBB8_2092
; %bb.2091:                             ;   in Loop: Header=BB8_2090 Depth=3
	s_trap 2
	ds_load_b128 v[8:11], v0
	s_wait_dscnt 0x0
	v_cmp_ne_u64_e32 vcc_lo, 0, v[10:11]
	v_ashrrev_i32_e32 v75, 31, v74
	v_add_nc_u64_e32 v[12:13], v[10:11], v[76:77]
	v_add_nc_u64_e32 v[8:9], v[8:9], v[76:77]
	s_delay_alu instid0(VALU_DEP_3) | instskip(NEXT) | instid1(VALU_DEP_1)
	v_lshlrev_b64_e32 v[4:5], 1, v[74:75]
	v_add_nc_u64_e32 v[12:13], v[12:13], v[4:5]
	s_delay_alu instid0(VALU_DEP_3) | instskip(NEXT) | instid1(VALU_DEP_2)
	v_add_nc_u64_e32 v[4:5], v[8:9], v[4:5]
	v_dual_cndmask_b32 v9, 0, v13 :: v_dual_cndmask_b32 v8, 0, v12
	ds_store_b64 v0, v[4:5]
	ds_store_b64 v0, v[8:9]
.LBB8_2092:                             ;   in Loop: Header=BB8_2090 Depth=3
	s_or_b32 exec_lo, exec_lo, s13
	v_sub_nc_u32_e32 v2, v104, v74
	v_and_b32_e32 v4, 12, v30
	s_mov_b32 s14, exec_lo
	s_delay_alu instid0(VALU_DEP_2) | instskip(NEXT) | instid1(VALU_DEP_2)
	v_min_i32_e32 v72, v72, v2
	v_cmpx_ne_u32_e32 0, v4
	s_cbranch_execz .LBB8_2118
; %bb.2093:                             ;   in Loop: Header=BB8_2090 Depth=3
	v_and_b32_e32 v2, 8, v30
	v_add_nc_u64_e32 v[8:9], 2, v[58:59]
	s_mov_b32 s15, exec_lo
	s_wait_loadcnt_dscnt 0x1
	s_delay_alu instid0(VALU_DEP_2) | instskip(NEXT) | instid1(VALU_DEP_1)
	v_add_nc_u64_e32 v[4:5], v[82:83], v[2:3]
	v_cmpx_lt_u64_e64 v[4:5], v[8:9]
	s_cbranch_execz .LBB8_2105
; %bb.2094:                             ;   in Loop: Header=BB8_2090 Depth=3
	v_and_b32_e32 v4, 64, v30
	s_mov_b32 s40, 0
	s_mov_b32 s79, 0
                                        ; implicit-def: $sgpr41
                                        ; implicit-def: $sgpr77
                                        ; implicit-def: $sgpr78
	s_delay_alu instid0(VALU_DEP_1)
	v_cmp_eq_u32_e32 vcc_lo, 0, v4
	s_branch .LBB8_2098
.LBB8_2095:                             ;   in Loop: Header=BB8_2098 Depth=4
	s_wait_loadcnt_dscnt 0x0
	v_add_nc_u64_e32 v[4:5], v[82:83], v[2:3]
	s_or_b32 s90, s90, exec_lo
	s_delay_alu instid0(VALU_DEP_1)
	v_cmp_ge_u64_e64 s13, v[4:5], v[8:9]
	s_or_not1_b32 s89, s13, exec_lo
.LBB8_2096:                             ;   in Loop: Header=BB8_2098 Depth=4
	s_or_b32 exec_lo, exec_lo, s92
	s_delay_alu instid0(SALU_CYCLE_1)
	s_and_not1_b32 s13, s78, exec_lo
	s_and_b32 s78, s90, exec_lo
	s_and_not1_b32 s77, s77, exec_lo
	s_and_b32 s89, s89, exec_lo
	s_or_b32 s78, s13, s78
	s_or_b32 s77, s77, s89
.LBB8_2097:                             ;   in Loop: Header=BB8_2098 Depth=4
	s_or_b32 exec_lo, exec_lo, s88
	s_delay_alu instid0(SALU_CYCLE_1) | instskip(NEXT) | instid1(SALU_CYCLE_1)
	s_and_b32 s13, exec_lo, s77
	s_or_b32 s40, s13, s40
	s_and_not1_b32 s13, s41, exec_lo
	s_and_b32 s41, s78, exec_lo
	s_delay_alu instid0(SALU_CYCLE_1)
	s_or_b32 s41, s13, s41
	s_and_not1_b32 exec_lo, exec_lo, s40
	s_cbranch_execz .LBB8_2102
.LBB8_2098:                             ;   Parent Loop BB8_47 Depth=1
                                        ;     Parent Loop BB8_2087 Depth=2
                                        ;       Parent Loop BB8_2090 Depth=3
                                        ; =>      This Inner Loop Header: Depth=4
	s_sleep 1
	s_wait_loadcnt_dscnt 0x0
	flat_load_b64 v[82:83], v[64:65] scope:SCOPE_SYS
	s_or_b32 s78, s78, exec_lo
	s_or_b32 s77, s77, exec_lo
                                        ; implicit-def: $vgpr10
	s_wait_xcnt 0x0
	s_and_saveexec_b32 s88, vcc_lo
	s_cbranch_execz .LBB8_2097
; %bb.2099:                             ;   in Loop: Header=BB8_2098 Depth=4
	s_cmp_lt_i32 s79, 0x270f
	s_mov_b32 s89, -1
	s_cselect_b32 s91, -1, 0
	s_cmp_gt_i32 s79, 0x270e
	s_cbranch_scc0 .LBB8_2101
; %bb.2100:                             ;   in Loop: Header=BB8_2098 Depth=4
	s_trap 2
	ds_load_b64 v[4:5], v0
	s_and_not1_b32 s79, s91, exec_lo
	s_mov_b32 s90, 0
	s_wait_storecnt 0x0
	s_wait_loadcnt_dscnt 0x0
	flat_load_b32 v10, v[4:5] scope:SCOPE_SYS
	s_wait_loadcnt_dscnt 0x0
	global_inv scope:SCOPE_SYS
	v_cmp_eq_u32_e64 s13, 0, v10
	s_and_b32 s13, s13, exec_lo
	s_delay_alu instid0(SALU_CYCLE_1)
	s_or_b32 s91, s79, s13
	s_mov_b32 s79, 0
	s_wait_xcnt 0x0
	s_and_saveexec_b32 s92, s91
	s_cbranch_execz .LBB8_2096
	s_branch .LBB8_2095
.LBB8_2101:                             ;   in Loop: Header=BB8_2098 Depth=4
	s_add_co_i32 s79, s79, 1
	s_mov_b32 s90, -1
                                        ; implicit-def: $vgpr10
	s_and_saveexec_b32 s92, s91
	s_cbranch_execz .LBB8_2096
	s_branch .LBB8_2095
.LBB8_2102:                             ;   in Loop: Header=BB8_2090 Depth=3
	s_or_b32 exec_lo, exec_lo, s40
	s_xor_b32 s13, s41, -1
	s_delay_alu instid0(SALU_CYCLE_1) | instskip(NEXT) | instid1(SALU_CYCLE_1)
	s_and_saveexec_b32 s40, s13
	s_xor_b32 s13, exec_lo, s40
	s_cbranch_execz .LBB8_2104
; %bb.2103:                             ;   in Loop: Header=BB8_2090 Depth=3
	v_or_b32_e32 v30, 64, v30
	s_wait_storecnt 0x0
	s_wait_loadcnt_dscnt 0x0
	ds_store_b32 v0, v10
	s_trap 2
.LBB8_2104:                             ;   in Loop: Header=BB8_2090 Depth=3
	s_or_b32 exec_lo, exec_lo, s13
.LBB8_2105:                             ;   in Loop: Header=BB8_2090 Depth=3
	s_delay_alu instid0(SALU_CYCLE_1) | instskip(SKIP_3) | instid1(VALU_DEP_1)
	s_or_b32 exec_lo, exec_lo, s15
	v_and_b32_e32 v4, 0x108, v30
	s_mov_b32 s13, exec_lo
	;;#ASMSTART
	s_wakeup
	;;#ASMEND
                                        ; implicit-def: $vgpr10_vgpr11
	v_cmpx_ne_u32_e32 0x108, v4
	s_xor_b32 s13, exec_lo, s13
; %bb.2106:                             ;   in Loop: Header=BB8_2090 Depth=3
	v_dual_mov_b32 v11, v3 :: v_dual_bitop2_b32 v10, 7, v58 bitop3:0x40
                                        ; implicit-def: $vgpr58_vgpr59
; %bb.2107:                             ;   in Loop: Header=BB8_2090 Depth=3
	s_and_not1_saveexec_b32 s13, s13
	s_cbranch_execz .LBB8_2109
; %bb.2108:                             ;   in Loop: Header=BB8_2090 Depth=3
	v_dual_ashrrev_i32 v73, 31, v72 :: v_dual_bitop2_b32 v10, 7, v58 bitop3:0x40
	v_mov_b32_e32 v11, v3
	s_delay_alu instid0(VALU_DEP_2) | instskip(NEXT) | instid1(VALU_DEP_3)
	v_mad_nc_u64_u32 v[4:5], v10, 24, v[6:7]
	v_lshlrev_b64_e32 v[12:13], 1, v[72:73]
	flat_store_b64 v[4:5], v[12:13] offset:8
.LBB8_2109:                             ;   in Loop: Header=BB8_2090 Depth=3
	s_wait_xcnt 0x0
	s_or_b32 exec_lo, exec_lo, s13
	v_and_b32_e32 v4, 0x100, v30
	s_mov_b32 s13, -1
	s_mov_b32 s15, exec_lo
                                        ; implicit-def: $vgpr12_vgpr13
	s_delay_alu instid0(VALU_DEP_1)
	v_cmpx_ne_u32_e32 0, v4
	s_cbranch_execz .LBB8_2113
; %bb.2110:                             ;   in Loop: Header=BB8_2090 Depth=3
	v_mad_nc_u64_u32 v[14:15], v10, 24, v[6:7]
	s_mov_b32 s40, exec_lo
                                        ; implicit-def: $vgpr12_vgpr13
	s_delay_alu instid0(VALU_DEP_1)
	v_mad_u32 v15, v11, 24, v15
	flat_load_b32 v4, v[14:15]
	s_wait_loadcnt_dscnt 0x0
	v_cmp_ne_u32_e32 vcc_lo, 1, v4
	s_wait_xcnt 0x0
	v_cmpx_eq_u32_e32 1, v4
	s_cbranch_execz .LBB8_2112
; %bb.2111:                             ;   in Loop: Header=BB8_2090 Depth=3
	flat_load_b32 v4, v[14:15] offset:4 scope:SCOPE_SYS
	s_wait_loadcnt_dscnt 0x0
	v_ashrrev_i32_e32 v5, 31, v4
	s_delay_alu instid0(VALU_DEP_1)
	v_lshrrev_b64 v[12:13], 1, v[4:5]
.LBB8_2112:                             ;   in Loop: Header=BB8_2090 Depth=3
	s_wait_xcnt 0x0
	s_or_b32 exec_lo, exec_lo, s40
	s_delay_alu instid0(SALU_CYCLE_1)
	s_or_not1_b32 s13, vcc_lo, exec_lo
.LBB8_2113:                             ;   in Loop: Header=BB8_2090 Depth=3
	s_or_b32 exec_lo, exec_lo, s15
	s_and_saveexec_b32 s15, s13
; %bb.2114:                             ;   in Loop: Header=BB8_2090 Depth=3
	v_mul_u64_e32 v[12:13], v[10:11], v[66:67]
; %bb.2115:                             ;   in Loop: Header=BB8_2090 Depth=3
	s_or_b32 exec_lo, exec_lo, s15
	v_cmp_eq_u32_e32 vcc_lo, 0, v2
	v_and_b32_e32 v10, 0x2000, v30
	s_delay_alu instid0(VALU_DEP_3) | instskip(SKIP_2) | instid1(VALU_DEP_1)
	v_lshl_add_u64 v[4:5], v[12:13], 1, v[68:69]
	s_mov_b32 s13, exec_lo
	v_cndmask_b32_e32 v2, 0xd0, v121, vcc_lo
	v_add_nc_u32_e32 v2, v0, v2
	ds_store_b64 v2, v[4:5] offset:584
	v_cmpx_ne_u32_e32 0, v10
	s_cbranch_execz .LBB8_2117
; %bb.2116:                             ;   in Loop: Header=BB8_2090 Depth=3
	ds_load_b64 v[4:5], v0 offset:872
	s_wait_dscnt 0x0
	v_add_nc_u64_e32 v[4:5], 1, v[4:5]
	ds_store_b64 v0, v[4:5] offset:872
.LBB8_2117:                             ;   in Loop: Header=BB8_2090 Depth=3
	s_or_b32 exec_lo, exec_lo, s13
	v_mov_b64_e32 v[58:59], v[8:9]
.LBB8_2118:                             ;   in Loop: Header=BB8_2090 Depth=3
	s_or_b32 exec_lo, exec_lo, s14
	s_and_saveexec_b32 s13, s2
	s_cbranch_execz .LBB8_2137
; %bb.2119:                             ;   in Loop: Header=BB8_2090 Depth=3
	s_and_saveexec_b32 s14, s3
	s_delay_alu instid0(SALU_CYCLE_1)
	s_xor_b32 s14, exec_lo, s14
	s_cbranch_execz .LBB8_2134
; %bb.2120:                             ;   in Loop: Header=BB8_2090 Depth=3
	s_and_saveexec_b32 s15, s6
	s_cbranch_execz .LBB8_2133
; %bb.2121:                             ;   in Loop: Header=BB8_2090 Depth=3
	s_mov_b32 s41, exec_lo
	s_mov_b32 s40, exec_lo
	v_mbcnt_lo_u32_b32 v2, s41, 0
	global_wb scope:SCOPE_DEV
	s_wait_storecnt 0x0
	s_wait_loadcnt_dscnt 0x0
	global_inv scope:SCOPE_DEV
	v_cmpx_eq_u32_e32 0, v2
	s_cbranch_execz .LBB8_2123
; %bb.2122:                             ;   in Loop: Header=BB8_2090 Depth=3
	s_bcnt1_i32_b32 s41, s41
	s_delay_alu instid0(SALU_CYCLE_1)
	v_mov_b32_e32 v2, s41
	s_wait_loadcnt 0x0
	ds_add_u64 v0, v[2:3]
	s_trap 2
.LBB8_2123:                             ;   in Loop: Header=BB8_2090 Depth=3
	s_or_b32 exec_lo, exec_lo, s40
	s_trap 2
	ds_load_b64 v[4:5], v0
	s_wait_dscnt 0x0
	v_add_nc_u64_e32 v[80:81], v[80:81], v[84:85]
	s_mov_b32 s40, exec_lo
	s_delay_alu instid0(VALU_DEP_1)
	v_cmpx_lt_u64_e64 v[4:5], v[80:81]
	s_cbranch_execz .LBB8_2132
; %bb.2124:                             ;   in Loop: Header=BB8_2090 Depth=3
	s_mov_b32 s41, 0
	s_mov_b32 s79, 0
                                        ; implicit-def: $sgpr77
                                        ; implicit-def: $sgpr78
	s_branch .LBB8_2126
.LBB8_2125:                             ;   in Loop: Header=BB8_2126 Depth=4
	s_or_b32 exec_lo, exec_lo, s89
	s_delay_alu instid0(SALU_CYCLE_1) | instskip(NEXT) | instid1(SALU_CYCLE_1)
	s_and_b32 s88, exec_lo, s90
	s_or_b32 s41, s88, s41
	s_and_not1_b32 s77, s77, exec_lo
	s_and_b32 s88, s78, exec_lo
	s_delay_alu instid0(SALU_CYCLE_1)
	s_or_b32 s77, s77, s88
	s_and_not1_b32 exec_lo, exec_lo, s41
	s_cbranch_execz .LBB8_2130
.LBB8_2126:                             ;   Parent Loop BB8_47 Depth=1
                                        ;     Parent Loop BB8_2087 Depth=2
                                        ;       Parent Loop BB8_2090 Depth=3
                                        ; =>      This Inner Loop Header: Depth=4
	s_add_co_i32 s79, s79, 1
	s_delay_alu instid0(SALU_CYCLE_1) | instskip(SKIP_1) | instid1(SALU_CYCLE_1)
	s_cmp_lg_u32 s79, 0x2710
	s_cselect_b32 s88, -1, 0
	s_and_b32 vcc_lo, exec_lo, s88
	s_cbranch_vccz .LBB8_2128
; %bb.2127:                             ;   in Loop: Header=BB8_2126 Depth=4
	s_mov_b32 s90, -1
	s_or_b32 s78, s78, exec_lo
	s_and_saveexec_b32 s89, s88
	s_cbranch_execz .LBB8_2125
	s_branch .LBB8_2129
.LBB8_2128:                             ;   in Loop: Header=BB8_2126 Depth=4
	s_trap 2
	ds_load_b64 v[4:5], v0
	s_and_not1_b32 s88, s88, exec_lo
	s_mov_b32 s79, 0
	s_wait_loadcnt_dscnt 0x0
	flat_load_b32 v2, v[4:5] scope:SCOPE_SYS
	s_wait_loadcnt_dscnt 0x0
	global_inv scope:SCOPE_SYS
	v_cmp_eq_u32_e32 vcc_lo, 0, v2
	s_and_b32 s89, vcc_lo, exec_lo
	s_delay_alu instid0(SALU_CYCLE_1)
	s_or_b32 s88, s88, s89
	s_mov_b32 s90, -1
	s_or_b32 s78, s78, exec_lo
	s_wait_xcnt 0x0
	s_and_saveexec_b32 s89, s88
	s_cbranch_execz .LBB8_2125
.LBB8_2129:                             ;   in Loop: Header=BB8_2126 Depth=4
	s_sleep 1
	s_trap 2
	ds_load_b64 v[4:5], v0
	s_wait_dscnt 0x0
	s_and_not1_b32 s78, s78, exec_lo
	v_cmp_ge_u64_e32 vcc_lo, v[4:5], v[80:81]
	s_or_not1_b32 s90, vcc_lo, exec_lo
	s_branch .LBB8_2125
.LBB8_2130:                             ;   in Loop: Header=BB8_2090 Depth=3
	s_or_b32 exec_lo, exec_lo, s41
	s_and_saveexec_b32 s41, s77
	s_delay_alu instid0(SALU_CYCLE_1)
	s_xor_b32 s41, exec_lo, s41
	s_cbranch_execz .LBB8_2132
; %bb.2131:                             ;   in Loop: Header=BB8_2090 Depth=3
	ds_store_b32 v0, v111
	s_trap 2
.LBB8_2132:                             ;   in Loop: Header=BB8_2090 Depth=3
	s_or_b32 exec_lo, exec_lo, s40
	;;#ASMSTART
	s_wakeup
	;;#ASMEND
.LBB8_2133:                             ;   in Loop: Header=BB8_2090 Depth=3
	s_or_b32 exec_lo, exec_lo, s15
.LBB8_2134:                             ;   in Loop: Header=BB8_2090 Depth=3
	s_and_not1_saveexec_b32 s14, s14
	s_cbranch_execz .LBB8_2136
; %bb.2135:                             ;   in Loop: Header=BB8_2090 Depth=3
	global_wb scope:SCOPE_DEV
	s_wait_storecnt 0x0
	s_wait_loadcnt_dscnt 0x0
	global_inv scope:SCOPE_DEV
	s_barrier_signal -1
	s_barrier_wait -1
.LBB8_2136:                             ;   in Loop: Header=BB8_2090 Depth=3
	s_or_b32 exec_lo, exec_lo, s14
.LBB8_2137:                             ;   in Loop: Header=BB8_2090 Depth=3
	s_delay_alu instid0(SALU_CYCLE_1) | instskip(SKIP_4) | instid1(VALU_DEP_1)
	s_or_b32 exec_lo, exec_lo, s13
	s_trap 2
	ds_load_b32 v8, v0
	v_and_b32_e32 v2, 0x4000, v30
	s_xor_b32 s13, s1, -1
	v_cmp_ne_u32_e32 vcc_lo, 0, v2
	s_and_b32 s14, s13, vcc_lo
	s_delay_alu instid0(SALU_CYCLE_1)
	s_and_saveexec_b32 s13, s14
	s_cbranch_execz .LBB8_2156
; %bb.2138:                             ;   in Loop: Header=BB8_2090 Depth=3
	s_and_saveexec_b32 s14, s3
	s_delay_alu instid0(SALU_CYCLE_1)
	s_xor_b32 s14, exec_lo, s14
	s_cbranch_execz .LBB8_2153
; %bb.2139:                             ;   in Loop: Header=BB8_2090 Depth=3
	s_and_saveexec_b32 s15, s6
	s_cbranch_execz .LBB8_2152
; %bb.2140:                             ;   in Loop: Header=BB8_2090 Depth=3
	s_mov_b32 s41, exec_lo
	s_mov_b32 s40, exec_lo
	v_mbcnt_lo_u32_b32 v2, s41, 0
	global_wb scope:SCOPE_DEV
	s_wait_storecnt 0x0
	s_wait_loadcnt_dscnt 0x0
	global_inv scope:SCOPE_DEV
	v_cmpx_eq_u32_e32 0, v2
	s_cbranch_execz .LBB8_2142
; %bb.2141:                             ;   in Loop: Header=BB8_2090 Depth=3
	s_bcnt1_i32_b32 s41, s41
	s_delay_alu instid0(SALU_CYCLE_1)
	v_mov_b32_e32 v2, s41
	s_wait_loadcnt 0x0
	ds_add_u64 v0, v[2:3]
	s_trap 2
.LBB8_2142:                             ;   in Loop: Header=BB8_2090 Depth=3
	s_or_b32 exec_lo, exec_lo, s40
	s_trap 2
	ds_load_b64 v[4:5], v0
	s_wait_dscnt 0x0
	v_add_nc_u64_e32 v[80:81], v[80:81], v[84:85]
	s_mov_b32 s40, exec_lo
	s_delay_alu instid0(VALU_DEP_1)
	v_cmpx_lt_u64_e64 v[4:5], v[80:81]
	s_cbranch_execz .LBB8_2151
; %bb.2143:                             ;   in Loop: Header=BB8_2090 Depth=3
	s_mov_b32 s41, 0
	s_mov_b32 s79, 0
                                        ; implicit-def: $sgpr77
                                        ; implicit-def: $sgpr78
	s_branch .LBB8_2145
.LBB8_2144:                             ;   in Loop: Header=BB8_2145 Depth=4
	s_or_b32 exec_lo, exec_lo, s89
	s_delay_alu instid0(SALU_CYCLE_1) | instskip(NEXT) | instid1(SALU_CYCLE_1)
	s_and_b32 s88, exec_lo, s90
	s_or_b32 s41, s88, s41
	s_and_not1_b32 s77, s77, exec_lo
	s_and_b32 s88, s78, exec_lo
	s_delay_alu instid0(SALU_CYCLE_1)
	s_or_b32 s77, s77, s88
	s_and_not1_b32 exec_lo, exec_lo, s41
	s_cbranch_execz .LBB8_2149
.LBB8_2145:                             ;   Parent Loop BB8_47 Depth=1
                                        ;     Parent Loop BB8_2087 Depth=2
                                        ;       Parent Loop BB8_2090 Depth=3
                                        ; =>      This Inner Loop Header: Depth=4
	s_add_co_i32 s79, s79, 1
	s_delay_alu instid0(SALU_CYCLE_1) | instskip(SKIP_1) | instid1(SALU_CYCLE_1)
	s_cmp_lg_u32 s79, 0x2710
	s_cselect_b32 s88, -1, 0
	s_and_b32 vcc_lo, exec_lo, s88
	s_cbranch_vccz .LBB8_2147
; %bb.2146:                             ;   in Loop: Header=BB8_2145 Depth=4
	s_mov_b32 s90, -1
	s_or_b32 s78, s78, exec_lo
	s_and_saveexec_b32 s89, s88
	s_cbranch_execz .LBB8_2144
	s_branch .LBB8_2148
.LBB8_2147:                             ;   in Loop: Header=BB8_2145 Depth=4
	s_trap 2
	ds_load_b64 v[4:5], v0
	s_and_not1_b32 s88, s88, exec_lo
	s_mov_b32 s79, 0
	s_wait_loadcnt_dscnt 0x0
	flat_load_b32 v2, v[4:5] scope:SCOPE_SYS
	s_wait_loadcnt_dscnt 0x0
	global_inv scope:SCOPE_SYS
	v_cmp_eq_u32_e32 vcc_lo, 0, v2
	s_and_b32 s89, vcc_lo, exec_lo
	s_delay_alu instid0(SALU_CYCLE_1)
	s_or_b32 s88, s88, s89
	s_mov_b32 s90, -1
	s_or_b32 s78, s78, exec_lo
	s_wait_xcnt 0x0
	s_and_saveexec_b32 s89, s88
	s_cbranch_execz .LBB8_2144
.LBB8_2148:                             ;   in Loop: Header=BB8_2145 Depth=4
	s_sleep 1
	s_trap 2
	ds_load_b64 v[4:5], v0
	s_wait_dscnt 0x0
	s_and_not1_b32 s78, s78, exec_lo
	v_cmp_ge_u64_e32 vcc_lo, v[4:5], v[80:81]
	s_or_not1_b32 s90, vcc_lo, exec_lo
	s_branch .LBB8_2144
.LBB8_2149:                             ;   in Loop: Header=BB8_2090 Depth=3
	s_or_b32 exec_lo, exec_lo, s41
	s_and_saveexec_b32 s41, s77
	s_delay_alu instid0(SALU_CYCLE_1)
	s_xor_b32 s41, exec_lo, s41
	s_cbranch_execz .LBB8_2151
; %bb.2150:                             ;   in Loop: Header=BB8_2090 Depth=3
	ds_store_b32 v0, v111
	s_trap 2
.LBB8_2151:                             ;   in Loop: Header=BB8_2090 Depth=3
	s_or_b32 exec_lo, exec_lo, s40
	;;#ASMSTART
	s_wakeup
	;;#ASMEND
.LBB8_2152:                             ;   in Loop: Header=BB8_2090 Depth=3
	s_or_b32 exec_lo, exec_lo, s15
.LBB8_2153:                             ;   in Loop: Header=BB8_2090 Depth=3
	s_and_not1_saveexec_b32 s14, s14
	s_cbranch_execz .LBB8_2155
; %bb.2154:                             ;   in Loop: Header=BB8_2090 Depth=3
	global_wb scope:SCOPE_DEV
	s_wait_storecnt 0x0
	s_wait_loadcnt_dscnt 0x0
	global_inv scope:SCOPE_DEV
	s_barrier_signal -1
	s_barrier_wait -1
.LBB8_2155:                             ;   in Loop: Header=BB8_2090 Depth=3
	s_or_b32 exec_lo, exec_lo, s14
.LBB8_2156:                             ;   in Loop: Header=BB8_2090 Depth=3
	s_delay_alu instid0(SALU_CYCLE_1)
	s_or_b32 exec_lo, exec_lo, s13
	s_trap 2
	ds_load_b64 v[78:79], v0
	s_wait_dscnt 0x0
	v_cmp_eq_u64_e32 vcc_lo, 0, v[78:79]
	s_cbranch_vccnz .LBB8_2172
; %bb.2157:                             ;   in Loop: Header=BB8_2090 Depth=3
	s_trap 2
	ds_load_b64 v[88:89], v0
	s_wait_dscnt 0x0
	v_cmp_eq_u64_e32 vcc_lo, 0, v[88:89]
	s_cbranch_vccnz .LBB8_2172
; %bb.2158:                             ;   in Loop: Header=BB8_2090 Depth=3
	s_trap 2
	ds_load_b64 v[24:25], v0
	v_cmp_eq_u32_e32 vcc_lo, 0, v8
	s_mov_b32 s13, -1
	v_cndmask_b32_e32 v2, 0, v72, vcc_lo
	s_delay_alu instid0(VALU_DEP_1)
	v_lshlrev_b32_e32 v73, 1, v2
	s_wait_dscnt 0x0
	v_cmp_ne_u64_e32 vcc_lo, 0, v[24:25]
	s_cbranch_vccz .LBB8_2230
; %bb.2159:                             ;   in Loop: Header=BB8_2090 Depth=3
	s_and_saveexec_b32 s14, s11
	s_cbranch_execz .LBB8_2161
; %bb.2160:                             ;   in Loop: Header=BB8_2090 Depth=3
	ds_load_b32 v4, v0 offset:720
	s_wait_dscnt 0x0
	v_and_b32_e32 v4, 15, v4
	s_delay_alu instid0(VALU_DEP_1)
	v_cmp_eq_u32_e32 vcc_lo, 0, v4
	s_or_not1_b32 s13, vcc_lo, exec_lo
.LBB8_2161:                             ;   in Loop: Header=BB8_2090 Depth=3
	s_or_b32 exec_lo, exec_lo, s14
	s_and_saveexec_b32 s14, s12
	s_cbranch_execz .LBB8_2163
; %bb.2162:                             ;   in Loop: Header=BB8_2090 Depth=3
	ds_load_b32 v4, v0 offset:784
	s_wait_dscnt 0x0
	v_and_b32_e32 v4, 15, v4
	s_delay_alu instid0(VALU_DEP_1) | instskip(SKIP_3) | instid1(SALU_CYCLE_1)
	v_cmp_eq_u32_e32 vcc_lo, 0, v4
	s_and_b32 s15, s13, vcc_lo
	s_and_not1_b32 s13, s13, exec_lo
	s_and_b32 s15, s15, exec_lo
	s_or_b32 s13, s13, s15
.LBB8_2163:                             ;   in Loop: Header=BB8_2090 Depth=3
	s_or_b32 exec_lo, exec_lo, s14
	s_xor_b32 s13, s13, -1
	s_delay_alu instid0(SALU_CYCLE_1) | instskip(SKIP_1) | instid1(VALU_DEP_1)
	v_cndmask_b32_e64 v4, 0, 1, s13
	s_mov_b32 s13, -1
	v_cmp_ne_u32_e32 vcc_lo, 0, v4
	s_cbranch_vccz .LBB8_2177
; %bb.2164:                             ;   in Loop: Header=BB8_2090 Depth=3
	s_mov_b32 s77, -1
	v_mov_b32_e32 v17, 0
	s_cbranch_execnz .LBB8_2178
.LBB8_2165:                             ;   in Loop: Header=BB8_2090 Depth=3
	v_ashrrev_i32_e32 v4, 31, v73
	v_add_nc_u64_e32 v[32:33], v[88:89], v[46:47]
	v_add_nc_u64_e32 v[26:27], v[24:25], v[46:47]
	s_mov_b32 s14, 0
	s_mov_b32 s13, exec_lo
	v_lshrrev_b32_e32 v4, 22, v4
                                        ; implicit-def: $vgpr8_vgpr9
                                        ; implicit-def: $vgpr12_vgpr13
	s_delay_alu instid0(VALU_DEP_1) | instskip(NEXT) | instid1(VALU_DEP_1)
	v_add_nc_u32_e32 v4, v73, v4
	v_ashrrev_i32_e32 v28, 10, v4
	s_delay_alu instid0(VALU_DEP_1) | instskip(NEXT) | instid1(VALU_DEP_1)
	v_sub_nc_u32_e32 v29, v28, v124
	v_cmpx_lt_i32_e32 0, v29
	s_cbranch_execz .LBB8_2180
; %bb.2166:                             ;   in Loop: Header=BB8_2090 Depth=3
	v_add_nc_u64_e32 v[34:35], v[78:79], v[46:47]
	s_mov_b32 s40, 0
                                        ; implicit-def: $sgpr15
                                        ; implicit-def: $vgpr8_vgpr9
                                        ; implicit-def: $vgpr12_vgpr13
	s_branch .LBB8_2168
.LBB8_2167:                             ;   in Loop: Header=BB8_2168 Depth=4
	s_or_b32 exec_lo, exec_lo, s41
	v_add_nc_u64_e32 v[38:39], 0x400, v[32:33]
	v_add_nc_u64_e32 v[48:49], 0x400, v[26:27]
	s_wait_loadcnt 0x1
	global_store_b128 v[32:33], v[16:19], off th:TH_STORE_NT
	s_wait_loadcnt 0x0
	global_store_b128 v[32:33], v[20:23], off offset:512 th:TH_STORE_NT
	v_add_nc_u64_e32 v[34:35], v[34:35], v[36:37]
	s_clause 0x1
	global_store_b128 v[26:27], v[16:19], off th:TH_STORE_NT
	global_store_b128 v[26:27], v[20:23], off offset:512 th:TH_STORE_NT
	s_wait_xcnt 0x2
	v_add_nc_u64_e32 v[32:33], v[38:39], v[102:103]
	v_sub_nc_u32_e32 v29, v4, v5
	v_add_nc_u64_e32 v[4:5], v[48:49], v[102:103]
	s_delay_alu instid0(VALU_DEP_3) | instskip(NEXT) | instid1(VALU_DEP_3)
	v_cndmask_b32_e64 v32, v38, v32, s40
	v_cmp_gt_i32_e32 vcc_lo, 1, v29
	s_wait_xcnt 0x0
	s_delay_alu instid0(VALU_DEP_3) | instskip(NEXT) | instid1(VALU_DEP_4)
	v_dual_cndmask_b32 v33, v39, v33, s40 :: v_dual_cndmask_b32 v26, v48, v4, s40
	v_cndmask_b32_e64 v27, v49, v5, s40
	s_or_b32 s14, vcc_lo, s14
	s_and_not1_b32 s15, s15, exec_lo
	s_and_b32 s41, s40, exec_lo
	s_delay_alu instid0(SALU_CYCLE_1)
	s_or_b32 s15, s15, s41
	s_and_not1_b32 exec_lo, exec_lo, s14
	s_cbranch_execz .LBB8_2179
.LBB8_2168:                             ;   Parent Loop BB8_47 Depth=1
                                        ;     Parent Loop BB8_2087 Depth=2
                                        ;       Parent Loop BB8_2090 Depth=3
                                        ; =>      This Inner Loop Header: Depth=4
	s_clause 0x1
	global_load_b128 v[16:19], v[34:35], off th:TH_LOAD_NT
	global_load_b128 v[20:23], v[34:35], off offset:512 th:TH_LOAD_NT
	s_wait_xcnt 0x0
	s_and_saveexec_b32 s41, s40
	s_cbranch_execz .LBB8_2170
; %bb.2169:                             ;   in Loop: Header=BB8_2168 Depth=4
	s_clause 0x1
	global_store_b128 v[32:33], v[8:11], off th:TH_STORE_NT
	global_store_b128 v[32:33], v[12:15], off offset:512 th:TH_STORE_NT
	s_clause 0x1
	global_store_b128 v[26:27], v[8:11], off th:TH_STORE_NT
	global_store_b128 v[26:27], v[12:15], off offset:512 th:TH_STORE_NT
	s_wait_xcnt 0x2
	v_add_nc_u64_e32 v[32:33], v[32:33], v[118:119]
	s_wait_xcnt 0x0
	v_add_nc_u64_e32 v[26:27], v[26:27], v[118:119]
.LBB8_2170:                             ;   in Loop: Header=BB8_2168 Depth=4
	s_or_b32 exec_lo, exec_lo, s41
	v_dual_mov_b32 v5, 0 :: v_dual_sub_nc_u32 v4, v29, v84
	v_add_nc_u64_e32 v[34:35], v[34:35], v[118:119]
	v_mov_b64_e32 v[36:37], 0
	s_delay_alu instid0(VALU_DEP_3)
	v_cmp_lt_i32_e64 s40, 0, v4
	s_and_saveexec_b32 s41, s40
	s_cbranch_execz .LBB8_2167
; %bb.2171:                             ;   in Loop: Header=BB8_2168 Depth=4
	s_clause 0x1
	global_load_b128 v[8:11], v[34:35], off th:TH_LOAD_NT
	global_load_b128 v[12:15], v[34:35], off offset:512 th:TH_LOAD_NT
	s_wait_xcnt 0x0
	v_add_nc_u64_e32 v[34:35], 0x400, v[34:35]
	v_mov_b64_e32 v[36:37], v[102:103]
	v_mov_b32_e32 v5, v84
	s_branch .LBB8_2167
.LBB8_2172:                             ;   in Loop: Header=BB8_2090 Depth=3
	s_mov_b32 s13, 0
	s_and_saveexec_b32 s14, s2
	s_cbranch_execnz .LBB8_2288
.LBB8_2173:                             ;   in Loop: Header=BB8_2090 Depth=3
	s_or_b32 exec_lo, exec_lo, s14
                                        ; implicit-def: $vgpr2
	s_and_saveexec_b32 s14, s10
	s_delay_alu instid0(SALU_CYCLE_1)
	s_xor_b32 s14, exec_lo, s14
	s_cbranch_execz .LBB8_2306
.LBB8_2174:                             ;   in Loop: Header=BB8_2090 Depth=3
	v_and_b32_e32 v2, 16, v30
	s_delay_alu instid0(VALU_DEP_1) | instskip(SKIP_2) | instid1(SALU_CYCLE_1)
	v_cmp_ne_u32_e32 vcc_lo, 0, v2
	v_and_b32_e32 v2, 16, v30
	s_and_b32 s15, vcc_lo, s13
	s_and_saveexec_b32 s13, s15
	s_cbranch_execz .LBB8_2176
; %bb.2175:                             ;   in Loop: Header=BB8_2090 Depth=3
	v_mov_b32_e32 v2, 1
	global_wb scope:SCOPE_SYS
	s_wait_storecnt 0x0
	s_wait_loadcnt_dscnt 0x0
	global_inv scope:SCOPE_SYS
.LBB8_2176:                             ;   in Loop: Header=BB8_2090 Depth=3
	s_or_b32 exec_lo, exec_lo, s13
	s_and_not1_saveexec_b32 s13, s14
	s_cbranch_execz .LBB8_2325
	s_branch .LBB8_2307
.LBB8_2177:                             ;   in Loop: Header=BB8_2090 Depth=3
	s_mov_b32 s77, 0
	v_mov_b32_e32 v17, 0
	s_and_not1_b32 vcc_lo, exec_lo, s13
	s_cbranch_vccz .LBB8_2165
.LBB8_2178:                             ;   in Loop: Header=BB8_2090 Depth=3
	v_dual_mov_b32 v16, v73 :: v_dual_mov_b32 v18, v0
	v_mov_b32_e32 v4, v124
	s_and_saveexec_b32 s15, s77
	s_cbranch_execnz .LBB8_2204
	s_branch .LBB8_2229
.LBB8_2179:                             ;   in Loop: Header=BB8_2090 Depth=3
	s_or_b32 exec_lo, exec_lo, s14
	s_delay_alu instid0(SALU_CYCLE_1)
	s_and_b32 s14, s15, exec_lo
.LBB8_2180:                             ;   in Loop: Header=BB8_2090 Depth=3
	s_or_b32 exec_lo, exec_lo, s13
	s_and_saveexec_b32 s13, s14
	s_cbranch_execz .LBB8_2182
; %bb.2181:                             ;   in Loop: Header=BB8_2090 Depth=3
	s_clause 0x1
	global_store_b128 v[32:33], v[8:11], off th:TH_STORE_NT
	global_store_b128 v[32:33], v[12:15], off offset:512 th:TH_STORE_NT
	s_clause 0x1
	global_store_b128 v[26:27], v[8:11], off th:TH_STORE_NT
	global_store_b128 v[26:27], v[12:15], off offset:512 th:TH_STORE_NT
.LBB8_2182:                             ;   in Loop: Header=BB8_2090 Depth=3
	s_wait_xcnt 0x0
	s_or_b32 exec_lo, exec_lo, s13
	v_lshlrev_b32_e32 v22, 10, v28
	s_mov_b32 s78, exec_lo
                                        ; implicit-def: $vgpr16
                                        ; implicit-def: $vgpr17
                                        ; implicit-def: $vgpr18
                                        ; implicit-def: $vgpr4
	s_delay_alu instid0(VALU_DEP_1)
	v_cmpx_ne_u32_e64 v73, v22
	s_cbranch_execz .LBB8_2203
; %bb.2183:                             ;   in Loop: Header=BB8_2090 Depth=3
	v_dual_lshlrev_b32 v4, 5, v29 :: v_dual_sub_nc_u32 v8, v73, v22
	s_mov_b32 s14, 0
	s_mov_b32 s79, exec_lo
	s_delay_alu instid0(VALU_DEP_1) | instskip(NEXT) | instid1(VALU_DEP_2)
	v_sub_nc_u32_e32 v4, v0, v4
	v_ashrrev_i32_e32 v10, 31, v8
	s_delay_alu instid0(VALU_DEP_2) | instskip(NEXT) | instid1(VALU_DEP_1)
	v_ashrrev_i32_e32 v5, 31, v4
	v_lshrrev_b32_e32 v5, 27, v5
	s_delay_alu instid0(VALU_DEP_1) | instskip(NEXT) | instid1(VALU_DEP_1)
	v_add_nc_u32_e32 v5, v4, v5
	v_and_b32_e32 v9, 0xffffffe0, v5
	v_ashrrev_i32_e32 v5, 5, v5
	s_delay_alu instid0(VALU_DEP_2) | instskip(NEXT) | instid1(VALU_DEP_1)
	v_dual_sub_nc_u32 v26, v4, v9 :: v_dual_lshrrev_b32 v4, 23, v10
	v_dual_lshlrev_b32 v9, 4, v26 :: v_dual_add_nc_u32 v4, v8, v4
	s_delay_alu instid0(VALU_DEP_1) | instskip(NEXT) | instid1(VALU_DEP_2)
	v_lshl_add_u32 v9, v5, 9, v9
	v_and_b32_e32 v23, 0xfffffe00, v4
	s_delay_alu instid0(VALU_DEP_1) | instskip(SKIP_1) | instid1(VALU_DEP_2)
	v_dual_add_nc_u32 v10, v9, v22 :: v_dual_sub_nc_u32 v27, v8, v23
	v_dual_ashrrev_i32 v4, 9, v4 :: v_dual_sub_nc_u32 v28, v8, v9
                                        ; implicit-def: $vgpr8_vgpr9
	v_ashrrev_i32_e32 v11, 31, v10
	s_delay_alu instid0(VALU_DEP_3) | instskip(NEXT) | instid1(VALU_DEP_2)
	v_cmp_lt_i32_e64 s13, 15, v27
	v_add_nc_u64_e32 v[16:17], v[10:11], v[88:89]
	s_delay_alu instid0(VALU_DEP_2) | instskip(SKIP_1) | instid1(VALU_DEP_2)
	v_add_co_ci_u32_e64 v4, null, 0, v4, s13
	v_add_nc_u64_e32 v[18:19], v[10:11], v[24:25]
	v_sub_nc_u32_e32 v32, v4, v5
	v_cmpx_lt_i32_e32 15, v28
	s_cbranch_execz .LBB8_2197
; %bb.2184:                             ;   in Loop: Header=BB8_2090 Depth=3
	v_add_nc_u64_e32 v[20:21], v[10:11], v[78:79]
	s_mov_b32 s90, 0
	s_mov_b32 s88, 0
                                        ; implicit-def: $sgpr89
                                        ; implicit-def: $vgpr8_vgpr9
	s_branch .LBB8_2186
.LBB8_2185:                             ;   in Loop: Header=BB8_2186 Depth=4
	s_or_b32 exec_lo, exec_lo, s14
	s_delay_alu instid0(VALU_DEP_2) | instskip(SKIP_3) | instid1(SALU_CYCLE_1)
	v_cmp_gt_i32_e32 vcc_lo, 16, v28
	s_or_b32 s88, vcc_lo, s88
	s_and_not1_b32 s14, s89, exec_lo
	s_and_b32 s15, s90, exec_lo
	s_or_b32 s89, s14, s15
	s_and_not1_b32 exec_lo, exec_lo, s88
	s_cbranch_execz .LBB8_2196
.LBB8_2186:                             ;   Parent Loop BB8_47 Depth=1
                                        ;     Parent Loop BB8_2087 Depth=2
                                        ;       Parent Loop BB8_2090 Depth=3
                                        ; =>      This Loop Header: Depth=4
                                        ;           Child Loop BB8_2188 Depth 5
                                        ;           Child Loop BB8_2193 Depth 5
	global_load_b128 v[12:15], v[20:21], off th:TH_LOAD_NT
	s_wait_xcnt 0x0
	s_and_saveexec_b32 s91, s90
	s_cbranch_execz .LBB8_2190
; %bb.2187:                             ;   in Loop: Header=BB8_2186 Depth=4
	s_mov_b64 s[40:41], 0
	s_mov_b32 s90, -1
.LBB8_2188:                             ;   Parent Loop BB8_47 Depth=1
                                        ;     Parent Loop BB8_2087 Depth=2
                                        ;       Parent Loop BB8_2090 Depth=3
                                        ;         Parent Loop BB8_2186 Depth=4
                                        ; =>        This Inner Loop Header: Depth=5
	s_cmp_eq_u32 s40, 1
	s_cselect_b32 vcc_lo, -1, 0
	s_cmp_eq_u32 s40, 0
	s_wait_xcnt 0x0
	v_dual_cndmask_b32 v5, v17, v19 :: v_dual_cndmask_b32 v4, v16, v18
	s_cselect_b32 s14, -1, 0
	s_and_b32 s15, exec_lo, s90
	s_mov_b64 s[40:41], 1
	s_mov_b32 s90, 0
	v_add_nc_u64_e32 v[34:35], 0x200, v[4:5]
	global_store_b128 v[4:5], v[8:11], off th:TH_STORE_NT
	v_dual_cndmask_b32 v19, v19, v35 :: v_dual_cndmask_b32 v18, v18, v34
	v_dual_cndmask_b32 v17, v17, v35, s14 :: v_dual_cndmask_b32 v16, v16, v34, s14
	s_mov_b32 vcc_lo, s15
	s_cbranch_vccnz .LBB8_2188
; %bb.2189:                             ;   in Loop: Header=BB8_2186 Depth=4
	s_delay_alu instid0(VALU_DEP_1)
	v_add_nc_u64_e32 v[16:17], v[16:17], v[112:113]
	v_add_nc_u64_e32 v[18:19], v[18:19], v[112:113]
.LBB8_2190:                             ;   in Loop: Header=BB8_2186 Depth=4
	s_wait_xcnt 0x0
	s_or_b32 exec_lo, exec_lo, s91
	v_sub_nc_u32_e32 v28, v28, v122
	v_add_nc_u64_e32 v[20:21], v[40:41], v[20:21]
	s_delay_alu instid0(VALU_DEP_2)
	v_cmp_lt_i32_e64 s90, 15, v28
	s_and_saveexec_b32 s14, s90
	s_cbranch_execz .LBB8_2192
; %bb.2191:                             ;   in Loop: Header=BB8_2186 Depth=4
	global_load_b128 v[8:11], v[20:21], off th:TH_LOAD_NT
	s_wait_xcnt 0x0
	v_add_nc_u64_e32 v[20:21], 0x200, v[20:21]
.LBB8_2192:                             ;   in Loop: Header=BB8_2186 Depth=4
	s_or_b32 exec_lo, exec_lo, s14
	s_mov_b64 s[40:41], 0
	s_mov_b32 s91, -1
.LBB8_2193:                             ;   Parent Loop BB8_47 Depth=1
                                        ;     Parent Loop BB8_2087 Depth=2
                                        ;       Parent Loop BB8_2090 Depth=3
                                        ;         Parent Loop BB8_2186 Depth=4
                                        ; =>        This Inner Loop Header: Depth=5
	s_cmp_eq_u32 s40, 1
	s_cselect_b32 vcc_lo, -1, 0
	s_cmp_eq_u32 s40, 0
	s_wait_xcnt 0x0
	v_dual_cndmask_b32 v5, v17, v19 :: v_dual_cndmask_b32 v4, v16, v18
	s_cselect_b32 s14, -1, 0
	s_and_b32 s15, exec_lo, s91
	s_mov_b64 s[40:41], 1
	s_mov_b32 s91, 0
	v_add_nc_u64_e32 v[34:35], 0x200, v[4:5]
	s_wait_loadcnt 0x0
	global_store_b128 v[4:5], v[12:15], off th:TH_STORE_NT
	v_dual_cndmask_b32 v19, v19, v35 :: v_dual_cndmask_b32 v18, v18, v34
	v_dual_cndmask_b32 v17, v17, v35, s14 :: v_dual_cndmask_b32 v16, v16, v34, s14
	s_mov_b32 vcc_lo, s15
	s_cbranch_vccnz .LBB8_2193
; %bb.2194:                             ;   in Loop: Header=BB8_2186 Depth=4
	v_sub_nc_u32_e32 v32, v32, v84
	s_wait_xcnt 0x0
	s_and_saveexec_b32 s14, s90
	s_cbranch_execz .LBB8_2185
; %bb.2195:                             ;   in Loop: Header=BB8_2186 Depth=4
	v_add_nc_u64_e32 v[16:17], v[16:17], v[112:113]
	v_add_nc_u64_e32 v[18:19], v[18:19], v[112:113]
	v_add_nc_u64_e32 v[20:21], v[20:21], v[112:113]
	v_sub_nc_u32_e32 v28, v28, v122
	v_sub_nc_u32_e32 v32, v32, v84
	s_branch .LBB8_2185
.LBB8_2196:                             ;   in Loop: Header=BB8_2090 Depth=3
	s_or_b32 exec_lo, exec_lo, s88
	s_delay_alu instid0(SALU_CYCLE_1)
	s_and_b32 s14, s89, exec_lo
.LBB8_2197:                             ;   in Loop: Header=BB8_2090 Depth=3
	s_or_b32 exec_lo, exec_lo, s79
	s_and_saveexec_b32 s79, s14
	s_cbranch_execz .LBB8_2200
; %bb.2198:                             ;   in Loop: Header=BB8_2090 Depth=3
	s_mov_b64 s[40:41], 0
	s_mov_b32 s88, -1
.LBB8_2199:                             ;   Parent Loop BB8_47 Depth=1
                                        ;     Parent Loop BB8_2087 Depth=2
                                        ;       Parent Loop BB8_2090 Depth=3
                                        ; =>      This Inner Loop Header: Depth=4
	s_cmp_eq_u32 s40, 1
	s_cselect_b32 vcc_lo, -1, 0
	s_cmp_eq_u32 s40, 0
	s_wait_xcnt 0x0
	v_dual_cndmask_b32 v5, v17, v19 :: v_dual_cndmask_b32 v4, v16, v18
	s_cselect_b32 s14, -1, 0
	s_and_b32 s15, exec_lo, s88
	s_mov_b64 s[40:41], 1
	s_mov_b32 s88, 0
	v_add_nc_u64_e32 v[12:13], 0x200, v[4:5]
	global_store_b128 v[4:5], v[8:11], off th:TH_STORE_NT
	v_dual_cndmask_b32 v19, v19, v13 :: v_dual_cndmask_b32 v18, v18, v12
	v_dual_cndmask_b32 v17, v17, v13, s14 :: v_dual_cndmask_b32 v16, v16, v12, s14
	s_mov_b32 vcc_lo, s15
	s_cbranch_vccnz .LBB8_2199
.LBB8_2200:                             ;   in Loop: Header=BB8_2090 Depth=3
	s_wait_xcnt 0x0
	s_or_b32 exec_lo, exec_lo, s79
	v_and_b32_e32 v5, 14, v73
	s_mov_b32 s15, s77
	s_mov_b32 s14, exec_lo
                                        ; implicit-def: $vgpr17
                                        ; implicit-def: $vgpr18
                                        ; implicit-def: $vgpr4
	s_delay_alu instid0(VALU_DEP_1) | instskip(NEXT) | instid1(VALU_DEP_1)
	v_cndmask_b32_e64 v16, v27, v5, s13
	v_cmpx_ne_u32_e32 0, v16
	s_cbranch_execz .LBB8_2202
; %bb.2201:                             ;   in Loop: Header=BB8_2090 Depth=3
	v_cmp_lt_i32_e32 vcc_lo, 0, v32
	s_or_b32 s15, s77, exec_lo
	v_dual_cndmask_b32 v4, 0, v84 :: v_dual_sub_nc_u32 v5, v27, v5
	s_delay_alu instid0(VALU_DEP_1) | instskip(NEXT) | instid1(VALU_DEP_1)
	v_dual_cndmask_b32 v5, 0, v5, s13 :: v_dual_sub_nc_u32 v4, v4, v32
	v_add3_u32 v17, v23, v22, v5
	s_delay_alu instid0(VALU_DEP_2) | instskip(NEXT) | instid1(VALU_DEP_1)
	v_lshl_add_u32 v8, v4, 5, v26
	v_ashrrev_i32_e32 v4, 31, v8
	s_delay_alu instid0(VALU_DEP_1) | instskip(NEXT) | instid1(VALU_DEP_1)
	v_lshrrev_b32_e32 v4, 27, v4
	v_add_nc_u32_e32 v4, v8, v4
	s_delay_alu instid0(VALU_DEP_1) | instskip(NEXT) | instid1(VALU_DEP_1)
	v_and_b32_e32 v9, 0xffffffe0, v4
	v_dual_ashrrev_i32 v4, 5, v4 :: v_dual_sub_nc_u32 v18, v8, v9
.LBB8_2202:                             ;   in Loop: Header=BB8_2090 Depth=3
	s_or_b32 exec_lo, exec_lo, s14
	s_delay_alu instid0(SALU_CYCLE_1) | instskip(SKIP_1) | instid1(SALU_CYCLE_1)
	s_and_not1_b32 s13, s77, exec_lo
	s_and_b32 s14, s15, exec_lo
	s_or_b32 s77, s13, s14
.LBB8_2203:                             ;   in Loop: Header=BB8_2090 Depth=3
	s_or_b32 exec_lo, exec_lo, s78
	s_and_saveexec_b32 s15, s77
	s_cbranch_execz .LBB8_2229
.LBB8_2204:                             ;   in Loop: Header=BB8_2090 Depth=3
	v_dual_ashrrev_i32 v5, 31, v16 :: v_dual_lshlrev_b32 v9, 1, v18
	s_mov_b32 s14, 0
	s_mov_b32 s13, exec_lo
                                        ; implicit-def: $vgpr20
                                        ; implicit-def: $vgpr21
                                        ; implicit-def: $vgpr22
                                        ; implicit-def: $vgpr23
                                        ; implicit-def: $vgpr26
                                        ; implicit-def: $vgpr27
                                        ; implicit-def: $vgpr28
                                        ; implicit-def: $vgpr29
	s_delay_alu instid0(VALU_DEP_1) | instskip(NEXT) | instid1(VALU_DEP_1)
	v_dual_lshlrev_b32 v8, 9, v4 :: v_dual_lshrrev_b32 v5, 23, v5
	v_add3_u32 v12, v17, v9, v8
	s_delay_alu instid0(VALU_DEP_1) | instskip(NEXT) | instid1(VALU_DEP_1)
	v_dual_add_nc_u32 v5, v16, v5 :: v_dual_ashrrev_i32 v13, 31, v12
	v_ashrrev_i32_e32 v19, 9, v5
	s_delay_alu instid0(VALU_DEP_2) | instskip(SKIP_1) | instid1(VALU_DEP_3)
	v_add_nc_u64_e32 v[10:11], v[88:89], v[12:13]
	v_add_nc_u64_e32 v[8:9], v[24:25], v[12:13]
	v_sub_nc_u32_e32 v32, v19, v4
	s_delay_alu instid0(VALU_DEP_1)
	v_cmpx_lt_i32_e32 0, v32
	s_cbranch_execz .LBB8_2212
; %bb.2205:                             ;   in Loop: Header=BB8_2090 Depth=3
	v_add_nc_u64_e32 v[12:13], v[12:13], v[78:79]
	s_mov_b32 s41, 0
                                        ; implicit-def: $sgpr40
                                        ; implicit-def: $vgpr20
                                        ; implicit-def: $vgpr21
                                        ; implicit-def: $vgpr22
                                        ; implicit-def: $vgpr23
                                        ; implicit-def: $vgpr26
                                        ; implicit-def: $vgpr27
                                        ; implicit-def: $vgpr28
                                        ; implicit-def: $vgpr29
	s_branch .LBB8_2207
.LBB8_2206:                             ;   in Loop: Header=BB8_2207 Depth=4
	s_or_b32 exec_lo, exec_lo, s77
	v_add_nc_u64_e32 v[50:51], 0x200, v[10:11]
	v_add_nc_u64_e32 v[52:53], 0x200, v[8:9]
	s_wait_loadcnt_dscnt 0x707
	flat_store_b16 v[10:11], v33 th:TH_STORE_NT
	s_wait_loadcnt_dscnt 0x607
	flat_store_b16 v[10:11], v34 offset:64 th:TH_STORE_NT
	s_wait_loadcnt_dscnt 0x507
	flat_store_b16 v[10:11], v35 offset:128 th:TH_STORE_NT
	;; [unrolled: 2-line block ×7, first 2 shown]
	v_add_nc_u64_e32 v[12:13], v[12:13], v[14:15]
	s_clause 0x7
	flat_store_b16 v[8:9], v33 th:TH_STORE_NT
	flat_store_b16 v[8:9], v34 offset:64 th:TH_STORE_NT
	flat_store_b16 v[8:9], v35 offset:128 th:TH_STORE_NT
	;; [unrolled: 1-line block ×7, first 2 shown]
	s_wait_xcnt 0x8
	v_add_nc_u64_e32 v[10:11], v[50:51], v[112:113]
	v_sub_nc_u32_e32 v32, v32, v4
	v_add_nc_u64_e32 v[54:55], v[52:53], v[112:113]
	s_delay_alu instid0(VALU_DEP_3) | instskip(NEXT) | instid1(VALU_DEP_3)
	v_cndmask_b32_e64 v11, v51, v11, s41
	v_cmp_gt_i32_e32 vcc_lo, 1, v32
	s_wait_xcnt 0x0
	s_delay_alu instid0(VALU_DEP_3) | instskip(NEXT) | instid1(VALU_DEP_4)
	v_dual_cndmask_b32 v10, v50, v10, s41 :: v_dual_cndmask_b32 v9, v53, v55, s41
	v_cndmask_b32_e64 v8, v52, v54, s41
	s_or_b32 s14, vcc_lo, s14
	s_and_not1_b32 s40, s40, exec_lo
	s_and_b32 s77, s41, exec_lo
	s_delay_alu instid0(SALU_CYCLE_1)
	s_or_b32 s40, s40, s77
	s_and_not1_b32 exec_lo, exec_lo, s14
	s_cbranch_execz .LBB8_2211
.LBB8_2207:                             ;   Parent Loop BB8_47 Depth=1
                                        ;     Parent Loop BB8_2087 Depth=2
                                        ;       Parent Loop BB8_2090 Depth=3
                                        ; =>      This Inner Loop Header: Depth=4
	s_clause 0x7
	flat_load_u16 v33, v[12:13] th:TH_LOAD_NT
	flat_load_u16 v34, v[12:13] offset:64 th:TH_LOAD_NT
	flat_load_u16 v35, v[12:13] offset:128 th:TH_LOAD_NT
	;; [unrolled: 1-line block ×7, first 2 shown]
	s_wait_xcnt 0x0
	s_and_saveexec_b32 s77, s41
	s_cbranch_execz .LBB8_2209
; %bb.2208:                             ;   in Loop: Header=BB8_2207 Depth=4
	s_clause 0x7
	flat_store_b16 v[10:11], v20 th:TH_STORE_NT
	flat_store_b16 v[10:11], v21 offset:64 th:TH_STORE_NT
	flat_store_b16 v[10:11], v22 offset:128 th:TH_STORE_NT
	;; [unrolled: 1-line block ×7, first 2 shown]
	s_clause 0x7
	flat_store_b16 v[8:9], v20 th:TH_STORE_NT
	flat_store_b16 v[8:9], v21 offset:64 th:TH_STORE_NT
	flat_store_b16 v[8:9], v22 offset:128 th:TH_STORE_NT
	;; [unrolled: 1-line block ×7, first 2 shown]
	s_wait_xcnt 0x8
	v_add_nc_u64_e32 v[10:11], v[10:11], v[40:41]
	s_wait_xcnt 0x0
	v_add_nc_u64_e32 v[8:9], v[8:9], v[40:41]
.LBB8_2209:                             ;   in Loop: Header=BB8_2207 Depth=4
	s_or_b32 exec_lo, exec_lo, s77
	v_dual_sub_nc_u32 v32, v32, v84 :: v_dual_mov_b32 v4, 0
	v_add_nc_u64_e32 v[12:13], v[12:13], v[40:41]
	v_mov_b64_e32 v[14:15], 0
	s_delay_alu instid0(VALU_DEP_3)
	v_cmp_lt_i32_e64 s41, 0, v32
	s_and_saveexec_b32 s77, s41
	s_cbranch_execz .LBB8_2206
; %bb.2210:                             ;   in Loop: Header=BB8_2207 Depth=4
	s_clause 0x7
	flat_load_u16 v20, v[12:13] th:TH_LOAD_NT
	flat_load_u16 v21, v[12:13] offset:64 th:TH_LOAD_NT
	flat_load_u16 v22, v[12:13] offset:128 th:TH_LOAD_NT
	;; [unrolled: 1-line block ×7, first 2 shown]
	s_wait_xcnt 0x0
	v_add_nc_u64_e32 v[12:13], 0x200, v[12:13]
	v_mov_b64_e32 v[14:15], v[112:113]
	v_mov_b32_e32 v4, v84
	s_branch .LBB8_2206
.LBB8_2211:                             ;   in Loop: Header=BB8_2090 Depth=3
	s_or_b32 exec_lo, exec_lo, s14
	s_delay_alu instid0(SALU_CYCLE_1)
	s_and_b32 s14, s40, exec_lo
.LBB8_2212:                             ;   in Loop: Header=BB8_2090 Depth=3
	s_or_b32 exec_lo, exec_lo, s13
	s_and_saveexec_b32 s13, s14
	s_cbranch_execz .LBB8_2214
; %bb.2213:                             ;   in Loop: Header=BB8_2090 Depth=3
	s_clause 0x7
	flat_store_b16 v[10:11], v20 th:TH_STORE_NT
	flat_store_b16 v[10:11], v21 offset:64 th:TH_STORE_NT
	flat_store_b16 v[10:11], v22 offset:128 th:TH_STORE_NT
	flat_store_b16 v[10:11], v23 offset:192 th:TH_STORE_NT
	flat_store_b16 v[10:11], v26 offset:256 th:TH_STORE_NT
	flat_store_b16 v[10:11], v27 offset:320 th:TH_STORE_NT
	flat_store_b16 v[10:11], v28 offset:384 th:TH_STORE_NT
	flat_store_b16 v[10:11], v29 offset:448 th:TH_STORE_NT
	s_clause 0x7
	flat_store_b16 v[8:9], v20 th:TH_STORE_NT
	flat_store_b16 v[8:9], v21 offset:64 th:TH_STORE_NT
	flat_store_b16 v[8:9], v22 offset:128 th:TH_STORE_NT
	;; [unrolled: 1-line block ×7, first 2 shown]
.LBB8_2214:                             ;   in Loop: Header=BB8_2090 Depth=3
	s_wait_xcnt 0x0
	s_or_b32 exec_lo, exec_lo, s13
	v_lshlrev_b32_e32 v4, 9, v19
	s_delay_alu instid0(VALU_DEP_1)
	v_cmp_ne_u32_e32 vcc_lo, v16, v4
	s_and_b32 exec_lo, exec_lo, vcc_lo
	s_cbranch_execz .LBB8_2229
; %bb.2215:                             ;   in Loop: Header=BB8_2090 Depth=3
	v_lshlrev_b32_e32 v5, 5, v32
	s_delay_alu instid0(VALU_DEP_1) | instskip(NEXT) | instid1(VALU_DEP_1)
	v_sub_nc_u32_e32 v5, v18, v5
	v_ashrrev_i32_e32 v8, 31, v5
	s_delay_alu instid0(VALU_DEP_1) | instskip(NEXT) | instid1(VALU_DEP_1)
	v_lshrrev_b32_e32 v8, 27, v8
	v_add_nc_u32_e32 v8, v5, v8
	s_delay_alu instid0(VALU_DEP_1) | instskip(NEXT) | instid1(VALU_DEP_1)
	v_and_b32_e32 v9, 0x7fffffe0, v8
	v_dual_sub_nc_u32 v5, v5, v9 :: v_dual_lshlrev_b32 v8, 1, v8
	s_delay_alu instid0(VALU_DEP_1) | instskip(NEXT) | instid1(VALU_DEP_2)
	v_lshlrev_b32_e32 v5, 1, v5
	v_and_b32_e32 v8, 0xffffffc0, v8
	s_delay_alu instid0(VALU_DEP_1) | instskip(NEXT) | instid1(VALU_DEP_1)
	v_add3_u32 v4, v8, v5, v4
	v_sub_nc_u32_e32 v19, v16, v4
	s_delay_alu instid0(VALU_DEP_1)
	v_cmp_lt_i32_e32 vcc_lo, 1, v19
	s_and_b32 exec_lo, exec_lo, vcc_lo
	s_cbranch_execz .LBB8_2229
; %bb.2216:                             ;   in Loop: Header=BB8_2090 Depth=3
	v_add_nc_u32_e32 v4, v4, v17
	s_mov_b32 s79, 0
	s_mov_b32 s77, 0
                                        ; implicit-def: $sgpr78
                                        ; implicit-def: $vgpr18
	s_delay_alu instid0(VALU_DEP_1) | instskip(NEXT) | instid1(VALU_DEP_1)
	v_ashrrev_i32_e32 v5, 31, v4
	v_add_nc_u64_e32 v[8:9], v[88:89], v[4:5]
	v_add_nc_u64_e32 v[10:11], v[24:25], v[4:5]
	;; [unrolled: 1-line block ×3, first 2 shown]
.LBB8_2217:                             ;   Parent Loop BB8_47 Depth=1
                                        ;     Parent Loop BB8_2087 Depth=2
                                        ;       Parent Loop BB8_2090 Depth=3
                                        ; =>      This Loop Header: Depth=4
                                        ;           Child Loop BB8_2219 Depth 5
                                        ;           Child Loop BB8_2224 Depth 5
	flat_load_u16 v14, v[12:13] th:TH_LOAD_NT
	s_wait_xcnt 0x0
	s_and_saveexec_b32 s88, s79
	s_cbranch_execz .LBB8_2221
; %bb.2218:                             ;   in Loop: Header=BB8_2217 Depth=4
	s_mov_b64 s[40:41], 0
	s_mov_b32 s79, -1
.LBB8_2219:                             ;   Parent Loop BB8_47 Depth=1
                                        ;     Parent Loop BB8_2087 Depth=2
                                        ;       Parent Loop BB8_2090 Depth=3
                                        ;         Parent Loop BB8_2217 Depth=4
                                        ; =>        This Inner Loop Header: Depth=5
	s_cmp_eq_u32 s40, 1
	s_cselect_b32 vcc_lo, -1, 0
	s_cmp_eq_u32 s40, 0
	s_wait_xcnt 0x0
	v_dual_cndmask_b32 v5, v9, v11 :: v_dual_cndmask_b32 v4, v8, v10
	s_cselect_b32 s13, -1, 0
	s_and_b32 s14, exec_lo, s79
	s_mov_b64 s[40:41], 1
	s_mov_b32 s79, 0
	v_add_nc_u64_e32 v[16:17], 64, v[4:5]
	flat_store_b16 v[4:5], v18 th:TH_STORE_NT
	v_dual_cndmask_b32 v11, v11, v17 :: v_dual_cndmask_b32 v10, v10, v16
	v_dual_cndmask_b32 v9, v9, v17, s13 :: v_dual_cndmask_b32 v8, v8, v16, s13
	s_mov_b32 vcc_lo, s14
	s_cbranch_vccnz .LBB8_2219
; %bb.2220:                             ;   in Loop: Header=BB8_2217 Depth=4
	s_delay_alu instid0(VALU_DEP_1)
	v_add_nc_u64_e32 v[8:9], v[8:9], v[114:115]
	v_add_nc_u64_e32 v[10:11], v[10:11], v[114:115]
.LBB8_2221:                             ;   in Loop: Header=BB8_2217 Depth=4
	s_wait_xcnt 0x0
	s_or_b32 exec_lo, exec_lo, s88
	v_sub_nc_u32_e32 v16, v19, v123
	v_add_nc_u64_e32 v[12:13], v[44:45], v[12:13]
	s_delay_alu instid0(VALU_DEP_2)
	v_cmp_lt_i32_e64 s79, 1, v16
	s_and_saveexec_b32 s13, s79
	s_cbranch_execz .LBB8_2223
; %bb.2222:                             ;   in Loop: Header=BB8_2217 Depth=4
	flat_load_u16 v18, v[12:13] th:TH_LOAD_NT
	s_wait_xcnt 0x0
	v_add_nc_u64_e32 v[12:13], 64, v[12:13]
.LBB8_2223:                             ;   in Loop: Header=BB8_2217 Depth=4
	s_or_b32 exec_lo, exec_lo, s13
	s_mov_b64 s[40:41], 0
	s_mov_b32 s88, -1
.LBB8_2224:                             ;   Parent Loop BB8_47 Depth=1
                                        ;     Parent Loop BB8_2087 Depth=2
                                        ;       Parent Loop BB8_2090 Depth=3
                                        ;         Parent Loop BB8_2217 Depth=4
                                        ; =>        This Inner Loop Header: Depth=5
	s_cmp_eq_u32 s40, 1
	s_cselect_b32 vcc_lo, -1, 0
	s_cmp_eq_u32 s40, 0
	s_wait_xcnt 0x0
	v_dual_cndmask_b32 v5, v9, v11 :: v_dual_cndmask_b32 v4, v8, v10
	s_cselect_b32 s13, -1, 0
	s_and_b32 s14, exec_lo, s88
	s_mov_b64 s[40:41], 1
	s_mov_b32 s88, 0
	v_add_nc_u64_e32 v[20:21], 64, v[4:5]
	s_wait_loadcnt_dscnt 0x0
	flat_store_b16 v[4:5], v14 th:TH_STORE_NT
	v_dual_cndmask_b32 v11, v11, v21 :: v_dual_cndmask_b32 v10, v10, v20
	v_dual_cndmask_b32 v9, v9, v21, s13 :: v_dual_cndmask_b32 v8, v8, v20, s13
	s_mov_b32 vcc_lo, s14
	s_cbranch_vccnz .LBB8_2224
; %bb.2225:                             ;   in Loop: Header=BB8_2217 Depth=4
	s_wait_xcnt 0x0
	v_dual_cndmask_b32 v17, 0, v123, s79 :: v_dual_cndmask_b32 v4, 0, v114, s79
	v_cndmask_b32_e64 v5, 0, v115, s79
	v_add_nc_u64_e32 v[14:15], v[10:11], v[114:115]
	s_delay_alu instid0(VALU_DEP_3) | instskip(SKIP_1) | instid1(VALU_DEP_4)
	v_sub_nc_u32_e32 v19, v16, v17
	v_add_nc_u64_e32 v[16:17], v[8:9], v[114:115]
	v_add_nc_u64_e32 v[12:13], v[12:13], v[4:5]
	s_delay_alu instid0(VALU_DEP_4) | instskip(NEXT) | instid1(VALU_DEP_4)
	v_dual_cndmask_b32 v11, v11, v15, s79 :: v_dual_cndmask_b32 v10, v10, v14, s79
	v_cmp_gt_i32_e32 vcc_lo, 2, v19
	s_delay_alu instid0(VALU_DEP_4) | instskip(SKIP_3) | instid1(SALU_CYCLE_1)
	v_dual_cndmask_b32 v9, v9, v17, s79 :: v_dual_cndmask_b32 v8, v8, v16, s79
	s_or_b32 s77, vcc_lo, s77
	s_and_not1_b32 s13, s78, exec_lo
	s_and_b32 s14, s79, exec_lo
	s_or_b32 s78, s13, s14
	s_and_not1_b32 exec_lo, exec_lo, s77
	s_cbranch_execnz .LBB8_2217
; %bb.2226:                             ;   in Loop: Header=BB8_2090 Depth=3
	s_or_b32 exec_lo, exec_lo, s77
	s_delay_alu instid0(SALU_CYCLE_1)
	s_and_b32 exec_lo, exec_lo, s78
	s_cbranch_execz .LBB8_2229
; %bb.2227:                             ;   in Loop: Header=BB8_2090 Depth=3
	s_mov_b64 s[40:41], 0
	s_mov_b32 s77, -1
.LBB8_2228:                             ;   Parent Loop BB8_47 Depth=1
                                        ;     Parent Loop BB8_2087 Depth=2
                                        ;       Parent Loop BB8_2090 Depth=3
                                        ; =>      This Inner Loop Header: Depth=4
	s_cmp_eq_u32 s40, 1
	s_cselect_b32 vcc_lo, -1, 0
	s_cmp_eq_u32 s40, 0
	s_wait_xcnt 0x0
	v_dual_cndmask_b32 v5, v17, v15 :: v_dual_cndmask_b32 v4, v16, v14
	s_cselect_b32 s13, -1, 0
	s_and_b32 s14, exec_lo, s77
	s_mov_b64 s[40:41], 1
	s_mov_b32 s77, 0
	v_add_nc_u64_e32 v[8:9], 64, v[4:5]
	flat_store_b16 v[4:5], v18 th:TH_STORE_NT
	v_dual_cndmask_b32 v17, v17, v9, s13 :: v_dual_cndmask_b32 v16, v16, v8, s13
	v_dual_cndmask_b32 v15, v15, v9 :: v_dual_cndmask_b32 v14, v14, v8
	s_mov_b32 vcc_lo, s14
	s_cbranch_vccnz .LBB8_2228
.LBB8_2229:                             ;   in Loop: Header=BB8_2090 Depth=3
	s_wait_xcnt 0x0
	s_or_b32 exec_lo, exec_lo, s15
	s_mov_b32 s13, 0
.LBB8_2230:                             ;   in Loop: Header=BB8_2090 Depth=3
	s_delay_alu instid0(SALU_CYCLE_1)
	s_and_b32 vcc_lo, exec_lo, s13
	s_cbranch_vccz .LBB8_2244
; %bb.2231:                             ;   in Loop: Header=BB8_2090 Depth=3
	s_mov_b32 s13, -1
	s_and_saveexec_b32 s14, s11
	s_cbranch_execz .LBB8_2233
; %bb.2232:                             ;   in Loop: Header=BB8_2090 Depth=3
	ds_load_b32 v4, v0 offset:720
	s_wait_dscnt 0x0
	v_and_b32_e32 v4, 15, v4
	s_delay_alu instid0(VALU_DEP_1)
	v_cmp_eq_u32_e32 vcc_lo, 0, v4
	s_or_not1_b32 s13, vcc_lo, exec_lo
.LBB8_2233:                             ;   in Loop: Header=BB8_2090 Depth=3
	s_or_b32 exec_lo, exec_lo, s14
	s_and_saveexec_b32 s14, s7
	s_cbranch_execz .LBB8_2235
; %bb.2234:                             ;   in Loop: Header=BB8_2090 Depth=3
	ds_load_b32 v4, v0 offset:784
	s_wait_dscnt 0x0
	v_and_b32_e32 v4, 15, v4
	s_delay_alu instid0(VALU_DEP_1) | instskip(SKIP_3) | instid1(SALU_CYCLE_1)
	v_cmp_eq_u32_e32 vcc_lo, 0, v4
	s_and_b32 s15, s13, vcc_lo
	s_and_not1_b32 s13, s13, exec_lo
	s_and_b32 s15, s15, exec_lo
	s_or_b32 s13, s13, s15
.LBB8_2235:                             ;   in Loop: Header=BB8_2090 Depth=3
	s_or_b32 exec_lo, exec_lo, s14
	s_xor_b32 s13, s13, -1
	s_delay_alu instid0(SALU_CYCLE_1) | instskip(SKIP_1) | instid1(VALU_DEP_1)
	v_cndmask_b32_e64 v4, 0, 1, s13
	s_mov_b32 s13, -1
	v_cmp_ne_u32_e32 vcc_lo, 0, v4
	s_cbranch_vccz .LBB8_2245
; %bb.2236:                             ;   in Loop: Header=BB8_2090 Depth=3
	s_mov_b32 s14, -1
	v_mov_b32_e32 v14, 0
	s_cbranch_execnz .LBB8_2246
.LBB8_2237:                             ;   in Loop: Header=BB8_2090 Depth=3
	v_ashrrev_i32_e32 v4, 31, v73
	v_add_nc_u64_e32 v[90:91], v[88:89], v[42:43]
	s_mov_b32 s15, 0
	s_mov_b32 s13, exec_lo
                                        ; implicit-def: $vgpr8_vgpr9
                                        ; implicit-def: $vgpr12_vgpr13
                                        ; implicit-def: $vgpr16_vgpr17
                                        ; implicit-def: $vgpr20_vgpr21
	s_delay_alu instid0(VALU_DEP_2) | instskip(NEXT) | instid1(VALU_DEP_1)
	v_lshrrev_b32_e32 v4, 21, v4
	v_add_nc_u32_e32 v4, v73, v4
	s_delay_alu instid0(VALU_DEP_1) | instskip(NEXT) | instid1(VALU_DEP_1)
	v_ashrrev_i32_e32 v28, 11, v4
	v_sub_nc_u32_e32 v29, v28, v124
	s_delay_alu instid0(VALU_DEP_1)
	v_cmpx_lt_i32_e32 0, v29
	s_cbranch_execz .LBB8_2248
; %bb.2238:                             ;   in Loop: Header=BB8_2090 Depth=3
	v_add_nc_u64_e32 v[92:93], v[78:79], v[42:43]
	s_mov_b32 s41, 0
                                        ; implicit-def: $sgpr40
                                        ; implicit-def: $vgpr8_vgpr9
                                        ; implicit-def: $vgpr12_vgpr13
                                        ; implicit-def: $vgpr16_vgpr17
                                        ; implicit-def: $vgpr20_vgpr21
	s_branch .LBB8_2240
.LBB8_2239:                             ;   in Loop: Header=BB8_2240 Depth=4
	s_or_b32 exec_lo, exec_lo, s77
	s_delay_alu instid0(VALU_DEP_1) | instskip(NEXT) | instid1(VALU_DEP_3)
	v_sub_nc_u32_e32 v29, v4, v5
	v_add_nc_u64_e32 v[4:5], v[90:91], v[94:95]
	s_wait_loadcnt 0x3
	global_store_b128 v[90:91], v[36:39], off th:TH_STORE_NT
	s_wait_loadcnt 0x2
	global_store_b128 v[90:91], v[48:51], off offset:512 th:TH_STORE_NT
	s_wait_loadcnt 0x1
	global_store_b128 v[90:91], v[24:27], off offset:1024 th:TH_STORE_NT
	;; [unrolled: 2-line block ×3, first 2 shown]
	v_add_nc_u64_e32 v[92:93], v[92:93], v[94:95]
	v_cmp_gt_i32_e32 vcc_lo, 1, v29
	s_wait_xcnt 0x0
	v_add_nc_u64_e32 v[90:91], 0x800, v[4:5]
	s_or_b32 s15, vcc_lo, s15
	s_and_not1_b32 s40, s40, exec_lo
	s_and_b32 s77, s41, exec_lo
	s_delay_alu instid0(SALU_CYCLE_1)
	s_or_b32 s40, s40, s77
	s_and_not1_b32 exec_lo, exec_lo, s15
	s_cbranch_execz .LBB8_2247
.LBB8_2240:                             ;   Parent Loop BB8_47 Depth=1
                                        ;     Parent Loop BB8_2087 Depth=2
                                        ;       Parent Loop BB8_2090 Depth=3
                                        ; =>      This Inner Loop Header: Depth=4
	s_clause 0x3
	global_load_b128 v[36:39], v[92:93], off th:TH_LOAD_NT
	global_load_b128 v[48:51], v[92:93], off offset:512 th:TH_LOAD_NT
	global_load_b128 v[24:27], v[92:93], off offset:1024 th:TH_LOAD_NT
	;; [unrolled: 1-line block ×3, first 2 shown]
	s_wait_xcnt 0x0
	s_and_saveexec_b32 s77, s41
	s_cbranch_execz .LBB8_2242
; %bb.2241:                             ;   in Loop: Header=BB8_2240 Depth=4
	s_clause 0x3
	global_store_b128 v[90:91], v[8:11], off th:TH_STORE_NT
	global_store_b128 v[90:91], v[12:15], off offset:512 th:TH_STORE_NT
	global_store_b128 v[90:91], v[16:19], off offset:1024 th:TH_STORE_NT
	;; [unrolled: 1-line block ×3, first 2 shown]
	s_wait_xcnt 0x0
	v_add_nc_u64_e32 v[90:91], v[90:91], v[116:117]
.LBB8_2242:                             ;   in Loop: Header=BB8_2240 Depth=4
	s_or_b32 exec_lo, exec_lo, s77
	v_dual_mov_b32 v5, 0 :: v_dual_sub_nc_u32 v4, v29, v84
	v_add_nc_u64_e32 v[92:93], v[92:93], v[116:117]
	v_mov_b64_e32 v[94:95], 0
	s_delay_alu instid0(VALU_DEP_3)
	v_cmp_lt_i32_e64 s41, 0, v4
	s_and_saveexec_b32 s77, s41
	s_cbranch_execz .LBB8_2239
; %bb.2243:                             ;   in Loop: Header=BB8_2240 Depth=4
	s_clause 0x3
	global_load_b128 v[8:11], v[92:93], off th:TH_LOAD_NT
	global_load_b128 v[12:15], v[92:93], off offset:512 th:TH_LOAD_NT
	global_load_b128 v[16:19], v[92:93], off offset:1024 th:TH_LOAD_NT
	;; [unrolled: 1-line block ×3, first 2 shown]
	s_wait_xcnt 0x0
	v_add_nc_u64_e32 v[92:93], 0x800, v[92:93]
	v_mov_b64_e32 v[94:95], v[100:101]
	v_mov_b32_e32 v5, v84
	s_branch .LBB8_2239
.LBB8_2244:                             ;   in Loop: Header=BB8_2090 Depth=3
	v_cmp_lt_i32_e64 s13, 0, v2
	s_and_saveexec_b32 s14, s2
	s_cbranch_execnz .LBB8_2288
	s_branch .LBB8_2173
.LBB8_2245:                             ;   in Loop: Header=BB8_2090 Depth=3
	s_mov_b32 s14, 0
	v_mov_b32_e32 v14, 0
	s_and_not1_b32 vcc_lo, exec_lo, s13
	s_cbranch_vccz .LBB8_2237
.LBB8_2246:                             ;   in Loop: Header=BB8_2090 Depth=3
	v_dual_mov_b32 v15, v0 :: v_dual_mov_b32 v4, v124
	s_and_saveexec_b32 s13, s14
	s_cbranch_execnz .LBB8_2267
	s_branch .LBB8_2287
.LBB8_2247:                             ;   in Loop: Header=BB8_2090 Depth=3
	s_or_b32 exec_lo, exec_lo, s15
	s_delay_alu instid0(SALU_CYCLE_1)
	s_and_b32 s15, s40, exec_lo
.LBB8_2248:                             ;   in Loop: Header=BB8_2090 Depth=3
	s_or_b32 exec_lo, exec_lo, s13
	s_and_saveexec_b32 s13, s15
	s_cbranch_execz .LBB8_2250
; %bb.2249:                             ;   in Loop: Header=BB8_2090 Depth=3
	s_clause 0x3
	global_store_b128 v[90:91], v[8:11], off th:TH_STORE_NT
	global_store_b128 v[90:91], v[12:15], off offset:512 th:TH_STORE_NT
	global_store_b128 v[90:91], v[16:19], off offset:1024 th:TH_STORE_NT
	;; [unrolled: 1-line block ×3, first 2 shown]
.LBB8_2250:                             ;   in Loop: Header=BB8_2090 Depth=3
	s_wait_xcnt 0x0
	s_or_b32 exec_lo, exec_lo, s13
	v_lshlrev_b32_e32 v20, 11, v28
	s_mov_b32 s15, exec_lo
                                        ; implicit-def: $vgpr14
                                        ; implicit-def: $vgpr15
                                        ; implicit-def: $vgpr4
	s_delay_alu instid0(VALU_DEP_1)
	v_cmpx_ne_u32_e64 v73, v20
	s_cbranch_execz .LBB8_2266
; %bb.2251:                             ;   in Loop: Header=BB8_2090 Depth=3
	v_dual_lshlrev_b32 v4, 5, v29 :: v_dual_sub_nc_u32 v8, v73, v20
	s_mov_b32 s41, 0
	s_mov_b32 s40, exec_lo
	s_delay_alu instid0(VALU_DEP_1) | instskip(NEXT) | instid1(VALU_DEP_2)
	v_sub_nc_u32_e32 v4, v0, v4
	v_ashrrev_i32_e32 v10, 31, v8
	s_delay_alu instid0(VALU_DEP_2) | instskip(NEXT) | instid1(VALU_DEP_1)
	v_ashrrev_i32_e32 v5, 31, v4
	v_lshrrev_b32_e32 v5, 27, v5
	s_delay_alu instid0(VALU_DEP_1) | instskip(NEXT) | instid1(VALU_DEP_1)
	v_add_nc_u32_e32 v5, v4, v5
	v_and_b32_e32 v9, 0xffffffe0, v5
	v_ashrrev_i32_e32 v5, 5, v5
	s_delay_alu instid0(VALU_DEP_2) | instskip(NEXT) | instid1(VALU_DEP_1)
	v_dual_sub_nc_u32 v22, v4, v9 :: v_dual_lshrrev_b32 v4, 23, v10
	v_dual_lshlrev_b32 v9, 4, v22 :: v_dual_add_nc_u32 v4, v8, v4
	s_delay_alu instid0(VALU_DEP_1) | instskip(NEXT) | instid1(VALU_DEP_2)
	v_lshl_add_u32 v9, v5, 9, v9
	v_and_b32_e32 v21, 0xfffffe00, v4
	s_delay_alu instid0(VALU_DEP_1) | instskip(SKIP_1) | instid1(VALU_DEP_2)
	v_dual_add_nc_u32 v10, v9, v20 :: v_dual_sub_nc_u32 v23, v8, v21
	v_dual_ashrrev_i32 v4, 9, v4 :: v_dual_sub_nc_u32 v25, v8, v9
                                        ; implicit-def: $vgpr8_vgpr9
	v_ashrrev_i32_e32 v11, 31, v10
	s_delay_alu instid0(VALU_DEP_3) | instskip(NEXT) | instid1(VALU_DEP_2)
	v_cmp_lt_i32_e32 vcc_lo, 15, v23
	v_add_nc_u64_e32 v[16:17], v[10:11], v[88:89]
	s_delay_alu instid0(VALU_DEP_4) | instskip(NEXT) | instid1(VALU_DEP_1)
	v_add_co_ci_u32_e64 v4, null, 0, v4, vcc_lo
	v_sub_nc_u32_e32 v24, v4, v5
	v_cmpx_lt_i32_e32 15, v25
	s_cbranch_execz .LBB8_2261
; %bb.2252:                             ;   in Loop: Header=BB8_2090 Depth=3
	v_add_nc_u64_e32 v[18:19], v[10:11], v[78:79]
	s_mov_b32 s78, 0
                                        ; implicit-def: $sgpr77
                                        ; implicit-def: $vgpr8_vgpr9
	s_branch .LBB8_2254
.LBB8_2253:                             ;   in Loop: Header=BB8_2254 Depth=4
	s_or_b32 exec_lo, exec_lo, s13
	s_delay_alu instid0(VALU_DEP_1) | instskip(SKIP_3) | instid1(SALU_CYCLE_1)
	v_cmp_gt_i32_e64 s13, 16, v25
	s_or_b32 s41, s13, s41
	s_and_not1_b32 s13, s77, exec_lo
	s_and_b32 s77, s78, exec_lo
	s_or_b32 s77, s13, s77
	s_and_not1_b32 exec_lo, exec_lo, s41
	s_cbranch_execz .LBB8_2260
.LBB8_2254:                             ;   Parent Loop BB8_47 Depth=1
                                        ;     Parent Loop BB8_2087 Depth=2
                                        ;       Parent Loop BB8_2090 Depth=3
                                        ; =>      This Inner Loop Header: Depth=4
	global_load_b128 v[12:15], v[18:19], off th:TH_LOAD_NT
	s_wait_xcnt 0x0
	s_and_saveexec_b32 s13, s78
	s_cbranch_execz .LBB8_2256
; %bb.2255:                             ;   in Loop: Header=BB8_2254 Depth=4
	v_add_nc_u64_e32 v[4:5], v[16:17], v[40:41]
	global_store_b128 v[16:17], v[8:11], off th:TH_STORE_NT
	s_wait_xcnt 0x0
	v_mov_b64_e32 v[16:17], v[4:5]
.LBB8_2256:                             ;   in Loop: Header=BB8_2254 Depth=4
	s_or_b32 exec_lo, exec_lo, s13
	v_sub_nc_u32_e32 v25, v25, v122
	v_add_nc_u64_e32 v[18:19], v[18:19], v[40:41]
	s_delay_alu instid0(VALU_DEP_2)
	v_cmp_lt_i32_e64 s78, 15, v25
	s_and_saveexec_b32 s13, s78
	s_cbranch_execz .LBB8_2258
; %bb.2257:                             ;   in Loop: Header=BB8_2254 Depth=4
	global_load_b128 v[8:11], v[18:19], off th:TH_LOAD_NT
	s_wait_xcnt 0x0
	v_add_nc_u64_e32 v[18:19], 0x200, v[18:19]
.LBB8_2258:                             ;   in Loop: Header=BB8_2254 Depth=4
	s_or_b32 exec_lo, exec_lo, s13
	s_wait_loadcnt 0x0
	global_store_b128 v[16:17], v[12:15], off th:TH_STORE_NT
	s_wait_xcnt 0x0
	v_add_nc_u64_e32 v[16:17], 0x200, v[16:17]
	v_sub_nc_u32_e32 v24, v24, v84
	s_and_saveexec_b32 s13, s78
	s_cbranch_execz .LBB8_2253
; %bb.2259:                             ;   in Loop: Header=BB8_2254 Depth=4
	v_add_nc_u64_e32 v[18:19], v[18:19], v[112:113]
	s_delay_alu instid0(VALU_DEP_3)
	v_add_nc_u64_e32 v[16:17], v[16:17], v[112:113]
	v_dual_sub_nc_u32 v24, v24, v84 :: v_dual_sub_nc_u32 v25, v25, v122
	s_branch .LBB8_2253
.LBB8_2260:                             ;   in Loop: Header=BB8_2090 Depth=3
	s_or_b32 exec_lo, exec_lo, s41
	s_delay_alu instid0(SALU_CYCLE_1)
	s_and_b32 s41, s77, exec_lo
.LBB8_2261:                             ;   in Loop: Header=BB8_2090 Depth=3
	s_or_b32 exec_lo, exec_lo, s40
	s_and_saveexec_b32 s13, s41
	s_cbranch_execz .LBB8_2263
; %bb.2262:                             ;   in Loop: Header=BB8_2090 Depth=3
	global_store_b128 v[16:17], v[8:11], off th:TH_STORE_NT
.LBB8_2263:                             ;   in Loop: Header=BB8_2090 Depth=3
	s_wait_xcnt 0x0
	s_or_b32 exec_lo, exec_lo, s13
	v_and_b32_e32 v5, 14, v73
	s_mov_b32 s41, s14
	s_mov_b32 s40, exec_lo
                                        ; implicit-def: $vgpr14
                                        ; implicit-def: $vgpr15
                                        ; implicit-def: $vgpr4
	s_delay_alu instid0(VALU_DEP_1) | instskip(NEXT) | instid1(VALU_DEP_1)
	v_cndmask_b32_e32 v73, v23, v5, vcc_lo
	v_cmpx_ne_u32_e32 0, v73
	s_cbranch_execz .LBB8_2265
; %bb.2264:                             ;   in Loop: Header=BB8_2090 Depth=3
	v_cmp_lt_i32_e64 s13, 0, v24
	s_or_b32 s41, s14, exec_lo
	v_dual_sub_nc_u32 v5, v23, v5 :: v_dual_cndmask_b32 v4, 0, v84, s13
	s_delay_alu instid0(VALU_DEP_1) | instskip(NEXT) | instid1(VALU_DEP_1)
	v_dual_cndmask_b32 v5, 0, v5 :: v_dual_sub_nc_u32 v4, v4, v24
	v_add3_u32 v14, v21, v20, v5
	s_delay_alu instid0(VALU_DEP_2) | instskip(NEXT) | instid1(VALU_DEP_1)
	v_lshl_add_u32 v8, v4, 5, v22
	v_ashrrev_i32_e32 v4, 31, v8
	s_delay_alu instid0(VALU_DEP_1) | instskip(NEXT) | instid1(VALU_DEP_1)
	v_lshrrev_b32_e32 v4, 27, v4
	v_add_nc_u32_e32 v4, v8, v4
	s_delay_alu instid0(VALU_DEP_1) | instskip(NEXT) | instid1(VALU_DEP_1)
	v_and_b32_e32 v9, 0xffffffe0, v4
	v_dual_ashrrev_i32 v4, 5, v4 :: v_dual_sub_nc_u32 v15, v8, v9
.LBB8_2265:                             ;   in Loop: Header=BB8_2090 Depth=3
	s_or_b32 exec_lo, exec_lo, s40
	s_delay_alu instid0(SALU_CYCLE_1) | instskip(SKIP_1) | instid1(SALU_CYCLE_1)
	s_and_not1_b32 s13, s14, exec_lo
	s_and_b32 s14, s41, exec_lo
	s_or_b32 s14, s13, s14
.LBB8_2266:                             ;   in Loop: Header=BB8_2090 Depth=3
	s_or_b32 exec_lo, exec_lo, s15
	s_and_saveexec_b32 s13, s14
	s_cbranch_execz .LBB8_2287
.LBB8_2267:                             ;   in Loop: Header=BB8_2090 Depth=3
	s_delay_alu instid0(VALU_DEP_1) | instskip(SKIP_2) | instid1(VALU_DEP_1)
	v_dual_ashrrev_i32 v5, 31, v73 :: v_dual_lshlrev_b32 v8, 9, v4
	s_mov_b32 s15, 0
	s_mov_b32 s14, exec_lo
                                        ; implicit-def: $vgpr17
                                        ; implicit-def: $vgpr18
                                        ; implicit-def: $vgpr19
                                        ; implicit-def: $vgpr20
                                        ; implicit-def: $vgpr21
                                        ; implicit-def: $vgpr22
                                        ; implicit-def: $vgpr23
                                        ; implicit-def: $vgpr24
	v_dual_lshlrev_b32 v9, 1, v15 :: v_dual_lshrrev_b32 v5, 23, v5
	s_delay_alu instid0(VALU_DEP_1) | instskip(NEXT) | instid1(VALU_DEP_1)
	v_add3_u32 v10, v14, v9, v8
	v_dual_add_nc_u32 v5, v73, v5 :: v_dual_ashrrev_i32 v11, 31, v10
	s_delay_alu instid0(VALU_DEP_1) | instskip(NEXT) | instid1(VALU_DEP_2)
	v_ashrrev_i32_e32 v16, 9, v5
	v_add_nc_u64_e32 v[8:9], v[88:89], v[10:11]
	s_delay_alu instid0(VALU_DEP_2) | instskip(NEXT) | instid1(VALU_DEP_1)
	v_sub_nc_u32_e32 v25, v16, v4
	v_cmpx_lt_i32_e32 0, v25
	s_cbranch_execz .LBB8_2275
; %bb.2268:                             ;   in Loop: Header=BB8_2090 Depth=3
	v_add_nc_u64_e32 v[10:11], v[10:11], v[78:79]
	s_mov_b32 s41, 0
                                        ; implicit-def: $sgpr40
                                        ; implicit-def: $vgpr17
                                        ; implicit-def: $vgpr18
                                        ; implicit-def: $vgpr19
                                        ; implicit-def: $vgpr20
                                        ; implicit-def: $vgpr21
                                        ; implicit-def: $vgpr22
                                        ; implicit-def: $vgpr23
                                        ; implicit-def: $vgpr24
	s_branch .LBB8_2270
.LBB8_2269:                             ;   in Loop: Header=BB8_2270 Depth=4
	s_or_b32 exec_lo, exec_lo, s77
	s_delay_alu instid0(VALU_DEP_1) | instskip(NEXT) | instid1(VALU_DEP_3)
	v_sub_nc_u32_e32 v25, v4, v5
	v_add_nc_u64_e32 v[4:5], v[8:9], v[12:13]
	s_wait_loadcnt_dscnt 0x707
	flat_store_b16 v[8:9], v26 th:TH_STORE_NT
	s_wait_loadcnt_dscnt 0x607
	flat_store_b16 v[8:9], v27 offset:64 th:TH_STORE_NT
	s_wait_loadcnt_dscnt 0x507
	flat_store_b16 v[8:9], v28 offset:128 th:TH_STORE_NT
	s_wait_loadcnt_dscnt 0x407
	flat_store_b16 v[8:9], v29 offset:192 th:TH_STORE_NT
	s_wait_loadcnt_dscnt 0x307
	flat_store_b16 v[8:9], v32 offset:256 th:TH_STORE_NT
	s_wait_loadcnt_dscnt 0x207
	flat_store_b16 v[8:9], v33 offset:320 th:TH_STORE_NT
	s_wait_loadcnt_dscnt 0x107
	flat_store_b16 v[8:9], v34 offset:384 th:TH_STORE_NT
	s_wait_loadcnt_dscnt 0x7
	flat_store_b16 v[8:9], v35 offset:448 th:TH_STORE_NT
	v_add_nc_u64_e32 v[10:11], v[10:11], v[12:13]
	v_cmp_gt_i32_e32 vcc_lo, 1, v25
	s_wait_xcnt 0x0
	v_add_nc_u64_e32 v[8:9], 0x200, v[4:5]
	s_or_b32 s15, vcc_lo, s15
	s_and_not1_b32 s40, s40, exec_lo
	s_and_b32 s77, s41, exec_lo
	s_delay_alu instid0(SALU_CYCLE_1)
	s_or_b32 s40, s40, s77
	s_and_not1_b32 exec_lo, exec_lo, s15
	s_cbranch_execz .LBB8_2274
.LBB8_2270:                             ;   Parent Loop BB8_47 Depth=1
                                        ;     Parent Loop BB8_2087 Depth=2
                                        ;       Parent Loop BB8_2090 Depth=3
                                        ; =>      This Inner Loop Header: Depth=4
	s_clause 0x7
	flat_load_u16 v26, v[10:11] th:TH_LOAD_NT
	flat_load_u16 v27, v[10:11] offset:64 th:TH_LOAD_NT
	flat_load_u16 v28, v[10:11] offset:128 th:TH_LOAD_NT
	;; [unrolled: 1-line block ×7, first 2 shown]
	s_wait_xcnt 0x0
	s_and_saveexec_b32 s77, s41
	s_cbranch_execz .LBB8_2272
; %bb.2271:                             ;   in Loop: Header=BB8_2270 Depth=4
	s_clause 0x7
	flat_store_b16 v[8:9], v17 th:TH_STORE_NT
	flat_store_b16 v[8:9], v18 offset:64 th:TH_STORE_NT
	flat_store_b16 v[8:9], v19 offset:128 th:TH_STORE_NT
	;; [unrolled: 1-line block ×7, first 2 shown]
	s_wait_xcnt 0x0
	v_add_nc_u64_e32 v[8:9], v[8:9], v[40:41]
.LBB8_2272:                             ;   in Loop: Header=BB8_2270 Depth=4
	s_or_b32 exec_lo, exec_lo, s77
	v_dual_mov_b32 v5, 0 :: v_dual_sub_nc_u32 v4, v25, v84
	v_add_nc_u64_e32 v[10:11], v[10:11], v[40:41]
	v_mov_b64_e32 v[12:13], 0
	s_delay_alu instid0(VALU_DEP_3)
	v_cmp_lt_i32_e64 s41, 0, v4
	s_and_saveexec_b32 s77, s41
	s_cbranch_execz .LBB8_2269
; %bb.2273:                             ;   in Loop: Header=BB8_2270 Depth=4
	s_clause 0x7
	flat_load_u16 v17, v[10:11] th:TH_LOAD_NT
	flat_load_u16 v18, v[10:11] offset:64 th:TH_LOAD_NT
	flat_load_u16 v19, v[10:11] offset:128 th:TH_LOAD_NT
	;; [unrolled: 1-line block ×7, first 2 shown]
	s_wait_xcnt 0x0
	v_add_nc_u64_e32 v[10:11], 0x200, v[10:11]
	v_mov_b64_e32 v[12:13], v[112:113]
	v_mov_b32_e32 v5, v84
	s_branch .LBB8_2269
.LBB8_2274:                             ;   in Loop: Header=BB8_2090 Depth=3
	s_or_b32 exec_lo, exec_lo, s15
	s_delay_alu instid0(SALU_CYCLE_1)
	s_and_b32 s15, s40, exec_lo
.LBB8_2275:                             ;   in Loop: Header=BB8_2090 Depth=3
	s_or_b32 exec_lo, exec_lo, s14
	s_and_saveexec_b32 s14, s15
	s_cbranch_execz .LBB8_2277
; %bb.2276:                             ;   in Loop: Header=BB8_2090 Depth=3
	s_clause 0x7
	flat_store_b16 v[8:9], v17 th:TH_STORE_NT
	flat_store_b16 v[8:9], v18 offset:64 th:TH_STORE_NT
	flat_store_b16 v[8:9], v19 offset:128 th:TH_STORE_NT
	;; [unrolled: 1-line block ×7, first 2 shown]
.LBB8_2277:                             ;   in Loop: Header=BB8_2090 Depth=3
	s_wait_xcnt 0x0
	s_or_b32 exec_lo, exec_lo, s14
	v_lshlrev_b32_e32 v4, 9, v16
	s_delay_alu instid0(VALU_DEP_1)
	v_cmp_ne_u32_e32 vcc_lo, v73, v4
	s_and_b32 exec_lo, exec_lo, vcc_lo
	s_cbranch_execz .LBB8_2287
; %bb.2278:                             ;   in Loop: Header=BB8_2090 Depth=3
	v_lshlrev_b32_e32 v5, 5, v25
	s_delay_alu instid0(VALU_DEP_1) | instskip(NEXT) | instid1(VALU_DEP_1)
	v_sub_nc_u32_e32 v5, v15, v5
	v_ashrrev_i32_e32 v8, 31, v5
	s_delay_alu instid0(VALU_DEP_1) | instskip(NEXT) | instid1(VALU_DEP_1)
	v_lshrrev_b32_e32 v8, 27, v8
	v_add_nc_u32_e32 v8, v5, v8
	s_delay_alu instid0(VALU_DEP_1) | instskip(NEXT) | instid1(VALU_DEP_1)
	v_and_b32_e32 v9, 0x7fffffe0, v8
	v_dual_lshlrev_b32 v8, 1, v8 :: v_dual_sub_nc_u32 v5, v5, v9
	s_delay_alu instid0(VALU_DEP_1) | instskip(NEXT) | instid1(VALU_DEP_2)
	v_and_b32_e32 v8, 0xffffffc0, v8
	v_lshlrev_b32_e32 v5, 1, v5
	s_delay_alu instid0(VALU_DEP_1) | instskip(NEXT) | instid1(VALU_DEP_1)
	v_add3_u32 v4, v8, v5, v4
	v_sub_nc_u32_e32 v5, v73, v4
	s_delay_alu instid0(VALU_DEP_1)
	v_cmp_lt_i32_e32 vcc_lo, 1, v5
	s_and_b32 exec_lo, exec_lo, vcc_lo
	s_cbranch_execz .LBB8_2287
; %bb.2279:                             ;   in Loop: Header=BB8_2090 Depth=3
	v_add_nc_u32_e32 v10, v4, v14
	s_mov_b32 s40, 0
	s_mov_b32 s14, 0
                                        ; implicit-def: $sgpr15
                                        ; implicit-def: $vgpr4
	s_delay_alu instid0(VALU_DEP_1) | instskip(NEXT) | instid1(VALU_DEP_1)
	v_ashrrev_i32_e32 v11, 31, v10
	v_add_nc_u64_e32 v[8:9], v[88:89], v[10:11]
	v_add_nc_u64_e32 v[10:11], v[10:11], v[78:79]
	s_branch .LBB8_2281
.LBB8_2280:                             ;   in Loop: Header=BB8_2281 Depth=4
	s_or_b32 exec_lo, exec_lo, s41
	s_delay_alu instid0(VALU_DEP_1) | instskip(NEXT) | instid1(VALU_DEP_3)
	v_sub_nc_u32_e32 v5, v5, v15
	v_add_nc_u64_e32 v[16:17], v[8:9], v[12:13]
	s_wait_loadcnt_dscnt 0x0
	flat_store_b16 v[8:9], v14 th:TH_STORE_NT
	v_add_nc_u64_e32 v[10:11], v[10:11], v[12:13]
	v_cmp_gt_i32_e32 vcc_lo, 2, v5
	s_wait_xcnt 0x0
	v_add_nc_u64_e32 v[8:9], 64, v[16:17]
	s_or_b32 s14, vcc_lo, s14
	s_and_not1_b32 s15, s15, exec_lo
	s_and_b32 s41, s40, exec_lo
	s_delay_alu instid0(SALU_CYCLE_1)
	s_or_b32 s15, s15, s41
	s_and_not1_b32 exec_lo, exec_lo, s14
	s_cbranch_execz .LBB8_2285
.LBB8_2281:                             ;   Parent Loop BB8_47 Depth=1
                                        ;     Parent Loop BB8_2087 Depth=2
                                        ;       Parent Loop BB8_2090 Depth=3
                                        ; =>      This Inner Loop Header: Depth=4
	flat_load_u16 v14, v[10:11] th:TH_LOAD_NT
	s_wait_xcnt 0x0
	s_and_saveexec_b32 s41, s40
	s_cbranch_execz .LBB8_2283
; %bb.2282:                             ;   in Loop: Header=BB8_2281 Depth=4
	v_add_nc_u64_e32 v[12:13], v[8:9], v[44:45]
	flat_store_b16 v[8:9], v4 th:TH_STORE_NT
	s_wait_xcnt 0x0
	v_mov_b64_e32 v[8:9], v[12:13]
.LBB8_2283:                             ;   in Loop: Header=BB8_2281 Depth=4
	s_or_b32 exec_lo, exec_lo, s41
	v_dual_sub_nc_u32 v5, v5, v123 :: v_dual_mov_b32 v15, 0
	v_add_nc_u64_e32 v[10:11], v[10:11], v[44:45]
	v_mov_b64_e32 v[12:13], 0
	s_delay_alu instid0(VALU_DEP_3)
	v_cmp_lt_i32_e64 s40, 1, v5
	s_and_saveexec_b32 s41, s40
	s_cbranch_execz .LBB8_2280
; %bb.2284:                             ;   in Loop: Header=BB8_2281 Depth=4
	flat_load_u16 v4, v[10:11] th:TH_LOAD_NT
	s_wait_xcnt 0x0
	v_add_nc_u64_e32 v[10:11], 64, v[10:11]
	v_mov_b64_e32 v[12:13], v[114:115]
	v_mov_b32_e32 v15, v123
	s_branch .LBB8_2280
.LBB8_2285:                             ;   in Loop: Header=BB8_2090 Depth=3
	s_or_b32 exec_lo, exec_lo, s14
	s_delay_alu instid0(SALU_CYCLE_1)
	s_and_b32 exec_lo, exec_lo, s15
	s_cbranch_execz .LBB8_2287
; %bb.2286:                             ;   in Loop: Header=BB8_2090 Depth=3
	flat_store_b16 v[8:9], v4 th:TH_STORE_NT
.LBB8_2287:                             ;   in Loop: Header=BB8_2090 Depth=3
	s_wait_xcnt 0x0
	s_or_b32 exec_lo, exec_lo, s13
	v_cmp_lt_i32_e64 s13, 0, v2
	s_and_saveexec_b32 s14, s2
	s_cbranch_execz .LBB8_2173
.LBB8_2288:                             ;   in Loop: Header=BB8_2090 Depth=3
	s_and_saveexec_b32 s15, s3
	s_delay_alu instid0(SALU_CYCLE_1)
	s_xor_b32 s15, exec_lo, s15
	s_cbranch_execz .LBB8_2303
; %bb.2289:                             ;   in Loop: Header=BB8_2090 Depth=3
	s_and_saveexec_b32 s40, s6
	s_cbranch_execz .LBB8_2302
; %bb.2290:                             ;   in Loop: Header=BB8_2090 Depth=3
	s_mov_b32 s77, exec_lo
	s_mov_b32 s41, exec_lo
	v_mbcnt_lo_u32_b32 v2, s77, 0
	global_wb scope:SCOPE_DEV
	s_wait_storecnt 0x0
	s_wait_loadcnt_dscnt 0x0
	global_inv scope:SCOPE_DEV
	v_cmpx_eq_u32_e32 0, v2
	s_cbranch_execz .LBB8_2292
; %bb.2291:                             ;   in Loop: Header=BB8_2090 Depth=3
	s_bcnt1_i32_b32 s77, s77
	s_delay_alu instid0(SALU_CYCLE_1)
	v_mov_b32_e32 v2, s77
	s_wait_loadcnt 0x0
	ds_add_u64 v0, v[2:3]
	s_trap 2
.LBB8_2292:                             ;   in Loop: Header=BB8_2090 Depth=3
	s_or_b32 exec_lo, exec_lo, s41
	s_trap 2
	ds_load_b64 v[4:5], v0
	s_wait_dscnt 0x0
	v_add_nc_u64_e32 v[80:81], v[80:81], v[84:85]
	s_mov_b32 s41, exec_lo
	s_delay_alu instid0(VALU_DEP_1)
	v_cmpx_lt_u64_e64 v[4:5], v[80:81]
	s_cbranch_execz .LBB8_2301
; %bb.2293:                             ;   in Loop: Header=BB8_2090 Depth=3
	s_mov_b32 s77, 0
	s_mov_b32 s88, 0
                                        ; implicit-def: $sgpr78
                                        ; implicit-def: $sgpr79
	s_branch .LBB8_2295
.LBB8_2294:                             ;   in Loop: Header=BB8_2295 Depth=4
	s_or_b32 exec_lo, exec_lo, s90
	s_delay_alu instid0(SALU_CYCLE_1) | instskip(NEXT) | instid1(SALU_CYCLE_1)
	s_and_b32 s89, exec_lo, s91
	s_or_b32 s77, s89, s77
	s_and_not1_b32 s78, s78, exec_lo
	s_and_b32 s89, s79, exec_lo
	s_delay_alu instid0(SALU_CYCLE_1)
	s_or_b32 s78, s78, s89
	s_and_not1_b32 exec_lo, exec_lo, s77
	s_cbranch_execz .LBB8_2299
.LBB8_2295:                             ;   Parent Loop BB8_47 Depth=1
                                        ;     Parent Loop BB8_2087 Depth=2
                                        ;       Parent Loop BB8_2090 Depth=3
                                        ; =>      This Inner Loop Header: Depth=4
	s_add_co_i32 s88, s88, 1
	s_delay_alu instid0(SALU_CYCLE_1) | instskip(SKIP_1) | instid1(SALU_CYCLE_1)
	s_cmp_lg_u32 s88, 0x2710
	s_cselect_b32 s89, -1, 0
	s_and_b32 vcc_lo, exec_lo, s89
	s_cbranch_vccz .LBB8_2297
; %bb.2296:                             ;   in Loop: Header=BB8_2295 Depth=4
	s_mov_b32 s91, -1
	s_or_b32 s79, s79, exec_lo
	s_and_saveexec_b32 s90, s89
	s_cbranch_execz .LBB8_2294
	s_branch .LBB8_2298
.LBB8_2297:                             ;   in Loop: Header=BB8_2295 Depth=4
	s_trap 2
	ds_load_b64 v[4:5], v0
	s_and_not1_b32 s89, s89, exec_lo
	s_mov_b32 s88, 0
	s_wait_loadcnt_dscnt 0x0
	flat_load_b32 v2, v[4:5] scope:SCOPE_SYS
	s_wait_loadcnt_dscnt 0x0
	global_inv scope:SCOPE_SYS
	v_cmp_eq_u32_e32 vcc_lo, 0, v2
	s_and_b32 s90, vcc_lo, exec_lo
	s_delay_alu instid0(SALU_CYCLE_1)
	s_or_b32 s89, s89, s90
	s_mov_b32 s91, -1
	s_or_b32 s79, s79, exec_lo
	s_wait_xcnt 0x0
	s_and_saveexec_b32 s90, s89
	s_cbranch_execz .LBB8_2294
.LBB8_2298:                             ;   in Loop: Header=BB8_2295 Depth=4
	s_sleep 1
	s_trap 2
	ds_load_b64 v[4:5], v0
	s_wait_dscnt 0x0
	s_and_not1_b32 s79, s79, exec_lo
	v_cmp_ge_u64_e32 vcc_lo, v[4:5], v[80:81]
	s_or_not1_b32 s91, vcc_lo, exec_lo
	s_branch .LBB8_2294
.LBB8_2299:                             ;   in Loop: Header=BB8_2090 Depth=3
	s_or_b32 exec_lo, exec_lo, s77
	s_and_saveexec_b32 s77, s78
	s_delay_alu instid0(SALU_CYCLE_1)
	s_xor_b32 s77, exec_lo, s77
	s_cbranch_execz .LBB8_2301
; %bb.2300:                             ;   in Loop: Header=BB8_2090 Depth=3
	ds_store_b32 v0, v111
	s_trap 2
.LBB8_2301:                             ;   in Loop: Header=BB8_2090 Depth=3
	s_or_b32 exec_lo, exec_lo, s41
	;;#ASMSTART
	s_wakeup
	;;#ASMEND
.LBB8_2302:                             ;   in Loop: Header=BB8_2090 Depth=3
	s_or_b32 exec_lo, exec_lo, s40
.LBB8_2303:                             ;   in Loop: Header=BB8_2090 Depth=3
	s_and_not1_saveexec_b32 s15, s15
	s_cbranch_execz .LBB8_2305
; %bb.2304:                             ;   in Loop: Header=BB8_2090 Depth=3
	global_wb scope:SCOPE_DEV
	s_wait_storecnt 0x0
	s_wait_loadcnt_dscnt 0x0
	global_inv scope:SCOPE_DEV
	s_barrier_signal -1
	s_barrier_wait -1
.LBB8_2305:                             ;   in Loop: Header=BB8_2090 Depth=3
	s_or_b32 exec_lo, exec_lo, s15
	s_delay_alu instid0(SALU_CYCLE_1) | instskip(SKIP_1) | instid1(SALU_CYCLE_1)
	s_or_b32 exec_lo, exec_lo, s14
                                        ; implicit-def: $vgpr2
	s_and_saveexec_b32 s14, s10
	s_xor_b32 s14, exec_lo, s14
	s_cbranch_execnz .LBB8_2174
.LBB8_2306:                             ;   in Loop: Header=BB8_2090 Depth=3
	s_and_not1_saveexec_b32 s13, s14
	s_cbranch_execz .LBB8_2325
.LBB8_2307:                             ;   in Loop: Header=BB8_2090 Depth=3
	s_and_saveexec_b32 s14, s3
	s_delay_alu instid0(SALU_CYCLE_1)
	s_xor_b32 s14, exec_lo, s14
	s_cbranch_execz .LBB8_2322
; %bb.2308:                             ;   in Loop: Header=BB8_2090 Depth=3
	s_and_saveexec_b32 s15, s6
	s_cbranch_execz .LBB8_2321
; %bb.2309:                             ;   in Loop: Header=BB8_2090 Depth=3
	s_mov_b32 s41, exec_lo
	s_mov_b32 s40, exec_lo
	v_mbcnt_lo_u32_b32 v2, s41, 0
	;;#ASMSTART
	s_waitcnt lgkmcnt(0) vmcnt(0)
	;;#ASMEND
	s_delay_alu instid0(VALU_DEP_1)
	v_cmpx_eq_u32_e32 0, v2
	s_cbranch_execz .LBB8_2311
; %bb.2310:                             ;   in Loop: Header=BB8_2090 Depth=3
	s_bcnt1_i32_b32 s41, s41
	s_delay_alu instid0(SALU_CYCLE_1)
	v_mov_b32_e32 v2, s41
	s_wait_storecnt 0x0
	s_wait_loadcnt_dscnt 0x0
	ds_add_u64 v0, v[2:3]
	s_trap 2
.LBB8_2311:                             ;   in Loop: Header=BB8_2090 Depth=3
	s_or_b32 exec_lo, exec_lo, s40
	s_trap 2
	ds_load_b64 v[4:5], v0
	s_wait_dscnt 0x0
	v_add_nc_u64_e32 v[80:81], v[80:81], v[84:85]
	s_mov_b32 s40, exec_lo
	s_delay_alu instid0(VALU_DEP_1)
	v_cmpx_lt_u64_e64 v[4:5], v[80:81]
	s_cbranch_execz .LBB8_2320
; %bb.2312:                             ;   in Loop: Header=BB8_2090 Depth=3
	s_mov_b32 s41, 0
	s_mov_b32 s79, 0
                                        ; implicit-def: $sgpr77
                                        ; implicit-def: $sgpr78
	s_branch .LBB8_2314
.LBB8_2313:                             ;   in Loop: Header=BB8_2314 Depth=4
	s_or_b32 exec_lo, exec_lo, s89
	s_delay_alu instid0(SALU_CYCLE_1) | instskip(NEXT) | instid1(SALU_CYCLE_1)
	s_and_b32 s88, exec_lo, s90
	s_or_b32 s41, s88, s41
	s_and_not1_b32 s77, s77, exec_lo
	s_and_b32 s88, s78, exec_lo
	s_delay_alu instid0(SALU_CYCLE_1)
	s_or_b32 s77, s77, s88
	s_and_not1_b32 exec_lo, exec_lo, s41
	s_cbranch_execz .LBB8_2318
.LBB8_2314:                             ;   Parent Loop BB8_47 Depth=1
                                        ;     Parent Loop BB8_2087 Depth=2
                                        ;       Parent Loop BB8_2090 Depth=3
                                        ; =>      This Inner Loop Header: Depth=4
	s_add_co_i32 s79, s79, 1
	s_delay_alu instid0(SALU_CYCLE_1) | instskip(SKIP_1) | instid1(SALU_CYCLE_1)
	s_cmp_lg_u32 s79, 0x2710
	s_cselect_b32 s88, -1, 0
	s_and_b32 vcc_lo, exec_lo, s88
	s_cbranch_vccz .LBB8_2316
; %bb.2315:                             ;   in Loop: Header=BB8_2314 Depth=4
	s_mov_b32 s90, -1
	s_or_b32 s78, s78, exec_lo
	s_and_saveexec_b32 s89, s88
	s_cbranch_execz .LBB8_2313
	s_branch .LBB8_2317
.LBB8_2316:                             ;   in Loop: Header=BB8_2314 Depth=4
	s_trap 2
	ds_load_b64 v[4:5], v0
	s_and_not1_b32 s88, s88, exec_lo
	s_mov_b32 s79, 0
	s_wait_storecnt 0x0
	s_wait_loadcnt_dscnt 0x0
	flat_load_b32 v2, v[4:5] scope:SCOPE_SYS
	s_wait_loadcnt_dscnt 0x0
	global_inv scope:SCOPE_SYS
	v_cmp_eq_u32_e32 vcc_lo, 0, v2
	s_and_b32 s89, vcc_lo, exec_lo
	s_delay_alu instid0(SALU_CYCLE_1)
	s_or_b32 s88, s88, s89
	s_mov_b32 s90, -1
	s_or_b32 s78, s78, exec_lo
	s_wait_xcnt 0x0
	s_and_saveexec_b32 s89, s88
	s_cbranch_execz .LBB8_2313
.LBB8_2317:                             ;   in Loop: Header=BB8_2314 Depth=4
	s_sleep 1
	s_trap 2
	ds_load_b64 v[4:5], v0
	s_wait_dscnt 0x0
	s_and_not1_b32 s78, s78, exec_lo
	v_cmp_ge_u64_e32 vcc_lo, v[4:5], v[80:81]
	s_or_not1_b32 s90, vcc_lo, exec_lo
	s_branch .LBB8_2313
.LBB8_2318:                             ;   in Loop: Header=BB8_2090 Depth=3
	s_or_b32 exec_lo, exec_lo, s41
	s_and_saveexec_b32 s41, s77
	s_delay_alu instid0(SALU_CYCLE_1)
	s_xor_b32 s41, exec_lo, s41
	s_cbranch_execz .LBB8_2320
; %bb.2319:                             ;   in Loop: Header=BB8_2090 Depth=3
	ds_store_b32 v0, v111
	s_trap 2
.LBB8_2320:                             ;   in Loop: Header=BB8_2090 Depth=3
	s_or_b32 exec_lo, exec_lo, s40
	;;#ASMSTART
	s_wakeup
	;;#ASMEND
.LBB8_2321:                             ;   in Loop: Header=BB8_2090 Depth=3
	s_or_b32 exec_lo, exec_lo, s15
.LBB8_2322:                             ;   in Loop: Header=BB8_2090 Depth=3
	s_and_not1_saveexec_b32 s14, s14
	s_cbranch_execz .LBB8_2324
; %bb.2323:                             ;   in Loop: Header=BB8_2090 Depth=3
	;;#ASMSTART
	s_waitcnt lgkmcnt(0) vmcnt(0)
	;;#ASMEND
	s_barrier_signal -1
	s_barrier_wait -1
.LBB8_2324:                             ;   in Loop: Header=BB8_2090 Depth=3
	s_or_b32 exec_lo, exec_lo, s14
	v_and_b32_e32 v2, 16, v30
.LBB8_2325:                             ;   in Loop: Header=BB8_2090 Depth=3
	s_or_b32 exec_lo, exec_lo, s13
	s_delay_alu instid0(VALU_DEP_1) | instskip(SKIP_1) | instid1(SALU_CYCLE_1)
	v_cmp_ne_u32_e32 vcc_lo, 0, v2
	s_xor_b32 s13, s4, -1
	s_and_b32 s14, vcc_lo, s13
	s_delay_alu instid0(SALU_CYCLE_1)
	s_and_saveexec_b32 s13, s14
	s_cbranch_execz .LBB8_2327
; %bb.2326:                             ;   in Loop: Header=BB8_2090 Depth=3
	global_wb scope:SCOPE_SYS
	s_wait_storecnt 0x0
	s_wait_loadcnt_dscnt 0x0
	flat_store_b32 v[70:71], v111 scope:SCOPE_SYS
.LBB8_2327:                             ;   in Loop: Header=BB8_2090 Depth=3
	s_wait_xcnt 0x0
	s_or_b32 exec_lo, exec_lo, s13
	v_and_b32_e32 v2, 48, v30
	s_mov_b32 s13, exec_lo
	s_delay_alu instid0(VALU_DEP_1)
	v_cmpx_ne_u32_e32 0, v2
	s_cbranch_execz .LBB8_2089
; %bb.2328:                             ;   in Loop: Header=BB8_2090 Depth=3
	v_add_nc_u64_e32 v[58:59], 2, v[58:59]
	global_wb scope:SCOPE_SYS
	s_wait_storecnt 0x0
	s_wait_loadcnt_dscnt 0x0
	flat_store_b64 v[64:65], v[58:59] scope:SCOPE_SYS
	s_branch .LBB8_2089
.LBB8_2329:                             ;   in Loop: Header=BB8_2087 Depth=2
	s_or_b32 exec_lo, exec_lo, s74
.LBB8_2330:                             ;   in Loop: Header=BB8_2087 Depth=2
	s_delay_alu instid0(SALU_CYCLE_1) | instskip(NEXT) | instid1(SALU_CYCLE_1)
	s_or_b32 exec_lo, exec_lo, s27
	s_mov_b32 s14, exec_lo
	v_cmpx_gt_i32_e32 2, v2
	s_cbranch_execz .LBB8_2406
; %bb.2331:                             ;   in Loop: Header=BB8_2087 Depth=2
	v_cmp_eq_u32_e64 s27, 0, v2
	s_mov_b32 s15, 0
	s_branch .LBB8_2333
.LBB8_2332:                             ;   in Loop: Header=BB8_2333 Depth=3
	s_wait_xcnt 0x0
	s_or_b32 exec_lo, exec_lo, s13
	v_add_nc_u32_e32 v74, v72, v74
	s_mov_b32 s27, 0
	s_and_not1_b32 exec_lo, exec_lo, s15
	s_cbranch_execz .LBB8_2405
.LBB8_2333:                             ;   Parent Loop BB8_47 Depth=1
                                        ;     Parent Loop BB8_2087 Depth=2
                                        ; =>    This Loop Header: Depth=3
                                        ;         Child Loop BB8_2339 Depth 4
                                        ;         Child Loop BB8_2367 Depth 4
	;; [unrolled: 1-line block ×3, first 2 shown]
	s_delay_alu instid0(VALU_DEP_1) | instskip(SKIP_2) | instid1(VALU_DEP_2)
	v_sub_nc_u32_e32 v2, v104, v74
	v_and_b32_e32 v4, 12, v30
	s_mov_b32 s40, exec_lo
	v_min_i32_e32 v72, v72, v2
	s_delay_alu instid0(VALU_DEP_2)
	v_cmpx_ne_u32_e32 0, v4
	s_cbranch_execz .LBB8_2359
; %bb.2334:                             ;   in Loop: Header=BB8_2333 Depth=3
	v_and_b32_e32 v2, 8, v30
	v_add_nc_u64_e32 v[8:9], 2, v[58:59]
	s_mov_b32 s41, exec_lo
	s_wait_loadcnt_dscnt 0x1
	s_delay_alu instid0(VALU_DEP_2) | instskip(NEXT) | instid1(VALU_DEP_1)
	v_add_nc_u64_e32 v[4:5], v[82:83], v[2:3]
	v_cmpx_lt_u64_e64 v[4:5], v[8:9]
	s_cbranch_execz .LBB8_2346
; %bb.2335:                             ;   in Loop: Header=BB8_2333 Depth=3
	v_and_b32_e32 v4, 64, v30
	s_mov_b32 s74, 0
	s_mov_b32 s78, 0
                                        ; implicit-def: $sgpr75
                                        ; implicit-def: $sgpr76
                                        ; implicit-def: $sgpr77
	s_delay_alu instid0(VALU_DEP_1)
	v_cmp_eq_u32_e32 vcc_lo, 0, v4
	s_branch .LBB8_2339
.LBB8_2336:                             ;   in Loop: Header=BB8_2339 Depth=4
	s_wait_loadcnt_dscnt 0x0
	v_add_nc_u64_e32 v[4:5], v[82:83], v[2:3]
	s_or_b32 s89, s89, exec_lo
	s_delay_alu instid0(VALU_DEP_1)
	v_cmp_ge_u64_e64 s13, v[4:5], v[8:9]
	s_or_not1_b32 s88, s13, exec_lo
.LBB8_2337:                             ;   in Loop: Header=BB8_2339 Depth=4
	s_or_b32 exec_lo, exec_lo, s91
	s_delay_alu instid0(SALU_CYCLE_1)
	s_and_not1_b32 s13, s77, exec_lo
	s_and_b32 s77, s89, exec_lo
	s_and_not1_b32 s76, s76, exec_lo
	s_and_b32 s88, s88, exec_lo
	s_or_b32 s77, s13, s77
	s_or_b32 s76, s76, s88
.LBB8_2338:                             ;   in Loop: Header=BB8_2339 Depth=4
	s_or_b32 exec_lo, exec_lo, s79
	s_delay_alu instid0(SALU_CYCLE_1) | instskip(NEXT) | instid1(SALU_CYCLE_1)
	s_and_b32 s13, exec_lo, s76
	s_or_b32 s74, s13, s74
	s_and_not1_b32 s13, s75, exec_lo
	s_and_b32 s75, s77, exec_lo
	s_delay_alu instid0(SALU_CYCLE_1)
	s_or_b32 s75, s13, s75
	s_and_not1_b32 exec_lo, exec_lo, s74
	s_cbranch_execz .LBB8_2343
.LBB8_2339:                             ;   Parent Loop BB8_47 Depth=1
                                        ;     Parent Loop BB8_2087 Depth=2
                                        ;       Parent Loop BB8_2333 Depth=3
                                        ; =>      This Inner Loop Header: Depth=4
	s_sleep 1
	s_wait_loadcnt_dscnt 0x0
	flat_load_b64 v[82:83], v[64:65] scope:SCOPE_SYS
	s_or_b32 s77, s77, exec_lo
	s_or_b32 s76, s76, exec_lo
                                        ; implicit-def: $vgpr10
	s_wait_xcnt 0x0
	s_and_saveexec_b32 s79, vcc_lo
	s_cbranch_execz .LBB8_2338
; %bb.2340:                             ;   in Loop: Header=BB8_2339 Depth=4
	s_cmp_lt_i32 s78, 0x270f
	s_mov_b32 s88, -1
	s_cselect_b32 s90, -1, 0
	s_cmp_gt_i32 s78, 0x270e
	s_cbranch_scc0 .LBB8_2342
; %bb.2341:                             ;   in Loop: Header=BB8_2339 Depth=4
	s_trap 2
	ds_load_b64 v[4:5], v0
	s_and_not1_b32 s78, s90, exec_lo
	s_mov_b32 s89, 0
	s_wait_storecnt 0x0
	s_wait_loadcnt_dscnt 0x0
	flat_load_b32 v10, v[4:5] scope:SCOPE_SYS
	s_wait_loadcnt_dscnt 0x0
	global_inv scope:SCOPE_SYS
	v_cmp_eq_u32_e64 s13, 0, v10
	s_and_b32 s13, s13, exec_lo
	s_delay_alu instid0(SALU_CYCLE_1)
	s_or_b32 s90, s78, s13
	s_mov_b32 s78, 0
	s_wait_xcnt 0x0
	s_and_saveexec_b32 s91, s90
	s_cbranch_execz .LBB8_2337
	s_branch .LBB8_2336
.LBB8_2342:                             ;   in Loop: Header=BB8_2339 Depth=4
	s_add_co_i32 s78, s78, 1
	s_mov_b32 s89, -1
                                        ; implicit-def: $vgpr10
	s_and_saveexec_b32 s91, s90
	s_cbranch_execz .LBB8_2337
	s_branch .LBB8_2336
.LBB8_2343:                             ;   in Loop: Header=BB8_2333 Depth=3
	s_or_b32 exec_lo, exec_lo, s74
	s_xor_b32 s13, s75, -1
	s_delay_alu instid0(SALU_CYCLE_1) | instskip(NEXT) | instid1(SALU_CYCLE_1)
	s_and_saveexec_b32 s74, s13
	s_xor_b32 s13, exec_lo, s74
	s_cbranch_execz .LBB8_2345
; %bb.2344:                             ;   in Loop: Header=BB8_2333 Depth=3
	v_or_b32_e32 v30, 64, v30
	s_wait_storecnt 0x0
	s_wait_loadcnt_dscnt 0x0
	ds_store_b32 v0, v10
	s_trap 2
.LBB8_2345:                             ;   in Loop: Header=BB8_2333 Depth=3
	s_or_b32 exec_lo, exec_lo, s13
.LBB8_2346:                             ;   in Loop: Header=BB8_2333 Depth=3
	s_delay_alu instid0(SALU_CYCLE_1) | instskip(SKIP_3) | instid1(VALU_DEP_1)
	s_or_b32 exec_lo, exec_lo, s41
	v_and_b32_e32 v4, 0x108, v30
	s_mov_b32 s13, exec_lo
	;;#ASMSTART
	s_wakeup
	;;#ASMEND
                                        ; implicit-def: $vgpr10_vgpr11
	v_cmpx_ne_u32_e32 0x108, v4
	s_xor_b32 s13, exec_lo, s13
; %bb.2347:                             ;   in Loop: Header=BB8_2333 Depth=3
	v_dual_mov_b32 v11, v3 :: v_dual_bitop2_b32 v10, 7, v58 bitop3:0x40
                                        ; implicit-def: $vgpr58_vgpr59
; %bb.2348:                             ;   in Loop: Header=BB8_2333 Depth=3
	s_and_not1_saveexec_b32 s13, s13
	s_cbranch_execz .LBB8_2350
; %bb.2349:                             ;   in Loop: Header=BB8_2333 Depth=3
	v_dual_ashrrev_i32 v73, 31, v72 :: v_dual_bitop2_b32 v10, 7, v58 bitop3:0x40
	v_mov_b32_e32 v11, v3
	s_delay_alu instid0(VALU_DEP_2) | instskip(NEXT) | instid1(VALU_DEP_3)
	v_mad_nc_u64_u32 v[4:5], v10, 24, v[6:7]
	v_lshlrev_b64_e32 v[12:13], 1, v[72:73]
	flat_store_b64 v[4:5], v[12:13] offset:8
.LBB8_2350:                             ;   in Loop: Header=BB8_2333 Depth=3
	s_wait_xcnt 0x0
	s_or_b32 exec_lo, exec_lo, s13
	v_and_b32_e32 v4, 0x100, v30
	s_mov_b32 s13, -1
	s_mov_b32 s41, exec_lo
                                        ; implicit-def: $vgpr12_vgpr13
	s_delay_alu instid0(VALU_DEP_1)
	v_cmpx_ne_u32_e32 0, v4
	s_cbranch_execz .LBB8_2354
; %bb.2351:                             ;   in Loop: Header=BB8_2333 Depth=3
	v_mad_nc_u64_u32 v[14:15], v10, 24, v[6:7]
	s_mov_b32 s74, exec_lo
                                        ; implicit-def: $vgpr12_vgpr13
	s_delay_alu instid0(VALU_DEP_1)
	v_mad_u32 v15, v11, 24, v15
	flat_load_b32 v4, v[14:15]
	s_wait_loadcnt_dscnt 0x0
	v_cmp_ne_u32_e32 vcc_lo, 1, v4
	s_wait_xcnt 0x0
	v_cmpx_eq_u32_e32 1, v4
	s_cbranch_execz .LBB8_2353
; %bb.2352:                             ;   in Loop: Header=BB8_2333 Depth=3
	flat_load_b32 v4, v[14:15] offset:4 scope:SCOPE_SYS
	s_wait_loadcnt_dscnt 0x0
	v_ashrrev_i32_e32 v5, 31, v4
	s_delay_alu instid0(VALU_DEP_1)
	v_lshrrev_b64 v[12:13], 1, v[4:5]
.LBB8_2353:                             ;   in Loop: Header=BB8_2333 Depth=3
	s_wait_xcnt 0x0
	s_or_b32 exec_lo, exec_lo, s74
	s_delay_alu instid0(SALU_CYCLE_1)
	s_or_not1_b32 s13, vcc_lo, exec_lo
.LBB8_2354:                             ;   in Loop: Header=BB8_2333 Depth=3
	s_or_b32 exec_lo, exec_lo, s41
	s_and_saveexec_b32 s41, s13
; %bb.2355:                             ;   in Loop: Header=BB8_2333 Depth=3
	v_mul_u64_e32 v[12:13], v[10:11], v[66:67]
; %bb.2356:                             ;   in Loop: Header=BB8_2333 Depth=3
	s_or_b32 exec_lo, exec_lo, s41
	v_cmp_eq_u32_e32 vcc_lo, 0, v2
	v_and_b32_e32 v10, 0x2000, v30
	s_delay_alu instid0(VALU_DEP_3) | instskip(SKIP_2) | instid1(VALU_DEP_1)
	v_lshl_add_u64 v[4:5], v[12:13], 1, v[68:69]
	s_mov_b32 s13, exec_lo
	v_cndmask_b32_e32 v2, 0xd0, v121, vcc_lo
	v_add_nc_u32_e32 v2, v0, v2
	ds_store_b64 v2, v[4:5] offset:584
	v_cmpx_ne_u32_e32 0, v10
	s_cbranch_execz .LBB8_2358
; %bb.2357:                             ;   in Loop: Header=BB8_2333 Depth=3
	ds_load_b64 v[4:5], v0 offset:872
	s_wait_dscnt 0x0
	v_add_nc_u64_e32 v[4:5], 1, v[4:5]
	ds_store_b64 v0, v[4:5] offset:872
.LBB8_2358:                             ;   in Loop: Header=BB8_2333 Depth=3
	s_or_b32 exec_lo, exec_lo, s13
	v_mov_b64_e32 v[58:59], v[8:9]
.LBB8_2359:                             ;   in Loop: Header=BB8_2333 Depth=3
	s_or_b32 exec_lo, exec_lo, s40
	s_xor_b32 s13, s27, -1
	s_delay_alu instid0(SALU_CYCLE_1) | instskip(NEXT) | instid1(SALU_CYCLE_1)
	s_and_b32 s13, exec_lo, s13
	s_or_b32 s15, s13, s15
	s_and_saveexec_b32 s13, s2
	s_cbranch_execz .LBB8_2378
; %bb.2360:                             ;   in Loop: Header=BB8_2333 Depth=3
	s_and_saveexec_b32 s27, s3
	s_delay_alu instid0(SALU_CYCLE_1)
	s_xor_b32 s27, exec_lo, s27
	s_cbranch_execz .LBB8_2375
; %bb.2361:                             ;   in Loop: Header=BB8_2333 Depth=3
	s_and_saveexec_b32 s40, s6
	s_cbranch_execz .LBB8_2374
; %bb.2362:                             ;   in Loop: Header=BB8_2333 Depth=3
	s_mov_b32 s74, exec_lo
	s_mov_b32 s41, exec_lo
	v_mbcnt_lo_u32_b32 v2, s74, 0
	global_wb scope:SCOPE_DEV
	s_wait_storecnt 0x0
	s_wait_loadcnt_dscnt 0x0
	global_inv scope:SCOPE_DEV
	v_cmpx_eq_u32_e32 0, v2
	s_cbranch_execz .LBB8_2364
; %bb.2363:                             ;   in Loop: Header=BB8_2333 Depth=3
	s_bcnt1_i32_b32 s74, s74
	s_delay_alu instid0(SALU_CYCLE_1)
	v_mov_b32_e32 v2, s74
	s_wait_loadcnt 0x0
	ds_add_u64 v0, v[2:3]
	s_trap 2
.LBB8_2364:                             ;   in Loop: Header=BB8_2333 Depth=3
	s_or_b32 exec_lo, exec_lo, s41
	s_trap 2
	ds_load_b64 v[4:5], v0
	s_wait_dscnt 0x0
	v_add_nc_u64_e32 v[80:81], v[80:81], v[84:85]
	s_mov_b32 s41, exec_lo
	s_delay_alu instid0(VALU_DEP_1)
	v_cmpx_lt_u64_e64 v[4:5], v[80:81]
	s_cbranch_execz .LBB8_2373
; %bb.2365:                             ;   in Loop: Header=BB8_2333 Depth=3
	s_mov_b32 s74, 0
	s_mov_b32 s77, 0
                                        ; implicit-def: $sgpr75
                                        ; implicit-def: $sgpr76
	s_branch .LBB8_2367
.LBB8_2366:                             ;   in Loop: Header=BB8_2367 Depth=4
	s_or_b32 exec_lo, exec_lo, s79
	s_delay_alu instid0(SALU_CYCLE_1) | instskip(NEXT) | instid1(SALU_CYCLE_1)
	s_and_b32 s78, exec_lo, s88
	s_or_b32 s74, s78, s74
	s_and_not1_b32 s75, s75, exec_lo
	s_and_b32 s78, s76, exec_lo
	s_delay_alu instid0(SALU_CYCLE_1)
	s_or_b32 s75, s75, s78
	s_and_not1_b32 exec_lo, exec_lo, s74
	s_cbranch_execz .LBB8_2371
.LBB8_2367:                             ;   Parent Loop BB8_47 Depth=1
                                        ;     Parent Loop BB8_2087 Depth=2
                                        ;       Parent Loop BB8_2333 Depth=3
                                        ; =>      This Inner Loop Header: Depth=4
	s_add_co_i32 s77, s77, 1
	s_delay_alu instid0(SALU_CYCLE_1) | instskip(SKIP_1) | instid1(SALU_CYCLE_1)
	s_cmp_lg_u32 s77, 0x2710
	s_cselect_b32 s78, -1, 0
	s_and_b32 vcc_lo, exec_lo, s78
	s_cbranch_vccz .LBB8_2369
; %bb.2368:                             ;   in Loop: Header=BB8_2367 Depth=4
	s_mov_b32 s88, -1
	s_or_b32 s76, s76, exec_lo
	s_and_saveexec_b32 s79, s78
	s_cbranch_execz .LBB8_2366
	s_branch .LBB8_2370
.LBB8_2369:                             ;   in Loop: Header=BB8_2367 Depth=4
	s_trap 2
	ds_load_b64 v[4:5], v0
	s_and_not1_b32 s78, s78, exec_lo
	s_mov_b32 s77, 0
	s_wait_loadcnt_dscnt 0x0
	flat_load_b32 v2, v[4:5] scope:SCOPE_SYS
	s_wait_loadcnt_dscnt 0x0
	global_inv scope:SCOPE_SYS
	v_cmp_eq_u32_e32 vcc_lo, 0, v2
	s_and_b32 s79, vcc_lo, exec_lo
	s_delay_alu instid0(SALU_CYCLE_1)
	s_or_b32 s78, s78, s79
	s_mov_b32 s88, -1
	s_or_b32 s76, s76, exec_lo
	s_wait_xcnt 0x0
	s_and_saveexec_b32 s79, s78
	s_cbranch_execz .LBB8_2366
.LBB8_2370:                             ;   in Loop: Header=BB8_2367 Depth=4
	s_sleep 1
	s_trap 2
	ds_load_b64 v[4:5], v0
	s_wait_dscnt 0x0
	s_and_not1_b32 s76, s76, exec_lo
	v_cmp_ge_u64_e32 vcc_lo, v[4:5], v[80:81]
	s_or_not1_b32 s88, vcc_lo, exec_lo
	s_branch .LBB8_2366
.LBB8_2371:                             ;   in Loop: Header=BB8_2333 Depth=3
	s_or_b32 exec_lo, exec_lo, s74
	s_and_saveexec_b32 s74, s75
	s_delay_alu instid0(SALU_CYCLE_1)
	s_xor_b32 s74, exec_lo, s74
	s_cbranch_execz .LBB8_2373
; %bb.2372:                             ;   in Loop: Header=BB8_2333 Depth=3
	ds_store_b32 v0, v111
	s_trap 2
.LBB8_2373:                             ;   in Loop: Header=BB8_2333 Depth=3
	s_or_b32 exec_lo, exec_lo, s41
	;;#ASMSTART
	s_wakeup
	;;#ASMEND
.LBB8_2374:                             ;   in Loop: Header=BB8_2333 Depth=3
	s_or_b32 exec_lo, exec_lo, s40
.LBB8_2375:                             ;   in Loop: Header=BB8_2333 Depth=3
	s_and_not1_saveexec_b32 s27, s27
	s_cbranch_execz .LBB8_2377
; %bb.2376:                             ;   in Loop: Header=BB8_2333 Depth=3
	global_wb scope:SCOPE_DEV
	s_wait_storecnt 0x0
	s_wait_loadcnt_dscnt 0x0
	global_inv scope:SCOPE_DEV
	s_barrier_signal -1
	s_barrier_wait -1
.LBB8_2377:                             ;   in Loop: Header=BB8_2333 Depth=3
	s_or_b32 exec_lo, exec_lo, s27
.LBB8_2378:                             ;   in Loop: Header=BB8_2333 Depth=3
	s_delay_alu instid0(SALU_CYCLE_1) | instskip(SKIP_1) | instid1(SALU_CYCLE_1)
	s_or_b32 exec_lo, exec_lo, s13
                                        ; implicit-def: $vgpr2
	s_and_saveexec_b32 s13, s10
	s_xor_b32 s27, exec_lo, s13
	s_cbranch_execz .LBB8_2382
; %bb.2379:                             ;   in Loop: Header=BB8_2333 Depth=3
	s_trap 2
	ds_load_b32 v2, v0
	v_cmp_lt_i32_e32 vcc_lo, 0, v72
	s_wait_dscnt 0x0
	v_readfirstlane_b32 s13, v2
	v_and_b32_e32 v2, 16, v30
	s_cmp_eq_u32 s13, 0
	s_delay_alu instid0(VALU_DEP_1) | instskip(SKIP_3) | instid1(SALU_CYCLE_1)
	v_cmp_ne_u32_e64 s13, 0, v2
	s_cselect_b32 s40, -1, 0
	v_and_b32_e32 v2, 16, v30
	s_and_b32 s40, vcc_lo, s40
	s_and_b32 s40, s13, s40
	s_delay_alu instid0(SALU_CYCLE_1)
	s_and_saveexec_b32 s13, s40
	s_cbranch_execz .LBB8_2381
; %bb.2380:                             ;   in Loop: Header=BB8_2333 Depth=3
	v_mov_b32_e32 v2, 1
	global_wb scope:SCOPE_SYS
	s_wait_loadcnt 0x0
	s_wait_storecnt 0x0
	global_inv scope:SCOPE_SYS
.LBB8_2381:                             ;   in Loop: Header=BB8_2333 Depth=3
	s_or_b32 exec_lo, exec_lo, s13
	s_and_not1_saveexec_b32 s13, s27
	s_cbranch_execz .LBB8_2401
	s_branch .LBB8_2383
.LBB8_2382:                             ;   in Loop: Header=BB8_2333 Depth=3
	s_and_not1_saveexec_b32 s13, s27
	s_cbranch_execz .LBB8_2401
.LBB8_2383:                             ;   in Loop: Header=BB8_2333 Depth=3
	s_and_saveexec_b32 s27, s3
	s_delay_alu instid0(SALU_CYCLE_1)
	s_xor_b32 s27, exec_lo, s27
	s_cbranch_execz .LBB8_2398
; %bb.2384:                             ;   in Loop: Header=BB8_2333 Depth=3
	s_and_saveexec_b32 s40, s6
	s_cbranch_execz .LBB8_2397
; %bb.2385:                             ;   in Loop: Header=BB8_2333 Depth=3
	s_mov_b32 s74, exec_lo
	s_mov_b32 s41, exec_lo
	v_mbcnt_lo_u32_b32 v2, s74, 0
	;;#ASMSTART
	s_waitcnt lgkmcnt(0) vmcnt(0)
	;;#ASMEND
	s_delay_alu instid0(VALU_DEP_1)
	v_cmpx_eq_u32_e32 0, v2
	s_cbranch_execz .LBB8_2387
; %bb.2386:                             ;   in Loop: Header=BB8_2333 Depth=3
	s_bcnt1_i32_b32 s74, s74
	s_delay_alu instid0(SALU_CYCLE_1)
	v_mov_b32_e32 v2, s74
	s_wait_storecnt 0x0
	s_wait_loadcnt_dscnt 0x0
	ds_add_u64 v0, v[2:3]
	s_trap 2
.LBB8_2387:                             ;   in Loop: Header=BB8_2333 Depth=3
	s_or_b32 exec_lo, exec_lo, s41
	s_trap 2
	ds_load_b64 v[4:5], v0
	s_wait_dscnt 0x0
	v_add_nc_u64_e32 v[80:81], v[80:81], v[84:85]
	s_mov_b32 s41, exec_lo
	s_delay_alu instid0(VALU_DEP_1)
	v_cmpx_lt_u64_e64 v[4:5], v[80:81]
	s_cbranch_execz .LBB8_2396
; %bb.2388:                             ;   in Loop: Header=BB8_2333 Depth=3
	s_mov_b32 s74, 0
	s_mov_b32 s77, 0
                                        ; implicit-def: $sgpr75
                                        ; implicit-def: $sgpr76
	s_branch .LBB8_2390
.LBB8_2389:                             ;   in Loop: Header=BB8_2390 Depth=4
	s_or_b32 exec_lo, exec_lo, s79
	s_delay_alu instid0(SALU_CYCLE_1) | instskip(NEXT) | instid1(SALU_CYCLE_1)
	s_and_b32 s78, exec_lo, s88
	s_or_b32 s74, s78, s74
	s_and_not1_b32 s75, s75, exec_lo
	s_and_b32 s78, s76, exec_lo
	s_delay_alu instid0(SALU_CYCLE_1)
	s_or_b32 s75, s75, s78
	s_and_not1_b32 exec_lo, exec_lo, s74
	s_cbranch_execz .LBB8_2394
.LBB8_2390:                             ;   Parent Loop BB8_47 Depth=1
                                        ;     Parent Loop BB8_2087 Depth=2
                                        ;       Parent Loop BB8_2333 Depth=3
                                        ; =>      This Inner Loop Header: Depth=4
	s_add_co_i32 s77, s77, 1
	s_delay_alu instid0(SALU_CYCLE_1) | instskip(SKIP_1) | instid1(SALU_CYCLE_1)
	s_cmp_lg_u32 s77, 0x2710
	s_cselect_b32 s78, -1, 0
	s_and_b32 vcc_lo, exec_lo, s78
	s_cbranch_vccz .LBB8_2392
; %bb.2391:                             ;   in Loop: Header=BB8_2390 Depth=4
	s_mov_b32 s88, -1
	s_or_b32 s76, s76, exec_lo
	s_and_saveexec_b32 s79, s78
	s_cbranch_execz .LBB8_2389
	s_branch .LBB8_2393
.LBB8_2392:                             ;   in Loop: Header=BB8_2390 Depth=4
	s_trap 2
	ds_load_b64 v[4:5], v0
	s_and_not1_b32 s78, s78, exec_lo
	s_mov_b32 s77, 0
	s_wait_storecnt 0x0
	s_wait_loadcnt_dscnt 0x0
	flat_load_b32 v2, v[4:5] scope:SCOPE_SYS
	s_wait_loadcnt_dscnt 0x0
	global_inv scope:SCOPE_SYS
	v_cmp_eq_u32_e32 vcc_lo, 0, v2
	s_and_b32 s79, vcc_lo, exec_lo
	s_delay_alu instid0(SALU_CYCLE_1)
	s_or_b32 s78, s78, s79
	s_mov_b32 s88, -1
	s_or_b32 s76, s76, exec_lo
	s_wait_xcnt 0x0
	s_and_saveexec_b32 s79, s78
	s_cbranch_execz .LBB8_2389
.LBB8_2393:                             ;   in Loop: Header=BB8_2390 Depth=4
	s_sleep 1
	s_trap 2
	ds_load_b64 v[4:5], v0
	s_wait_dscnt 0x0
	s_and_not1_b32 s76, s76, exec_lo
	v_cmp_ge_u64_e32 vcc_lo, v[4:5], v[80:81]
	s_or_not1_b32 s88, vcc_lo, exec_lo
	s_branch .LBB8_2389
.LBB8_2394:                             ;   in Loop: Header=BB8_2333 Depth=3
	s_or_b32 exec_lo, exec_lo, s74
	s_and_saveexec_b32 s74, s75
	s_delay_alu instid0(SALU_CYCLE_1)
	s_xor_b32 s74, exec_lo, s74
	s_cbranch_execz .LBB8_2396
; %bb.2395:                             ;   in Loop: Header=BB8_2333 Depth=3
	ds_store_b32 v0, v111
	s_trap 2
.LBB8_2396:                             ;   in Loop: Header=BB8_2333 Depth=3
	s_or_b32 exec_lo, exec_lo, s41
	;;#ASMSTART
	s_wakeup
	;;#ASMEND
.LBB8_2397:                             ;   in Loop: Header=BB8_2333 Depth=3
	s_or_b32 exec_lo, exec_lo, s40
.LBB8_2398:                             ;   in Loop: Header=BB8_2333 Depth=3
	s_and_not1_saveexec_b32 s27, s27
	s_cbranch_execz .LBB8_2400
; %bb.2399:                             ;   in Loop: Header=BB8_2333 Depth=3
	;;#ASMSTART
	s_waitcnt lgkmcnt(0) vmcnt(0)
	;;#ASMEND
	s_barrier_signal -1
	s_barrier_wait -1
.LBB8_2400:                             ;   in Loop: Header=BB8_2333 Depth=3
	s_or_b32 exec_lo, exec_lo, s27
	v_and_b32_e32 v2, 16, v30
.LBB8_2401:                             ;   in Loop: Header=BB8_2333 Depth=3
	s_or_b32 exec_lo, exec_lo, s13
	s_delay_alu instid0(VALU_DEP_1) | instskip(SKIP_1) | instid1(SALU_CYCLE_1)
	v_cmp_ne_u32_e32 vcc_lo, 0, v2
	s_xor_b32 s13, s4, -1
	s_and_b32 s27, vcc_lo, s13
	s_delay_alu instid0(SALU_CYCLE_1)
	s_and_saveexec_b32 s13, s27
	s_cbranch_execz .LBB8_2403
; %bb.2402:                             ;   in Loop: Header=BB8_2333 Depth=3
	global_wb scope:SCOPE_SYS
	s_wait_storecnt 0x0
	s_wait_loadcnt_dscnt 0x0
	flat_store_b32 v[70:71], v111 scope:SCOPE_SYS
.LBB8_2403:                             ;   in Loop: Header=BB8_2333 Depth=3
	s_wait_xcnt 0x0
	s_or_b32 exec_lo, exec_lo, s13
	v_and_b32_e32 v2, 48, v30
	s_mov_b32 s13, exec_lo
	s_delay_alu instid0(VALU_DEP_1)
	v_cmpx_ne_u32_e32 0, v2
	s_cbranch_execz .LBB8_2332
; %bb.2404:                             ;   in Loop: Header=BB8_2333 Depth=3
	v_add_nc_u64_e32 v[58:59], 2, v[58:59]
	global_wb scope:SCOPE_SYS
	s_wait_storecnt 0x0
	s_wait_loadcnt_dscnt 0x0
	flat_store_b64 v[64:65], v[58:59] scope:SCOPE_SYS
	s_branch .LBB8_2332
.LBB8_2405:                             ;   in Loop: Header=BB8_2087 Depth=2
	s_or_b32 exec_lo, exec_lo, s15
.LBB8_2406:                             ;   in Loop: Header=BB8_2087 Depth=2
	s_delay_alu instid0(SALU_CYCLE_1)
	s_or_b32 exec_lo, exec_lo, s14
	s_add_co_i32 s13, s18, 1
	s_cmp_eq_u32 s18, s62
	s_cbranch_scc1 .LBB8_2408
; %bb.2407:                             ;   in Loop: Header=BB8_2087 Depth=2
	s_mov_b32 s18, s13
	s_branch .LBB8_2087
.LBB8_2408:                             ;   in Loop: Header=BB8_47 Depth=1
	v_mul_u64_e32 v[8:9], s[28:29], v[56:57]
	s_delay_alu instid0(VALU_DEP_1) | instskip(SKIP_1) | instid1(VALU_DEP_2)
	v_sub_nc_u64_e32 v[4:5], v[60:61], v[8:9]
	v_mov_b32_e32 v60, 0
	v_min_i64 v[4:5], v[56:57], v[4:5]
	s_delay_alu instid0(VALU_DEP_1) | instskip(SKIP_1) | instid1(VALU_DEP_2)
	v_max_i32_e32 v90, 0, v4
	v_cmp_lt_i32_e32 vcc_lo, 0, v4
	v_add_nc_u32_e32 v2, 31, v90
	s_and_b32 s13, s63, vcc_lo
	s_delay_alu instid0(VALU_DEP_1) | instskip(NEXT) | instid1(VALU_DEP_1)
	v_lshrrev_b32_e32 v2, 1, v2
	v_and_b32_e32 v5, 0x3ffffff0, v2
	s_delay_alu instid0(VALU_DEP_1)
	v_dual_mov_b32 v2, 0 :: v_dual_max_i32 v91, s45, v5
	s_and_saveexec_b32 s14, s13
	s_cbranch_execz .LBB8_2577
; %bb.2409:                             ;   in Loop: Header=BB8_47 Depth=1
	v_add_nc_u64_e32 v[4:5], v[8:9], v[62:63]
	v_mov_b32_e32 v60, 0
	s_mov_b32 s27, 1
	s_mov_b32 s18, -1
	s_mov_b32 s15, 0
	s_delay_alu instid0(VALU_DEP_2)
	v_lshlrev_b64_e32 v[62:63], 1, v[4:5]
	s_branch .LBB8_2411
.LBB8_2410:                             ;   in Loop: Header=BB8_2411 Depth=2
	s_wait_xcnt 0x0
	s_or_b32 exec_lo, exec_lo, s13
	v_dual_add_nc_u32 v60, v91, v60 :: v_dual_mov_b32 v2, s27
	s_xor_b32 s13, s18, -1
	s_mov_b32 s18, 0
	s_mov_b32 s27, 2
	s_delay_alu instid0(VALU_DEP_1) | instskip(SKIP_1) | instid1(SALU_CYCLE_1)
	v_cmp_ge_i32_e32 vcc_lo, v60, v90
	s_or_b32 s13, s13, vcc_lo
	s_and_b32 s13, exec_lo, s13
	s_delay_alu instid0(SALU_CYCLE_1) | instskip(NEXT) | instid1(SALU_CYCLE_1)
	s_or_b32 s15, s13, s15
	s_and_not1_b32 exec_lo, exec_lo, s15
	s_cbranch_execz .LBB8_2576
.LBB8_2411:                             ;   Parent Loop BB8_47 Depth=1
                                        ; =>  This Loop Header: Depth=2
                                        ;       Child Loop BB8_2419 Depth 3
                                        ;       Child Loop BB8_2443 Depth 3
	;; [unrolled: 1-line block ×9, first 2 shown]
	s_and_saveexec_b32 s13, s0
	s_cbranch_execz .LBB8_2413
; %bb.2412:                             ;   in Loop: Header=BB8_2411 Depth=2
	s_trap 2
	ds_load_b128 v[8:11], v0
	s_wait_dscnt 0x0
	v_cmp_ne_u64_e32 vcc_lo, 0, v[10:11]
	v_ashrrev_i32_e32 v61, 31, v60
	v_add_nc_u64_e32 v[12:13], v[10:11], v[62:63]
	v_add_nc_u64_e32 v[8:9], v[8:9], v[62:63]
	s_delay_alu instid0(VALU_DEP_3) | instskip(NEXT) | instid1(VALU_DEP_1)
	v_lshlrev_b64_e32 v[4:5], 1, v[60:61]
	v_add_nc_u64_e32 v[12:13], v[12:13], v[4:5]
	s_delay_alu instid0(VALU_DEP_3) | instskip(NEXT) | instid1(VALU_DEP_2)
	v_add_nc_u64_e32 v[4:5], v[8:9], v[4:5]
	v_dual_cndmask_b32 v9, 0, v13 :: v_dual_cndmask_b32 v8, 0, v12
	ds_store_b64 v0, v[4:5]
	ds_store_b64 v0, v[8:9]
.LBB8_2413:                             ;   in Loop: Header=BB8_2411 Depth=2
	s_or_b32 exec_lo, exec_lo, s13
	v_and_b32_e32 v2, 4, v30
	s_mov_b32 s40, exec_lo
	s_delay_alu instid0(VALU_DEP_1)
	v_cmpx_ne_u32_e32 0, v2
	s_cbranch_execz .LBB8_2435
; %bb.2414:                             ;   in Loop: Header=BB8_2411 Depth=2
	v_add_nc_u64_e32 v[8:9], 2, v[58:59]
	s_mov_b32 s41, exec_lo
	s_wait_loadcnt_dscnt 0x1
	s_delay_alu instid0(VALU_DEP_1)
	v_cmpx_lt_u64_e64 v[82:83], v[8:9]
	s_cbranch_execz .LBB8_2426
; %bb.2415:                             ;   in Loop: Header=BB8_2411 Depth=2
	v_and_b32_e32 v2, 64, v30
	s_mov_b32 s74, 0
	s_mov_b32 s78, 0
                                        ; implicit-def: $sgpr75
                                        ; implicit-def: $sgpr76
                                        ; implicit-def: $sgpr77
	s_delay_alu instid0(VALU_DEP_1)
	v_cmp_eq_u32_e32 vcc_lo, 0, v2
	s_branch .LBB8_2419
.LBB8_2416:                             ;   in Loop: Header=BB8_2419 Depth=3
	s_wait_loadcnt_dscnt 0x0
	v_cmp_ge_u64_e64 s13, v[82:83], v[8:9]
	s_or_b32 s89, s89, exec_lo
	s_or_not1_b32 s88, s13, exec_lo
.LBB8_2417:                             ;   in Loop: Header=BB8_2419 Depth=3
	s_or_b32 exec_lo, exec_lo, s91
	s_delay_alu instid0(SALU_CYCLE_1)
	s_and_not1_b32 s13, s77, exec_lo
	s_and_b32 s77, s89, exec_lo
	s_and_not1_b32 s76, s76, exec_lo
	s_and_b32 s88, s88, exec_lo
	s_or_b32 s77, s13, s77
	s_or_b32 s76, s76, s88
.LBB8_2418:                             ;   in Loop: Header=BB8_2419 Depth=3
	s_or_b32 exec_lo, exec_lo, s79
	s_delay_alu instid0(SALU_CYCLE_1) | instskip(NEXT) | instid1(SALU_CYCLE_1)
	s_and_b32 s13, exec_lo, s76
	s_or_b32 s74, s13, s74
	s_and_not1_b32 s13, s75, exec_lo
	s_and_b32 s75, s77, exec_lo
	s_delay_alu instid0(SALU_CYCLE_1)
	s_or_b32 s75, s13, s75
	s_and_not1_b32 exec_lo, exec_lo, s74
	s_cbranch_execz .LBB8_2423
.LBB8_2419:                             ;   Parent Loop BB8_47 Depth=1
                                        ;     Parent Loop BB8_2411 Depth=2
                                        ; =>    This Inner Loop Header: Depth=3
	s_sleep 1
	s_wait_loadcnt_dscnt 0x0
	flat_load_b64 v[82:83], v[64:65] scope:SCOPE_SYS
	s_or_b32 s77, s77, exec_lo
	s_or_b32 s76, s76, exec_lo
                                        ; implicit-def: $vgpr2
	s_wait_xcnt 0x0
	s_and_saveexec_b32 s79, vcc_lo
	s_cbranch_execz .LBB8_2418
; %bb.2420:                             ;   in Loop: Header=BB8_2419 Depth=3
	s_cmp_lt_i32 s78, 0x270f
	s_mov_b32 s88, -1
	s_cselect_b32 s90, -1, 0
	s_cmp_gt_i32 s78, 0x270e
	s_cbranch_scc0 .LBB8_2422
; %bb.2421:                             ;   in Loop: Header=BB8_2419 Depth=3
	s_trap 2
	ds_load_b64 v[4:5], v0
	s_and_not1_b32 s78, s90, exec_lo
	s_mov_b32 s89, 0
	s_wait_storecnt 0x0
	s_wait_loadcnt_dscnt 0x0
	flat_load_b32 v2, v[4:5] scope:SCOPE_SYS
	s_wait_loadcnt_dscnt 0x0
	global_inv scope:SCOPE_SYS
	v_cmp_eq_u32_e64 s13, 0, v2
	s_and_b32 s13, s13, exec_lo
	s_delay_alu instid0(SALU_CYCLE_1)
	s_or_b32 s90, s78, s13
	s_mov_b32 s78, 0
	s_wait_xcnt 0x0
	s_and_saveexec_b32 s91, s90
	s_cbranch_execz .LBB8_2417
	s_branch .LBB8_2416
.LBB8_2422:                             ;   in Loop: Header=BB8_2419 Depth=3
	s_add_co_i32 s78, s78, 1
	s_mov_b32 s89, -1
                                        ; implicit-def: $vgpr2
	s_and_saveexec_b32 s91, s90
	s_cbranch_execz .LBB8_2417
	s_branch .LBB8_2416
.LBB8_2423:                             ;   in Loop: Header=BB8_2411 Depth=2
	s_or_b32 exec_lo, exec_lo, s74
	s_xor_b32 s13, s75, -1
	s_delay_alu instid0(SALU_CYCLE_1) | instskip(NEXT) | instid1(SALU_CYCLE_1)
	s_and_saveexec_b32 s74, s13
	s_xor_b32 s13, exec_lo, s74
	s_cbranch_execz .LBB8_2425
; %bb.2424:                             ;   in Loop: Header=BB8_2411 Depth=2
	v_or_b32_e32 v30, 64, v30
	s_wait_storecnt 0x0
	s_wait_loadcnt_dscnt 0x0
	ds_store_b32 v0, v2
	s_trap 2
.LBB8_2425:                             ;   in Loop: Header=BB8_2411 Depth=2
	s_or_b32 exec_lo, exec_lo, s13
.LBB8_2426:                             ;   in Loop: Header=BB8_2411 Depth=2
	s_delay_alu instid0(SALU_CYCLE_1) | instskip(SKIP_3) | instid1(VALU_DEP_1)
	s_or_b32 exec_lo, exec_lo, s41
	v_and_b32_e32 v2, 0x100, v30
	s_mov_b32 s13, -1
	;;#ASMSTART
	s_wakeup
	;;#ASMEND
                                        ; implicit-def: $vgpr10_vgpr11
	v_cmp_ne_u32_e32 vcc_lo, 0, v2
	v_and_b32_e32 v2, 7, v58
	s_and_saveexec_b32 s41, vcc_lo
	s_cbranch_execz .LBB8_2430
; %bb.2427:                             ;   in Loop: Header=BB8_2411 Depth=2
	s_delay_alu instid0(VALU_DEP_1)
	v_mad_nc_u64_u32 v[12:13], v2, 24, v[6:7]
	s_mov_b32 s74, exec_lo
                                        ; implicit-def: $vgpr10_vgpr11
	flat_load_b32 v4, v[12:13]
	s_wait_loadcnt_dscnt 0x0
	v_cmp_ne_u32_e32 vcc_lo, 1, v4
	s_wait_xcnt 0x0
	v_cmpx_eq_u32_e32 1, v4
	s_cbranch_execz .LBB8_2429
; %bb.2428:                             ;   in Loop: Header=BB8_2411 Depth=2
	flat_load_b32 v4, v[12:13] offset:4 scope:SCOPE_SYS
	s_wait_loadcnt_dscnt 0x0
	v_ashrrev_i32_e32 v5, 31, v4
	s_delay_alu instid0(VALU_DEP_1)
	v_lshrrev_b64 v[10:11], 1, v[4:5]
.LBB8_2429:                             ;   in Loop: Header=BB8_2411 Depth=2
	s_wait_xcnt 0x0
	s_or_b32 exec_lo, exec_lo, s74
	s_delay_alu instid0(SALU_CYCLE_1)
	s_or_not1_b32 s13, vcc_lo, exec_lo
.LBB8_2430:                             ;   in Loop: Header=BB8_2411 Depth=2
	s_or_b32 exec_lo, exec_lo, s41
	s_and_saveexec_b32 s41, s13
; %bb.2431:                             ;   in Loop: Header=BB8_2411 Depth=2
	v_mul_u64_e32 v[10:11], v[2:3], v[66:67]
; %bb.2432:                             ;   in Loop: Header=BB8_2411 Depth=2
	s_or_b32 exec_lo, exec_lo, s41
	v_and_b32_e32 v2, 0x2000, v30
	s_delay_alu instid0(VALU_DEP_2)
	v_lshl_add_u64 v[4:5], v[10:11], 1, v[68:69]
	s_mov_b32 s13, exec_lo
	ds_store_b64 v0, v[4:5] offset:720
	v_cmpx_ne_u32_e32 0, v2
	s_cbranch_execz .LBB8_2434
; %bb.2433:                             ;   in Loop: Header=BB8_2411 Depth=2
	ds_load_b64 v[4:5], v0 offset:872
	s_wait_dscnt 0x0
	v_add_nc_u64_e32 v[4:5], 1, v[4:5]
	ds_store_b64 v0, v[4:5] offset:872
.LBB8_2434:                             ;   in Loop: Header=BB8_2411 Depth=2
	s_or_b32 exec_lo, exec_lo, s13
	v_mov_b64_e32 v[58:59], v[8:9]
.LBB8_2435:                             ;   in Loop: Header=BB8_2411 Depth=2
	s_or_b32 exec_lo, exec_lo, s40
	s_and_saveexec_b32 s13, s2
	s_cbranch_execz .LBB8_2454
; %bb.2436:                             ;   in Loop: Header=BB8_2411 Depth=2
	s_and_saveexec_b32 s40, s3
	s_delay_alu instid0(SALU_CYCLE_1)
	s_xor_b32 s40, exec_lo, s40
	s_cbranch_execz .LBB8_2451
; %bb.2437:                             ;   in Loop: Header=BB8_2411 Depth=2
	s_and_saveexec_b32 s41, s6
	s_cbranch_execz .LBB8_2450
; %bb.2438:                             ;   in Loop: Header=BB8_2411 Depth=2
	s_mov_b32 s75, exec_lo
	s_mov_b32 s74, exec_lo
	v_mbcnt_lo_u32_b32 v2, s75, 0
	global_wb scope:SCOPE_DEV
	s_wait_storecnt 0x0
	s_wait_loadcnt_dscnt 0x0
	global_inv scope:SCOPE_DEV
	v_cmpx_eq_u32_e32 0, v2
	s_cbranch_execz .LBB8_2440
; %bb.2439:                             ;   in Loop: Header=BB8_2411 Depth=2
	s_bcnt1_i32_b32 s75, s75
	s_delay_alu instid0(SALU_CYCLE_1)
	v_mov_b32_e32 v2, s75
	s_wait_loadcnt 0x0
	ds_add_u64 v0, v[2:3]
	s_trap 2
.LBB8_2440:                             ;   in Loop: Header=BB8_2411 Depth=2
	s_or_b32 exec_lo, exec_lo, s74
	s_trap 2
	ds_load_b64 v[4:5], v0
	s_wait_dscnt 0x0
	v_add_nc_u64_e32 v[80:81], v[80:81], v[84:85]
	s_mov_b32 s74, exec_lo
	s_delay_alu instid0(VALU_DEP_1)
	v_cmpx_lt_u64_e64 v[4:5], v[80:81]
	s_cbranch_execz .LBB8_2449
; %bb.2441:                             ;   in Loop: Header=BB8_2411 Depth=2
	s_mov_b32 s75, 0
	s_mov_b32 s78, 0
                                        ; implicit-def: $sgpr76
                                        ; implicit-def: $sgpr77
	s_branch .LBB8_2443
.LBB8_2442:                             ;   in Loop: Header=BB8_2443 Depth=3
	s_or_b32 exec_lo, exec_lo, s88
	s_delay_alu instid0(SALU_CYCLE_1) | instskip(NEXT) | instid1(SALU_CYCLE_1)
	s_and_b32 s79, exec_lo, s89
	s_or_b32 s75, s79, s75
	s_and_not1_b32 s76, s76, exec_lo
	s_and_b32 s79, s77, exec_lo
	s_delay_alu instid0(SALU_CYCLE_1)
	s_or_b32 s76, s76, s79
	s_and_not1_b32 exec_lo, exec_lo, s75
	s_cbranch_execz .LBB8_2447
.LBB8_2443:                             ;   Parent Loop BB8_47 Depth=1
                                        ;     Parent Loop BB8_2411 Depth=2
                                        ; =>    This Inner Loop Header: Depth=3
	s_add_co_i32 s78, s78, 1
	s_delay_alu instid0(SALU_CYCLE_1) | instskip(SKIP_1) | instid1(SALU_CYCLE_1)
	s_cmp_lg_u32 s78, 0x2710
	s_cselect_b32 s79, -1, 0
	s_and_b32 vcc_lo, exec_lo, s79
	s_cbranch_vccz .LBB8_2445
; %bb.2444:                             ;   in Loop: Header=BB8_2443 Depth=3
	s_mov_b32 s89, -1
	s_or_b32 s77, s77, exec_lo
	s_and_saveexec_b32 s88, s79
	s_cbranch_execz .LBB8_2442
	s_branch .LBB8_2446
.LBB8_2445:                             ;   in Loop: Header=BB8_2443 Depth=3
	s_trap 2
	ds_load_b64 v[4:5], v0
	s_and_not1_b32 s79, s79, exec_lo
	s_mov_b32 s78, 0
	s_wait_loadcnt_dscnt 0x0
	flat_load_b32 v2, v[4:5] scope:SCOPE_SYS
	s_wait_loadcnt_dscnt 0x0
	global_inv scope:SCOPE_SYS
	v_cmp_eq_u32_e32 vcc_lo, 0, v2
	s_and_b32 s88, vcc_lo, exec_lo
	s_delay_alu instid0(SALU_CYCLE_1)
	s_or_b32 s79, s79, s88
	s_mov_b32 s89, -1
	s_or_b32 s77, s77, exec_lo
	s_wait_xcnt 0x0
	s_and_saveexec_b32 s88, s79
	s_cbranch_execz .LBB8_2442
.LBB8_2446:                             ;   in Loop: Header=BB8_2443 Depth=3
	s_sleep 1
	s_trap 2
	ds_load_b64 v[4:5], v0
	s_wait_dscnt 0x0
	s_and_not1_b32 s77, s77, exec_lo
	v_cmp_ge_u64_e32 vcc_lo, v[4:5], v[80:81]
	s_or_not1_b32 s89, vcc_lo, exec_lo
	s_branch .LBB8_2442
.LBB8_2447:                             ;   in Loop: Header=BB8_2411 Depth=2
	s_or_b32 exec_lo, exec_lo, s75
	s_and_saveexec_b32 s75, s76
	s_delay_alu instid0(SALU_CYCLE_1)
	s_xor_b32 s75, exec_lo, s75
	s_cbranch_execz .LBB8_2449
; %bb.2448:                             ;   in Loop: Header=BB8_2411 Depth=2
	ds_store_b32 v0, v111
	s_trap 2
.LBB8_2449:                             ;   in Loop: Header=BB8_2411 Depth=2
	s_or_b32 exec_lo, exec_lo, s74
	;;#ASMSTART
	s_wakeup
	;;#ASMEND
.LBB8_2450:                             ;   in Loop: Header=BB8_2411 Depth=2
	s_or_b32 exec_lo, exec_lo, s41
.LBB8_2451:                             ;   in Loop: Header=BB8_2411 Depth=2
	s_and_not1_saveexec_b32 s40, s40
	s_cbranch_execz .LBB8_2453
; %bb.2452:                             ;   in Loop: Header=BB8_2411 Depth=2
	global_wb scope:SCOPE_DEV
	s_wait_storecnt 0x0
	s_wait_loadcnt_dscnt 0x0
	global_inv scope:SCOPE_DEV
	s_barrier_signal -1
	s_barrier_wait -1
.LBB8_2453:                             ;   in Loop: Header=BB8_2411 Depth=2
	s_or_b32 exec_lo, exec_lo, s40
.LBB8_2454:                             ;   in Loop: Header=BB8_2411 Depth=2
	s_delay_alu instid0(SALU_CYCLE_1) | instskip(SKIP_4) | instid1(VALU_DEP_1)
	s_or_b32 exec_lo, exec_lo, s13
	s_trap 2
	ds_load_b32 v8, v0
	v_and_b32_e32 v2, 0x4000, v30
	s_xor_b32 s13, s1, -1
	v_cmp_ne_u32_e32 vcc_lo, 0, v2
	s_and_b32 s40, s13, vcc_lo
	s_delay_alu instid0(SALU_CYCLE_1)
	s_and_saveexec_b32 s13, s40
	s_cbranch_execz .LBB8_2473
; %bb.2455:                             ;   in Loop: Header=BB8_2411 Depth=2
	s_and_saveexec_b32 s40, s3
	s_delay_alu instid0(SALU_CYCLE_1)
	s_xor_b32 s40, exec_lo, s40
	s_cbranch_execz .LBB8_2470
; %bb.2456:                             ;   in Loop: Header=BB8_2411 Depth=2
	s_and_saveexec_b32 s41, s6
	s_cbranch_execz .LBB8_2469
; %bb.2457:                             ;   in Loop: Header=BB8_2411 Depth=2
	s_mov_b32 s75, exec_lo
	s_mov_b32 s74, exec_lo
	v_mbcnt_lo_u32_b32 v2, s75, 0
	global_wb scope:SCOPE_DEV
	s_wait_storecnt 0x0
	s_wait_loadcnt_dscnt 0x0
	global_inv scope:SCOPE_DEV
	v_cmpx_eq_u32_e32 0, v2
	s_cbranch_execz .LBB8_2459
; %bb.2458:                             ;   in Loop: Header=BB8_2411 Depth=2
	s_bcnt1_i32_b32 s75, s75
	s_delay_alu instid0(SALU_CYCLE_1)
	v_mov_b32_e32 v2, s75
	s_wait_loadcnt 0x0
	ds_add_u64 v0, v[2:3]
	s_trap 2
.LBB8_2459:                             ;   in Loop: Header=BB8_2411 Depth=2
	s_or_b32 exec_lo, exec_lo, s74
	s_trap 2
	ds_load_b64 v[4:5], v0
	s_wait_dscnt 0x0
	v_add_nc_u64_e32 v[80:81], v[80:81], v[84:85]
	s_mov_b32 s74, exec_lo
	s_delay_alu instid0(VALU_DEP_1)
	v_cmpx_lt_u64_e64 v[4:5], v[80:81]
	s_cbranch_execz .LBB8_2468
; %bb.2460:                             ;   in Loop: Header=BB8_2411 Depth=2
	s_mov_b32 s75, 0
	s_mov_b32 s78, 0
                                        ; implicit-def: $sgpr76
                                        ; implicit-def: $sgpr77
	s_branch .LBB8_2462
.LBB8_2461:                             ;   in Loop: Header=BB8_2462 Depth=3
	s_or_b32 exec_lo, exec_lo, s88
	s_delay_alu instid0(SALU_CYCLE_1) | instskip(NEXT) | instid1(SALU_CYCLE_1)
	s_and_b32 s79, exec_lo, s89
	s_or_b32 s75, s79, s75
	s_and_not1_b32 s76, s76, exec_lo
	s_and_b32 s79, s77, exec_lo
	s_delay_alu instid0(SALU_CYCLE_1)
	s_or_b32 s76, s76, s79
	s_and_not1_b32 exec_lo, exec_lo, s75
	s_cbranch_execz .LBB8_2466
.LBB8_2462:                             ;   Parent Loop BB8_47 Depth=1
                                        ;     Parent Loop BB8_2411 Depth=2
                                        ; =>    This Inner Loop Header: Depth=3
	s_add_co_i32 s78, s78, 1
	s_delay_alu instid0(SALU_CYCLE_1) | instskip(SKIP_1) | instid1(SALU_CYCLE_1)
	s_cmp_lg_u32 s78, 0x2710
	s_cselect_b32 s79, -1, 0
	s_and_b32 vcc_lo, exec_lo, s79
	s_cbranch_vccz .LBB8_2464
; %bb.2463:                             ;   in Loop: Header=BB8_2462 Depth=3
	s_mov_b32 s89, -1
	s_or_b32 s77, s77, exec_lo
	s_and_saveexec_b32 s88, s79
	s_cbranch_execz .LBB8_2461
	s_branch .LBB8_2465
.LBB8_2464:                             ;   in Loop: Header=BB8_2462 Depth=3
	s_trap 2
	ds_load_b64 v[4:5], v0
	s_and_not1_b32 s79, s79, exec_lo
	s_mov_b32 s78, 0
	s_wait_loadcnt_dscnt 0x0
	flat_load_b32 v2, v[4:5] scope:SCOPE_SYS
	s_wait_loadcnt_dscnt 0x0
	global_inv scope:SCOPE_SYS
	v_cmp_eq_u32_e32 vcc_lo, 0, v2
	s_and_b32 s88, vcc_lo, exec_lo
	s_delay_alu instid0(SALU_CYCLE_1)
	s_or_b32 s79, s79, s88
	s_mov_b32 s89, -1
	s_or_b32 s77, s77, exec_lo
	s_wait_xcnt 0x0
	s_and_saveexec_b32 s88, s79
	s_cbranch_execz .LBB8_2461
.LBB8_2465:                             ;   in Loop: Header=BB8_2462 Depth=3
	s_sleep 1
	s_trap 2
	ds_load_b64 v[4:5], v0
	s_wait_dscnt 0x0
	s_and_not1_b32 s77, s77, exec_lo
	v_cmp_ge_u64_e32 vcc_lo, v[4:5], v[80:81]
	s_or_not1_b32 s89, vcc_lo, exec_lo
	s_branch .LBB8_2461
.LBB8_2466:                             ;   in Loop: Header=BB8_2411 Depth=2
	s_or_b32 exec_lo, exec_lo, s75
	s_and_saveexec_b32 s75, s76
	s_delay_alu instid0(SALU_CYCLE_1)
	s_xor_b32 s75, exec_lo, s75
	s_cbranch_execz .LBB8_2468
; %bb.2467:                             ;   in Loop: Header=BB8_2411 Depth=2
	ds_store_b32 v0, v111
	s_trap 2
.LBB8_2468:                             ;   in Loop: Header=BB8_2411 Depth=2
	s_or_b32 exec_lo, exec_lo, s74
	;;#ASMSTART
	s_wakeup
	;;#ASMEND
.LBB8_2469:                             ;   in Loop: Header=BB8_2411 Depth=2
	s_or_b32 exec_lo, exec_lo, s41
.LBB8_2470:                             ;   in Loop: Header=BB8_2411 Depth=2
	s_and_not1_saveexec_b32 s40, s40
	s_cbranch_execz .LBB8_2472
; %bb.2471:                             ;   in Loop: Header=BB8_2411 Depth=2
	global_wb scope:SCOPE_DEV
	s_wait_storecnt 0x0
	s_wait_loadcnt_dscnt 0x0
	global_inv scope:SCOPE_DEV
	s_barrier_signal -1
	s_barrier_wait -1
.LBB8_2472:                             ;   in Loop: Header=BB8_2411 Depth=2
	s_or_b32 exec_lo, exec_lo, s40
.LBB8_2473:                             ;   in Loop: Header=BB8_2411 Depth=2
	s_delay_alu instid0(SALU_CYCLE_1) | instskip(SKIP_3) | instid1(VALU_DEP_1)
	s_or_b32 exec_lo, exec_lo, s13
	s_trap 2
	ds_load_b64 v[72:73], v0
	v_sub_nc_u32_e32 v2, v90, v60
	v_min_i32_e32 v91, v91, v2
	s_wait_dscnt 0x0
	v_cmp_eq_u64_e32 vcc_lo, 0, v[72:73]
	s_cbranch_vccnz .LBB8_2481
; %bb.2474:                             ;   in Loop: Header=BB8_2411 Depth=2
	s_trap 2
	ds_load_b64 v[74:75], v0
	s_wait_dscnt 0x0
	v_cmp_eq_u64_e32 vcc_lo, 0, v[74:75]
	s_cbranch_vccnz .LBB8_2481
; %bb.2475:                             ;   in Loop: Header=BB8_2411 Depth=2
	s_mov_b32 s13, -1
	s_and_saveexec_b32 s40, s11
	s_cbranch_execz .LBB8_2477
; %bb.2476:                             ;   in Loop: Header=BB8_2411 Depth=2
	ds_load_b32 v2, v0 offset:720
	s_wait_dscnt 0x0
	v_and_b32_e32 v2, 15, v2
	s_delay_alu instid0(VALU_DEP_1)
	v_cmp_eq_u32_e32 vcc_lo, 0, v2
	s_or_not1_b32 s13, vcc_lo, exec_lo
.LBB8_2477:                             ;   in Loop: Header=BB8_2411 Depth=2
	s_or_b32 exec_lo, exec_lo, s40
	s_and_saveexec_b32 s40, s7
	s_cbranch_execz .LBB8_2479
; %bb.2478:                             ;   in Loop: Header=BB8_2411 Depth=2
	ds_load_b32 v2, v0 offset:784
	s_wait_dscnt 0x0
	v_and_b32_e32 v2, 15, v2
	s_delay_alu instid0(VALU_DEP_1) | instskip(SKIP_3) | instid1(SALU_CYCLE_1)
	v_cmp_eq_u32_e32 vcc_lo, 0, v2
	s_and_b32 s41, s13, vcc_lo
	s_and_not1_b32 s13, s13, exec_lo
	s_and_b32 s41, s41, exec_lo
	s_or_b32 s13, s13, s41
.LBB8_2479:                             ;   in Loop: Header=BB8_2411 Depth=2
	s_or_b32 exec_lo, exec_lo, s40
	s_xor_b32 s13, s13, -1
	s_mov_b32 s41, -1
	v_cndmask_b32_e64 v2, 0, 1, s13
	v_cmp_eq_u32_e64 s13, 0, v8
	s_delay_alu instid0(VALU_DEP_2)
	v_cmp_ne_u32_e32 vcc_lo, 0, v2
	s_cbranch_vccz .LBB8_2486
; %bb.2480:                             ;   in Loop: Header=BB8_2411 Depth=2
	s_mov_b32 s41, 0
	s_mov_b32 s40, -1
	s_branch .LBB8_2487
.LBB8_2481:                             ;   in Loop: Header=BB8_2411 Depth=2
	s_mov_b32 s13, 0
	s_and_saveexec_b32 s40, s2
	s_cbranch_execnz .LBB8_2537
.LBB8_2482:                             ;   in Loop: Header=BB8_2411 Depth=2
	s_or_b32 exec_lo, exec_lo, s40
	s_and_saveexec_b32 s40, s10
	s_delay_alu instid0(SALU_CYCLE_1)
	s_xor_b32 s40, exec_lo, s40
	s_cbranch_execz .LBB8_2555
.LBB8_2483:                             ;   in Loop: Header=BB8_2411 Depth=2
	v_and_b32_e32 v2, 16, v30
	s_delay_alu instid0(VALU_DEP_1) | instskip(SKIP_1) | instid1(SALU_CYCLE_1)
	v_cmp_ne_u32_e32 vcc_lo, 0, v2
	s_and_b32 s41, vcc_lo, s13
	s_and_saveexec_b32 s13, s41
	s_cbranch_execz .LBB8_2485
; %bb.2484:                             ;   in Loop: Header=BB8_2411 Depth=2
	global_wb scope:SCOPE_SYS
	s_wait_storecnt 0x0
	s_wait_loadcnt_dscnt 0x0
	global_inv scope:SCOPE_SYS
.LBB8_2485:                             ;   in Loop: Header=BB8_2411 Depth=2
	s_or_b32 exec_lo, exec_lo, s13
	s_and_not1_saveexec_b32 s13, s40
	s_cbranch_execz .LBB8_2574
	s_branch .LBB8_2556
.LBB8_2486:                             ;   in Loop: Header=BB8_2411 Depth=2
	s_mov_b32 s40, 0
.LBB8_2487:                             ;   in Loop: Header=BB8_2411 Depth=2
	v_dual_cndmask_b32 v2, 0, v91, s13 :: v_dual_mov_b32 v14, 0
	s_and_not1_b32 vcc_lo, exec_lo, s41
	s_delay_alu instid0(VALU_DEP_1)
	v_lshlrev_b32_e32 v61, 1, v2
	s_cbranch_vccnz .LBB8_2495
; %bb.2488:                             ;   in Loop: Header=BB8_2411 Depth=2
	s_delay_alu instid0(VALU_DEP_1) | instskip(SKIP_3) | instid1(VALU_DEP_2)
	v_ashrrev_i32_e32 v4, 31, v61
	v_add_nc_u64_e32 v[76:77], v[74:75], v[42:43]
	s_mov_b32 s41, 0
	s_mov_b32 s13, exec_lo
                                        ; implicit-def: $vgpr8_vgpr9
                                        ; implicit-def: $vgpr12_vgpr13
                                        ; implicit-def: $vgpr16_vgpr17
                                        ; implicit-def: $vgpr20_vgpr21
	v_lshrrev_b32_e32 v4, 21, v4
	s_delay_alu instid0(VALU_DEP_1) | instskip(NEXT) | instid1(VALU_DEP_1)
	v_add_nc_u32_e32 v4, v61, v4
	v_ashrrev_i32_e32 v28, 11, v4
	s_delay_alu instid0(VALU_DEP_1) | instskip(NEXT) | instid1(VALU_DEP_1)
	v_sub_nc_u32_e32 v29, v28, v124
	v_cmpx_lt_i32_e32 0, v29
	s_cbranch_execz .LBB8_2497
; %bb.2489:                             ;   in Loop: Header=BB8_2411 Depth=2
	v_add_nc_u64_e32 v[78:79], v[72:73], v[42:43]
	s_mov_b32 s75, 0
                                        ; implicit-def: $sgpr74
                                        ; implicit-def: $vgpr8_vgpr9
                                        ; implicit-def: $vgpr12_vgpr13
                                        ; implicit-def: $vgpr16_vgpr17
                                        ; implicit-def: $vgpr20_vgpr21
	s_branch .LBB8_2491
.LBB8_2490:                             ;   in Loop: Header=BB8_2491 Depth=3
	s_or_b32 exec_lo, exec_lo, s76
	s_delay_alu instid0(VALU_DEP_1) | instskip(NEXT) | instid1(VALU_DEP_3)
	v_sub_nc_u32_e32 v29, v4, v5
	v_add_nc_u64_e32 v[4:5], v[76:77], v[88:89]
	s_wait_loadcnt 0x3
	global_store_b128 v[76:77], v[36:39], off th:TH_STORE_NT
	s_wait_loadcnt 0x2
	global_store_b128 v[76:77], v[48:51], off offset:512 th:TH_STORE_NT
	s_wait_loadcnt 0x1
	global_store_b128 v[76:77], v[24:27], off offset:1024 th:TH_STORE_NT
	;; [unrolled: 2-line block ×3, first 2 shown]
	v_add_nc_u64_e32 v[78:79], v[78:79], v[88:89]
	v_cmp_gt_i32_e32 vcc_lo, 1, v29
	s_wait_xcnt 0x0
	v_add_nc_u64_e32 v[76:77], 0x800, v[4:5]
	s_or_b32 s41, vcc_lo, s41
	s_and_not1_b32 s74, s74, exec_lo
	s_and_b32 s76, s75, exec_lo
	s_delay_alu instid0(SALU_CYCLE_1)
	s_or_b32 s74, s74, s76
	s_and_not1_b32 exec_lo, exec_lo, s41
	s_cbranch_execz .LBB8_2496
.LBB8_2491:                             ;   Parent Loop BB8_47 Depth=1
                                        ;     Parent Loop BB8_2411 Depth=2
                                        ; =>    This Inner Loop Header: Depth=3
	s_clause 0x3
	global_load_b128 v[36:39], v[78:79], off th:TH_LOAD_NT
	global_load_b128 v[48:51], v[78:79], off offset:512 th:TH_LOAD_NT
	global_load_b128 v[24:27], v[78:79], off offset:1024 th:TH_LOAD_NT
	;; [unrolled: 1-line block ×3, first 2 shown]
	s_wait_xcnt 0x0
	s_and_saveexec_b32 s76, s75
	s_cbranch_execz .LBB8_2493
; %bb.2492:                             ;   in Loop: Header=BB8_2491 Depth=3
	s_clause 0x3
	global_store_b128 v[76:77], v[8:11], off th:TH_STORE_NT
	global_store_b128 v[76:77], v[12:15], off offset:512 th:TH_STORE_NT
	global_store_b128 v[76:77], v[16:19], off offset:1024 th:TH_STORE_NT
	;; [unrolled: 1-line block ×3, first 2 shown]
	s_wait_xcnt 0x0
	v_add_nc_u64_e32 v[76:77], v[76:77], v[116:117]
.LBB8_2493:                             ;   in Loop: Header=BB8_2491 Depth=3
	s_or_b32 exec_lo, exec_lo, s76
	v_dual_mov_b32 v5, 0 :: v_dual_sub_nc_u32 v4, v29, v84
	v_add_nc_u64_e32 v[78:79], v[78:79], v[116:117]
	v_mov_b64_e32 v[88:89], 0
	s_delay_alu instid0(VALU_DEP_3)
	v_cmp_lt_i32_e64 s75, 0, v4
	s_and_saveexec_b32 s76, s75
	s_cbranch_execz .LBB8_2490
; %bb.2494:                             ;   in Loop: Header=BB8_2491 Depth=3
	s_clause 0x3
	global_load_b128 v[8:11], v[78:79], off th:TH_LOAD_NT
	global_load_b128 v[12:15], v[78:79], off offset:512 th:TH_LOAD_NT
	global_load_b128 v[16:19], v[78:79], off offset:1024 th:TH_LOAD_NT
	;; [unrolled: 1-line block ×3, first 2 shown]
	s_wait_xcnt 0x0
	v_add_nc_u64_e32 v[78:79], 0x800, v[78:79]
	v_mov_b64_e32 v[88:89], v[100:101]
	v_mov_b32_e32 v5, v84
	s_branch .LBB8_2490
.LBB8_2495:                             ;   in Loop: Header=BB8_2411 Depth=2
	v_dual_mov_b32 v15, v0 :: v_dual_mov_b32 v4, v124
	s_and_saveexec_b32 s13, s40
	s_cbranch_execnz .LBB8_2516
	s_branch .LBB8_2536
.LBB8_2496:                             ;   in Loop: Header=BB8_2411 Depth=2
	s_or_b32 exec_lo, exec_lo, s41
	s_delay_alu instid0(SALU_CYCLE_1)
	s_and_b32 s41, s74, exec_lo
.LBB8_2497:                             ;   in Loop: Header=BB8_2411 Depth=2
	s_or_b32 exec_lo, exec_lo, s13
	s_and_saveexec_b32 s13, s41
	s_cbranch_execz .LBB8_2499
; %bb.2498:                             ;   in Loop: Header=BB8_2411 Depth=2
	s_clause 0x3
	global_store_b128 v[76:77], v[8:11], off th:TH_STORE_NT
	global_store_b128 v[76:77], v[12:15], off offset:512 th:TH_STORE_NT
	global_store_b128 v[76:77], v[16:19], off offset:1024 th:TH_STORE_NT
	;; [unrolled: 1-line block ×3, first 2 shown]
.LBB8_2499:                             ;   in Loop: Header=BB8_2411 Depth=2
	s_wait_xcnt 0x0
	s_or_b32 exec_lo, exec_lo, s13
	v_lshlrev_b32_e32 v20, 11, v28
	s_mov_b32 s41, exec_lo
                                        ; implicit-def: $vgpr14
                                        ; implicit-def: $vgpr15
                                        ; implicit-def: $vgpr4
	s_delay_alu instid0(VALU_DEP_1)
	v_cmpx_ne_u32_e64 v61, v20
	s_cbranch_execz .LBB8_2515
; %bb.2500:                             ;   in Loop: Header=BB8_2411 Depth=2
	v_dual_lshlrev_b32 v4, 5, v29 :: v_dual_sub_nc_u32 v8, v61, v20
	s_mov_b32 s75, 0
	s_mov_b32 s74, exec_lo
	s_delay_alu instid0(VALU_DEP_1) | instskip(NEXT) | instid1(VALU_DEP_2)
	v_sub_nc_u32_e32 v4, v0, v4
	v_ashrrev_i32_e32 v10, 31, v8
	s_delay_alu instid0(VALU_DEP_2) | instskip(NEXT) | instid1(VALU_DEP_1)
	v_ashrrev_i32_e32 v5, 31, v4
	v_lshrrev_b32_e32 v5, 27, v5
	s_delay_alu instid0(VALU_DEP_1) | instskip(NEXT) | instid1(VALU_DEP_1)
	v_add_nc_u32_e32 v5, v4, v5
	v_and_b32_e32 v9, 0xffffffe0, v5
	v_ashrrev_i32_e32 v5, 5, v5
	s_delay_alu instid0(VALU_DEP_2) | instskip(NEXT) | instid1(VALU_DEP_1)
	v_dual_sub_nc_u32 v22, v4, v9 :: v_dual_lshrrev_b32 v4, 23, v10
	v_dual_lshlrev_b32 v9, 4, v22 :: v_dual_add_nc_u32 v4, v8, v4
	s_delay_alu instid0(VALU_DEP_1) | instskip(NEXT) | instid1(VALU_DEP_2)
	v_lshl_add_u32 v9, v5, 9, v9
	v_and_b32_e32 v21, 0xfffffe00, v4
	s_delay_alu instid0(VALU_DEP_1) | instskip(SKIP_1) | instid1(VALU_DEP_2)
	v_dual_add_nc_u32 v10, v9, v20 :: v_dual_sub_nc_u32 v23, v8, v21
	v_dual_ashrrev_i32 v4, 9, v4 :: v_dual_sub_nc_u32 v25, v8, v9
                                        ; implicit-def: $vgpr8_vgpr9
	v_ashrrev_i32_e32 v11, 31, v10
	s_delay_alu instid0(VALU_DEP_3) | instskip(NEXT) | instid1(VALU_DEP_2)
	v_cmp_lt_i32_e32 vcc_lo, 15, v23
	v_add_nc_u64_e32 v[16:17], v[10:11], v[74:75]
	s_delay_alu instid0(VALU_DEP_4) | instskip(NEXT) | instid1(VALU_DEP_1)
	v_add_co_ci_u32_e64 v4, null, 0, v4, vcc_lo
	v_sub_nc_u32_e32 v24, v4, v5
	v_cmpx_lt_i32_e32 15, v25
	s_cbranch_execz .LBB8_2510
; %bb.2501:                             ;   in Loop: Header=BB8_2411 Depth=2
	v_add_nc_u64_e32 v[18:19], v[10:11], v[72:73]
	s_mov_b32 s77, 0
                                        ; implicit-def: $sgpr76
                                        ; implicit-def: $vgpr8_vgpr9
	s_branch .LBB8_2503
.LBB8_2502:                             ;   in Loop: Header=BB8_2503 Depth=3
	s_or_b32 exec_lo, exec_lo, s13
	s_delay_alu instid0(VALU_DEP_1) | instskip(SKIP_3) | instid1(SALU_CYCLE_1)
	v_cmp_gt_i32_e64 s13, 16, v25
	s_or_b32 s75, s13, s75
	s_and_not1_b32 s13, s76, exec_lo
	s_and_b32 s76, s77, exec_lo
	s_or_b32 s76, s13, s76
	s_and_not1_b32 exec_lo, exec_lo, s75
	s_cbranch_execz .LBB8_2509
.LBB8_2503:                             ;   Parent Loop BB8_47 Depth=1
                                        ;     Parent Loop BB8_2411 Depth=2
                                        ; =>    This Inner Loop Header: Depth=3
	global_load_b128 v[12:15], v[18:19], off th:TH_LOAD_NT
	s_wait_xcnt 0x0
	s_and_saveexec_b32 s13, s77
	s_cbranch_execz .LBB8_2505
; %bb.2504:                             ;   in Loop: Header=BB8_2503 Depth=3
	v_add_nc_u64_e32 v[4:5], v[16:17], v[40:41]
	global_store_b128 v[16:17], v[8:11], off th:TH_STORE_NT
	s_wait_xcnt 0x0
	v_mov_b64_e32 v[16:17], v[4:5]
.LBB8_2505:                             ;   in Loop: Header=BB8_2503 Depth=3
	s_or_b32 exec_lo, exec_lo, s13
	v_sub_nc_u32_e32 v25, v25, v122
	v_add_nc_u64_e32 v[18:19], v[18:19], v[40:41]
	s_delay_alu instid0(VALU_DEP_2)
	v_cmp_lt_i32_e64 s77, 15, v25
	s_and_saveexec_b32 s13, s77
	s_cbranch_execz .LBB8_2507
; %bb.2506:                             ;   in Loop: Header=BB8_2503 Depth=3
	global_load_b128 v[8:11], v[18:19], off th:TH_LOAD_NT
	s_wait_xcnt 0x0
	v_add_nc_u64_e32 v[18:19], 0x200, v[18:19]
.LBB8_2507:                             ;   in Loop: Header=BB8_2503 Depth=3
	s_or_b32 exec_lo, exec_lo, s13
	s_wait_loadcnt 0x0
	global_store_b128 v[16:17], v[12:15], off th:TH_STORE_NT
	s_wait_xcnt 0x0
	v_add_nc_u64_e32 v[16:17], 0x200, v[16:17]
	v_sub_nc_u32_e32 v24, v24, v84
	s_and_saveexec_b32 s13, s77
	s_cbranch_execz .LBB8_2502
; %bb.2508:                             ;   in Loop: Header=BB8_2503 Depth=3
	v_add_nc_u64_e32 v[18:19], v[18:19], v[112:113]
	s_delay_alu instid0(VALU_DEP_3)
	v_add_nc_u64_e32 v[16:17], v[16:17], v[112:113]
	v_dual_sub_nc_u32 v24, v24, v84 :: v_dual_sub_nc_u32 v25, v25, v122
	s_branch .LBB8_2502
.LBB8_2509:                             ;   in Loop: Header=BB8_2411 Depth=2
	s_or_b32 exec_lo, exec_lo, s75
	s_delay_alu instid0(SALU_CYCLE_1)
	s_and_b32 s75, s76, exec_lo
.LBB8_2510:                             ;   in Loop: Header=BB8_2411 Depth=2
	s_or_b32 exec_lo, exec_lo, s74
	s_and_saveexec_b32 s13, s75
	s_cbranch_execz .LBB8_2512
; %bb.2511:                             ;   in Loop: Header=BB8_2411 Depth=2
	global_store_b128 v[16:17], v[8:11], off th:TH_STORE_NT
.LBB8_2512:                             ;   in Loop: Header=BB8_2411 Depth=2
	s_wait_xcnt 0x0
	s_or_b32 exec_lo, exec_lo, s13
	v_and_b32_e32 v5, 14, v61
	s_mov_b32 s75, s40
	s_mov_b32 s74, exec_lo
                                        ; implicit-def: $vgpr14
                                        ; implicit-def: $vgpr15
                                        ; implicit-def: $vgpr4
	s_delay_alu instid0(VALU_DEP_1) | instskip(NEXT) | instid1(VALU_DEP_1)
	v_cndmask_b32_e32 v61, v23, v5, vcc_lo
	v_cmpx_ne_u32_e32 0, v61
	s_cbranch_execz .LBB8_2514
; %bb.2513:                             ;   in Loop: Header=BB8_2411 Depth=2
	v_cmp_lt_i32_e64 s13, 0, v24
	s_or_b32 s75, s40, exec_lo
	v_dual_sub_nc_u32 v5, v23, v5 :: v_dual_cndmask_b32 v4, 0, v84, s13
	s_delay_alu instid0(VALU_DEP_1) | instskip(NEXT) | instid1(VALU_DEP_1)
	v_dual_cndmask_b32 v5, 0, v5 :: v_dual_sub_nc_u32 v4, v4, v24
	v_add3_u32 v14, v21, v20, v5
	s_delay_alu instid0(VALU_DEP_2) | instskip(NEXT) | instid1(VALU_DEP_1)
	v_lshl_add_u32 v8, v4, 5, v22
	v_ashrrev_i32_e32 v4, 31, v8
	s_delay_alu instid0(VALU_DEP_1) | instskip(NEXT) | instid1(VALU_DEP_1)
	v_lshrrev_b32_e32 v4, 27, v4
	v_add_nc_u32_e32 v4, v8, v4
	s_delay_alu instid0(VALU_DEP_1) | instskip(NEXT) | instid1(VALU_DEP_1)
	v_and_b32_e32 v9, 0xffffffe0, v4
	v_dual_ashrrev_i32 v4, 5, v4 :: v_dual_sub_nc_u32 v15, v8, v9
.LBB8_2514:                             ;   in Loop: Header=BB8_2411 Depth=2
	s_or_b32 exec_lo, exec_lo, s74
	s_delay_alu instid0(SALU_CYCLE_1) | instskip(SKIP_1) | instid1(SALU_CYCLE_1)
	s_and_not1_b32 s13, s40, exec_lo
	s_and_b32 s40, s75, exec_lo
	s_or_b32 s40, s13, s40
.LBB8_2515:                             ;   in Loop: Header=BB8_2411 Depth=2
	s_or_b32 exec_lo, exec_lo, s41
	s_and_saveexec_b32 s13, s40
	s_cbranch_execz .LBB8_2536
.LBB8_2516:                             ;   in Loop: Header=BB8_2411 Depth=2
	s_delay_alu instid0(VALU_DEP_1) | instskip(SKIP_2) | instid1(VALU_DEP_1)
	v_dual_ashrrev_i32 v5, 31, v61 :: v_dual_lshlrev_b32 v8, 9, v4
	s_mov_b32 s41, 0
	s_mov_b32 s40, exec_lo
                                        ; implicit-def: $vgpr17
                                        ; implicit-def: $vgpr18
                                        ; implicit-def: $vgpr19
                                        ; implicit-def: $vgpr20
                                        ; implicit-def: $vgpr21
                                        ; implicit-def: $vgpr22
                                        ; implicit-def: $vgpr23
                                        ; implicit-def: $vgpr24
	v_dual_lshlrev_b32 v9, 1, v15 :: v_dual_lshrrev_b32 v5, 23, v5
	s_delay_alu instid0(VALU_DEP_1) | instskip(NEXT) | instid1(VALU_DEP_1)
	v_add3_u32 v10, v14, v9, v8
	v_dual_add_nc_u32 v5, v61, v5 :: v_dual_ashrrev_i32 v11, 31, v10
	s_delay_alu instid0(VALU_DEP_1) | instskip(NEXT) | instid1(VALU_DEP_2)
	v_ashrrev_i32_e32 v16, 9, v5
	v_add_nc_u64_e32 v[8:9], v[74:75], v[10:11]
	s_delay_alu instid0(VALU_DEP_2) | instskip(NEXT) | instid1(VALU_DEP_1)
	v_sub_nc_u32_e32 v25, v16, v4
	v_cmpx_lt_i32_e32 0, v25
	s_cbranch_execz .LBB8_2524
; %bb.2517:                             ;   in Loop: Header=BB8_2411 Depth=2
	v_add_nc_u64_e32 v[10:11], v[10:11], v[72:73]
	s_mov_b32 s75, 0
                                        ; implicit-def: $sgpr74
                                        ; implicit-def: $vgpr17
                                        ; implicit-def: $vgpr18
                                        ; implicit-def: $vgpr19
                                        ; implicit-def: $vgpr20
                                        ; implicit-def: $vgpr21
                                        ; implicit-def: $vgpr22
                                        ; implicit-def: $vgpr23
                                        ; implicit-def: $vgpr24
	s_branch .LBB8_2519
.LBB8_2518:                             ;   in Loop: Header=BB8_2519 Depth=3
	s_or_b32 exec_lo, exec_lo, s76
	s_delay_alu instid0(VALU_DEP_1) | instskip(NEXT) | instid1(VALU_DEP_3)
	v_sub_nc_u32_e32 v25, v4, v5
	v_add_nc_u64_e32 v[4:5], v[8:9], v[12:13]
	s_wait_loadcnt_dscnt 0x707
	flat_store_b16 v[8:9], v26 th:TH_STORE_NT
	s_wait_loadcnt_dscnt 0x607
	flat_store_b16 v[8:9], v27 offset:64 th:TH_STORE_NT
	s_wait_loadcnt_dscnt 0x507
	flat_store_b16 v[8:9], v28 offset:128 th:TH_STORE_NT
	;; [unrolled: 2-line block ×7, first 2 shown]
	v_add_nc_u64_e32 v[10:11], v[10:11], v[12:13]
	v_cmp_gt_i32_e32 vcc_lo, 1, v25
	s_wait_xcnt 0x0
	v_add_nc_u64_e32 v[8:9], 0x200, v[4:5]
	s_or_b32 s41, vcc_lo, s41
	s_and_not1_b32 s74, s74, exec_lo
	s_and_b32 s76, s75, exec_lo
	s_delay_alu instid0(SALU_CYCLE_1)
	s_or_b32 s74, s74, s76
	s_and_not1_b32 exec_lo, exec_lo, s41
	s_cbranch_execz .LBB8_2523
.LBB8_2519:                             ;   Parent Loop BB8_47 Depth=1
                                        ;     Parent Loop BB8_2411 Depth=2
                                        ; =>    This Inner Loop Header: Depth=3
	s_clause 0x7
	flat_load_u16 v26, v[10:11] th:TH_LOAD_NT
	flat_load_u16 v27, v[10:11] offset:64 th:TH_LOAD_NT
	flat_load_u16 v28, v[10:11] offset:128 th:TH_LOAD_NT
	;; [unrolled: 1-line block ×7, first 2 shown]
	s_wait_xcnt 0x0
	s_and_saveexec_b32 s76, s75
	s_cbranch_execz .LBB8_2521
; %bb.2520:                             ;   in Loop: Header=BB8_2519 Depth=3
	s_clause 0x7
	flat_store_b16 v[8:9], v17 th:TH_STORE_NT
	flat_store_b16 v[8:9], v18 offset:64 th:TH_STORE_NT
	flat_store_b16 v[8:9], v19 offset:128 th:TH_STORE_NT
	;; [unrolled: 1-line block ×7, first 2 shown]
	s_wait_xcnt 0x0
	v_add_nc_u64_e32 v[8:9], v[8:9], v[40:41]
.LBB8_2521:                             ;   in Loop: Header=BB8_2519 Depth=3
	s_or_b32 exec_lo, exec_lo, s76
	v_dual_mov_b32 v5, 0 :: v_dual_sub_nc_u32 v4, v25, v84
	v_add_nc_u64_e32 v[10:11], v[10:11], v[40:41]
	v_mov_b64_e32 v[12:13], 0
	s_delay_alu instid0(VALU_DEP_3)
	v_cmp_lt_i32_e64 s75, 0, v4
	s_and_saveexec_b32 s76, s75
	s_cbranch_execz .LBB8_2518
; %bb.2522:                             ;   in Loop: Header=BB8_2519 Depth=3
	s_clause 0x7
	flat_load_u16 v17, v[10:11] th:TH_LOAD_NT
	flat_load_u16 v18, v[10:11] offset:64 th:TH_LOAD_NT
	flat_load_u16 v19, v[10:11] offset:128 th:TH_LOAD_NT
	;; [unrolled: 1-line block ×7, first 2 shown]
	s_wait_xcnt 0x0
	v_add_nc_u64_e32 v[10:11], 0x200, v[10:11]
	v_mov_b64_e32 v[12:13], v[112:113]
	v_mov_b32_e32 v5, v84
	s_branch .LBB8_2518
.LBB8_2523:                             ;   in Loop: Header=BB8_2411 Depth=2
	s_or_b32 exec_lo, exec_lo, s41
	s_delay_alu instid0(SALU_CYCLE_1)
	s_and_b32 s41, s74, exec_lo
.LBB8_2524:                             ;   in Loop: Header=BB8_2411 Depth=2
	s_or_b32 exec_lo, exec_lo, s40
	s_and_saveexec_b32 s40, s41
	s_cbranch_execz .LBB8_2526
; %bb.2525:                             ;   in Loop: Header=BB8_2411 Depth=2
	s_clause 0x7
	flat_store_b16 v[8:9], v17 th:TH_STORE_NT
	flat_store_b16 v[8:9], v18 offset:64 th:TH_STORE_NT
	flat_store_b16 v[8:9], v19 offset:128 th:TH_STORE_NT
	;; [unrolled: 1-line block ×7, first 2 shown]
.LBB8_2526:                             ;   in Loop: Header=BB8_2411 Depth=2
	s_wait_xcnt 0x0
	s_or_b32 exec_lo, exec_lo, s40
	v_lshlrev_b32_e32 v4, 9, v16
	s_delay_alu instid0(VALU_DEP_1)
	v_cmp_ne_u32_e32 vcc_lo, v61, v4
	s_and_b32 exec_lo, exec_lo, vcc_lo
	s_cbranch_execz .LBB8_2536
; %bb.2527:                             ;   in Loop: Header=BB8_2411 Depth=2
	v_lshlrev_b32_e32 v5, 5, v25
	s_delay_alu instid0(VALU_DEP_1) | instskip(NEXT) | instid1(VALU_DEP_1)
	v_sub_nc_u32_e32 v5, v15, v5
	v_ashrrev_i32_e32 v8, 31, v5
	s_delay_alu instid0(VALU_DEP_1) | instskip(NEXT) | instid1(VALU_DEP_1)
	v_lshrrev_b32_e32 v8, 27, v8
	v_add_nc_u32_e32 v8, v5, v8
	s_delay_alu instid0(VALU_DEP_1) | instskip(NEXT) | instid1(VALU_DEP_1)
	v_and_b32_e32 v9, 0x7fffffe0, v8
	v_dual_lshlrev_b32 v8, 1, v8 :: v_dual_sub_nc_u32 v5, v5, v9
	s_delay_alu instid0(VALU_DEP_1) | instskip(NEXT) | instid1(VALU_DEP_2)
	v_and_b32_e32 v8, 0xffffffc0, v8
	v_lshlrev_b32_e32 v5, 1, v5
	s_delay_alu instid0(VALU_DEP_1) | instskip(NEXT) | instid1(VALU_DEP_1)
	v_add3_u32 v4, v8, v5, v4
	v_sub_nc_u32_e32 v5, v61, v4
	s_delay_alu instid0(VALU_DEP_1)
	v_cmp_lt_i32_e32 vcc_lo, 1, v5
	s_and_b32 exec_lo, exec_lo, vcc_lo
	s_cbranch_execz .LBB8_2536
; %bb.2528:                             ;   in Loop: Header=BB8_2411 Depth=2
	v_add_nc_u32_e32 v10, v4, v14
	s_mov_b32 s74, 0
	s_mov_b32 s40, 0
                                        ; implicit-def: $sgpr41
                                        ; implicit-def: $vgpr4
	s_delay_alu instid0(VALU_DEP_1) | instskip(NEXT) | instid1(VALU_DEP_1)
	v_ashrrev_i32_e32 v11, 31, v10
	v_add_nc_u64_e32 v[8:9], v[74:75], v[10:11]
	v_add_nc_u64_e32 v[10:11], v[10:11], v[72:73]
	s_branch .LBB8_2530
.LBB8_2529:                             ;   in Loop: Header=BB8_2530 Depth=3
	s_or_b32 exec_lo, exec_lo, s75
	s_delay_alu instid0(VALU_DEP_1) | instskip(NEXT) | instid1(VALU_DEP_3)
	v_sub_nc_u32_e32 v5, v5, v15
	v_add_nc_u64_e32 v[16:17], v[8:9], v[12:13]
	s_wait_loadcnt_dscnt 0x0
	flat_store_b16 v[8:9], v14 th:TH_STORE_NT
	v_add_nc_u64_e32 v[10:11], v[10:11], v[12:13]
	v_cmp_gt_i32_e32 vcc_lo, 2, v5
	s_wait_xcnt 0x0
	v_add_nc_u64_e32 v[8:9], 64, v[16:17]
	s_or_b32 s40, vcc_lo, s40
	s_and_not1_b32 s41, s41, exec_lo
	s_and_b32 s75, s74, exec_lo
	s_delay_alu instid0(SALU_CYCLE_1)
	s_or_b32 s41, s41, s75
	s_and_not1_b32 exec_lo, exec_lo, s40
	s_cbranch_execz .LBB8_2534
.LBB8_2530:                             ;   Parent Loop BB8_47 Depth=1
                                        ;     Parent Loop BB8_2411 Depth=2
                                        ; =>    This Inner Loop Header: Depth=3
	flat_load_u16 v14, v[10:11] th:TH_LOAD_NT
	s_wait_xcnt 0x0
	s_and_saveexec_b32 s75, s74
	s_cbranch_execz .LBB8_2532
; %bb.2531:                             ;   in Loop: Header=BB8_2530 Depth=3
	v_add_nc_u64_e32 v[12:13], v[8:9], v[44:45]
	flat_store_b16 v[8:9], v4 th:TH_STORE_NT
	s_wait_xcnt 0x0
	v_mov_b64_e32 v[8:9], v[12:13]
.LBB8_2532:                             ;   in Loop: Header=BB8_2530 Depth=3
	s_or_b32 exec_lo, exec_lo, s75
	v_dual_sub_nc_u32 v5, v5, v123 :: v_dual_mov_b32 v15, 0
	v_add_nc_u64_e32 v[10:11], v[10:11], v[44:45]
	v_mov_b64_e32 v[12:13], 0
	s_delay_alu instid0(VALU_DEP_3)
	v_cmp_lt_i32_e64 s74, 1, v5
	s_and_saveexec_b32 s75, s74
	s_cbranch_execz .LBB8_2529
; %bb.2533:                             ;   in Loop: Header=BB8_2530 Depth=3
	flat_load_u16 v4, v[10:11] th:TH_LOAD_NT
	s_wait_xcnt 0x0
	v_add_nc_u64_e32 v[10:11], 64, v[10:11]
	v_mov_b64_e32 v[12:13], v[114:115]
	v_mov_b32_e32 v15, v123
	s_branch .LBB8_2529
.LBB8_2534:                             ;   in Loop: Header=BB8_2411 Depth=2
	s_or_b32 exec_lo, exec_lo, s40
	s_delay_alu instid0(SALU_CYCLE_1)
	s_and_b32 exec_lo, exec_lo, s41
	s_cbranch_execz .LBB8_2536
; %bb.2535:                             ;   in Loop: Header=BB8_2411 Depth=2
	flat_store_b16 v[8:9], v4 th:TH_STORE_NT
.LBB8_2536:                             ;   in Loop: Header=BB8_2411 Depth=2
	s_wait_xcnt 0x0
	s_or_b32 exec_lo, exec_lo, s13
	v_cmp_lt_i32_e64 s13, 0, v2
	s_and_saveexec_b32 s40, s2
	s_cbranch_execz .LBB8_2482
.LBB8_2537:                             ;   in Loop: Header=BB8_2411 Depth=2
	s_and_saveexec_b32 s41, s3
	s_delay_alu instid0(SALU_CYCLE_1)
	s_xor_b32 s41, exec_lo, s41
	s_cbranch_execz .LBB8_2552
; %bb.2538:                             ;   in Loop: Header=BB8_2411 Depth=2
	s_and_saveexec_b32 s74, s6
	s_cbranch_execz .LBB8_2551
; %bb.2539:                             ;   in Loop: Header=BB8_2411 Depth=2
	s_mov_b32 s76, exec_lo
	s_mov_b32 s75, exec_lo
	v_mbcnt_lo_u32_b32 v2, s76, 0
	global_wb scope:SCOPE_DEV
	s_wait_storecnt 0x0
	s_wait_loadcnt_dscnt 0x0
	global_inv scope:SCOPE_DEV
	v_cmpx_eq_u32_e32 0, v2
	s_cbranch_execz .LBB8_2541
; %bb.2540:                             ;   in Loop: Header=BB8_2411 Depth=2
	s_bcnt1_i32_b32 s76, s76
	s_delay_alu instid0(SALU_CYCLE_1)
	v_mov_b32_e32 v2, s76
	s_wait_loadcnt 0x0
	ds_add_u64 v0, v[2:3]
	s_trap 2
.LBB8_2541:                             ;   in Loop: Header=BB8_2411 Depth=2
	s_or_b32 exec_lo, exec_lo, s75
	s_trap 2
	ds_load_b64 v[4:5], v0
	s_wait_dscnt 0x0
	v_add_nc_u64_e32 v[80:81], v[80:81], v[84:85]
	s_mov_b32 s75, exec_lo
	s_delay_alu instid0(VALU_DEP_1)
	v_cmpx_lt_u64_e64 v[4:5], v[80:81]
	s_cbranch_execz .LBB8_2550
; %bb.2542:                             ;   in Loop: Header=BB8_2411 Depth=2
	s_mov_b32 s76, 0
	s_mov_b32 s79, 0
                                        ; implicit-def: $sgpr77
                                        ; implicit-def: $sgpr78
	s_branch .LBB8_2544
.LBB8_2543:                             ;   in Loop: Header=BB8_2544 Depth=3
	s_or_b32 exec_lo, exec_lo, s89
	s_delay_alu instid0(SALU_CYCLE_1) | instskip(NEXT) | instid1(SALU_CYCLE_1)
	s_and_b32 s88, exec_lo, s90
	s_or_b32 s76, s88, s76
	s_and_not1_b32 s77, s77, exec_lo
	s_and_b32 s88, s78, exec_lo
	s_delay_alu instid0(SALU_CYCLE_1)
	s_or_b32 s77, s77, s88
	s_and_not1_b32 exec_lo, exec_lo, s76
	s_cbranch_execz .LBB8_2548
.LBB8_2544:                             ;   Parent Loop BB8_47 Depth=1
                                        ;     Parent Loop BB8_2411 Depth=2
                                        ; =>    This Inner Loop Header: Depth=3
	s_add_co_i32 s79, s79, 1
	s_delay_alu instid0(SALU_CYCLE_1) | instskip(SKIP_1) | instid1(SALU_CYCLE_1)
	s_cmp_lg_u32 s79, 0x2710
	s_cselect_b32 s88, -1, 0
	s_and_b32 vcc_lo, exec_lo, s88
	s_cbranch_vccz .LBB8_2546
; %bb.2545:                             ;   in Loop: Header=BB8_2544 Depth=3
	s_mov_b32 s90, -1
	s_or_b32 s78, s78, exec_lo
	s_and_saveexec_b32 s89, s88
	s_cbranch_execz .LBB8_2543
	s_branch .LBB8_2547
.LBB8_2546:                             ;   in Loop: Header=BB8_2544 Depth=3
	s_trap 2
	ds_load_b64 v[4:5], v0
	s_and_not1_b32 s88, s88, exec_lo
	s_mov_b32 s79, 0
	s_wait_loadcnt_dscnt 0x0
	flat_load_b32 v2, v[4:5] scope:SCOPE_SYS
	s_wait_loadcnt_dscnt 0x0
	global_inv scope:SCOPE_SYS
	v_cmp_eq_u32_e32 vcc_lo, 0, v2
	s_and_b32 s89, vcc_lo, exec_lo
	s_delay_alu instid0(SALU_CYCLE_1)
	s_or_b32 s88, s88, s89
	s_mov_b32 s90, -1
	s_or_b32 s78, s78, exec_lo
	s_wait_xcnt 0x0
	s_and_saveexec_b32 s89, s88
	s_cbranch_execz .LBB8_2543
.LBB8_2547:                             ;   in Loop: Header=BB8_2544 Depth=3
	s_sleep 1
	s_trap 2
	ds_load_b64 v[4:5], v0
	s_wait_dscnt 0x0
	s_and_not1_b32 s78, s78, exec_lo
	v_cmp_ge_u64_e32 vcc_lo, v[4:5], v[80:81]
	s_or_not1_b32 s90, vcc_lo, exec_lo
	s_branch .LBB8_2543
.LBB8_2548:                             ;   in Loop: Header=BB8_2411 Depth=2
	s_or_b32 exec_lo, exec_lo, s76
	s_and_saveexec_b32 s76, s77
	s_delay_alu instid0(SALU_CYCLE_1)
	s_xor_b32 s76, exec_lo, s76
	s_cbranch_execz .LBB8_2550
; %bb.2549:                             ;   in Loop: Header=BB8_2411 Depth=2
	ds_store_b32 v0, v111
	s_trap 2
.LBB8_2550:                             ;   in Loop: Header=BB8_2411 Depth=2
	s_or_b32 exec_lo, exec_lo, s75
	;;#ASMSTART
	s_wakeup
	;;#ASMEND
.LBB8_2551:                             ;   in Loop: Header=BB8_2411 Depth=2
	s_or_b32 exec_lo, exec_lo, s74
.LBB8_2552:                             ;   in Loop: Header=BB8_2411 Depth=2
	s_and_not1_saveexec_b32 s41, s41
	s_cbranch_execz .LBB8_2554
; %bb.2553:                             ;   in Loop: Header=BB8_2411 Depth=2
	global_wb scope:SCOPE_DEV
	s_wait_storecnt 0x0
	s_wait_loadcnt_dscnt 0x0
	global_inv scope:SCOPE_DEV
	s_barrier_signal -1
	s_barrier_wait -1
.LBB8_2554:                             ;   in Loop: Header=BB8_2411 Depth=2
	s_or_b32 exec_lo, exec_lo, s41
	s_delay_alu instid0(SALU_CYCLE_1) | instskip(SKIP_1) | instid1(SALU_CYCLE_1)
	s_or_b32 exec_lo, exec_lo, s40
	s_and_saveexec_b32 s40, s10
	s_xor_b32 s40, exec_lo, s40
	s_cbranch_execnz .LBB8_2483
.LBB8_2555:                             ;   in Loop: Header=BB8_2411 Depth=2
	s_and_not1_saveexec_b32 s13, s40
	s_cbranch_execz .LBB8_2574
.LBB8_2556:                             ;   in Loop: Header=BB8_2411 Depth=2
	s_and_saveexec_b32 s40, s3
	s_delay_alu instid0(SALU_CYCLE_1)
	s_xor_b32 s40, exec_lo, s40
	s_cbranch_execz .LBB8_2571
; %bb.2557:                             ;   in Loop: Header=BB8_2411 Depth=2
	s_and_saveexec_b32 s41, s6
	s_cbranch_execz .LBB8_2570
; %bb.2558:                             ;   in Loop: Header=BB8_2411 Depth=2
	s_mov_b32 s75, exec_lo
	s_mov_b32 s74, exec_lo
	v_mbcnt_lo_u32_b32 v2, s75, 0
	;;#ASMSTART
	s_waitcnt lgkmcnt(0) vmcnt(0)
	;;#ASMEND
	s_delay_alu instid0(VALU_DEP_1)
	v_cmpx_eq_u32_e32 0, v2
	s_cbranch_execz .LBB8_2560
; %bb.2559:                             ;   in Loop: Header=BB8_2411 Depth=2
	s_bcnt1_i32_b32 s75, s75
	s_delay_alu instid0(SALU_CYCLE_1)
	v_mov_b32_e32 v2, s75
	s_wait_storecnt 0x0
	s_wait_loadcnt_dscnt 0x0
	ds_add_u64 v0, v[2:3]
	s_trap 2
.LBB8_2560:                             ;   in Loop: Header=BB8_2411 Depth=2
	s_or_b32 exec_lo, exec_lo, s74
	s_trap 2
	ds_load_b64 v[4:5], v0
	s_wait_dscnt 0x0
	v_add_nc_u64_e32 v[80:81], v[80:81], v[84:85]
	s_mov_b32 s74, exec_lo
	s_delay_alu instid0(VALU_DEP_1)
	v_cmpx_lt_u64_e64 v[4:5], v[80:81]
	s_cbranch_execz .LBB8_2569
; %bb.2561:                             ;   in Loop: Header=BB8_2411 Depth=2
	s_mov_b32 s75, 0
	s_mov_b32 s78, 0
                                        ; implicit-def: $sgpr76
                                        ; implicit-def: $sgpr77
	s_branch .LBB8_2563
.LBB8_2562:                             ;   in Loop: Header=BB8_2563 Depth=3
	s_or_b32 exec_lo, exec_lo, s88
	s_delay_alu instid0(SALU_CYCLE_1) | instskip(NEXT) | instid1(SALU_CYCLE_1)
	s_and_b32 s79, exec_lo, s89
	s_or_b32 s75, s79, s75
	s_and_not1_b32 s76, s76, exec_lo
	s_and_b32 s79, s77, exec_lo
	s_delay_alu instid0(SALU_CYCLE_1)
	s_or_b32 s76, s76, s79
	s_and_not1_b32 exec_lo, exec_lo, s75
	s_cbranch_execz .LBB8_2567
.LBB8_2563:                             ;   Parent Loop BB8_47 Depth=1
                                        ;     Parent Loop BB8_2411 Depth=2
                                        ; =>    This Inner Loop Header: Depth=3
	s_add_co_i32 s78, s78, 1
	s_delay_alu instid0(SALU_CYCLE_1) | instskip(SKIP_1) | instid1(SALU_CYCLE_1)
	s_cmp_lg_u32 s78, 0x2710
	s_cselect_b32 s79, -1, 0
	s_and_b32 vcc_lo, exec_lo, s79
	s_cbranch_vccz .LBB8_2565
; %bb.2564:                             ;   in Loop: Header=BB8_2563 Depth=3
	s_mov_b32 s89, -1
	s_or_b32 s77, s77, exec_lo
	s_and_saveexec_b32 s88, s79
	s_cbranch_execz .LBB8_2562
	s_branch .LBB8_2566
.LBB8_2565:                             ;   in Loop: Header=BB8_2563 Depth=3
	s_trap 2
	ds_load_b64 v[4:5], v0
	s_and_not1_b32 s79, s79, exec_lo
	s_mov_b32 s78, 0
	s_wait_storecnt 0x0
	s_wait_loadcnt_dscnt 0x0
	flat_load_b32 v2, v[4:5] scope:SCOPE_SYS
	s_wait_loadcnt_dscnt 0x0
	global_inv scope:SCOPE_SYS
	v_cmp_eq_u32_e32 vcc_lo, 0, v2
	s_and_b32 s88, vcc_lo, exec_lo
	s_delay_alu instid0(SALU_CYCLE_1)
	s_or_b32 s79, s79, s88
	s_mov_b32 s89, -1
	s_or_b32 s77, s77, exec_lo
	s_wait_xcnt 0x0
	s_and_saveexec_b32 s88, s79
	s_cbranch_execz .LBB8_2562
.LBB8_2566:                             ;   in Loop: Header=BB8_2563 Depth=3
	s_sleep 1
	s_trap 2
	ds_load_b64 v[4:5], v0
	s_wait_dscnt 0x0
	s_and_not1_b32 s77, s77, exec_lo
	v_cmp_ge_u64_e32 vcc_lo, v[4:5], v[80:81]
	s_or_not1_b32 s89, vcc_lo, exec_lo
	s_branch .LBB8_2562
.LBB8_2567:                             ;   in Loop: Header=BB8_2411 Depth=2
	s_or_b32 exec_lo, exec_lo, s75
	s_and_saveexec_b32 s75, s76
	s_delay_alu instid0(SALU_CYCLE_1)
	s_xor_b32 s75, exec_lo, s75
	s_cbranch_execz .LBB8_2569
; %bb.2568:                             ;   in Loop: Header=BB8_2411 Depth=2
	ds_store_b32 v0, v111
	s_trap 2
.LBB8_2569:                             ;   in Loop: Header=BB8_2411 Depth=2
	s_or_b32 exec_lo, exec_lo, s74
	;;#ASMSTART
	s_wakeup
	;;#ASMEND
.LBB8_2570:                             ;   in Loop: Header=BB8_2411 Depth=2
	s_or_b32 exec_lo, exec_lo, s41
.LBB8_2571:                             ;   in Loop: Header=BB8_2411 Depth=2
	s_and_not1_saveexec_b32 s40, s40
	s_cbranch_execz .LBB8_2573
; %bb.2572:                             ;   in Loop: Header=BB8_2411 Depth=2
	;;#ASMSTART
	s_waitcnt lgkmcnt(0) vmcnt(0)
	;;#ASMEND
	s_barrier_signal -1
	s_barrier_wait -1
.LBB8_2573:                             ;   in Loop: Header=BB8_2411 Depth=2
	s_or_b32 exec_lo, exec_lo, s40
.LBB8_2574:                             ;   in Loop: Header=BB8_2411 Depth=2
	s_delay_alu instid0(SALU_CYCLE_1) | instskip(SKIP_2) | instid1(VALU_DEP_1)
	s_or_b32 exec_lo, exec_lo, s13
	v_and_b32_e32 v2, 32, v30
	s_mov_b32 s13, exec_lo
	v_cmpx_ne_u32_e32 0, v2
	s_cbranch_execz .LBB8_2410
; %bb.2575:                             ;   in Loop: Header=BB8_2411 Depth=2
	v_add_nc_u64_e32 v[58:59], 2, v[58:59]
	global_wb scope:SCOPE_SYS
	s_wait_storecnt 0x0
	s_wait_loadcnt_dscnt 0x0
	flat_store_b64 v[64:65], v[58:59] scope:SCOPE_SYS
	s_branch .LBB8_2410
.LBB8_2576:                             ;   in Loop: Header=BB8_47 Depth=1
	s_or_b32 exec_lo, exec_lo, s15
.LBB8_2577:                             ;   in Loop: Header=BB8_47 Depth=1
	s_delay_alu instid0(SALU_CYCLE_1) | instskip(NEXT) | instid1(VALU_DEP_1)
	s_or_b32 exec_lo, exec_lo, s14
	v_cmp_gt_i32_e32 vcc_lo, 2, v2
	s_mov_b32 s14, exec_lo
	scratch_load_b64 v[18:19], off, s33 offset:280 ; 8-byte Folded Reload
	s_and_b32 s13, s14, vcc_lo
	s_wait_xcnt 0x0
	s_mov_b32 exec_lo, s13
	s_cbranch_execz .LBB8_46
; %bb.2578:                             ;   in Loop: Header=BB8_47 Depth=1
	v_cmp_eq_u32_e64 s18, 0, v2
	s_mov_b32 s15, 0
	s_branch .LBB8_2580
.LBB8_2579:                             ;   in Loop: Header=BB8_2580 Depth=2
	s_wait_xcnt 0x0
	s_or_b32 exec_lo, exec_lo, s13
	v_add_nc_u32_e32 v60, v91, v60
	s_mov_b32 s18, 0
	s_and_not1_b32 exec_lo, exec_lo, s15
	s_cbranch_execz .LBB8_45
.LBB8_2580:                             ;   Parent Loop BB8_47 Depth=1
                                        ; =>  This Loop Header: Depth=2
                                        ;       Child Loop BB8_2586 Depth 3
                                        ;       Child Loop BB8_2610 Depth 3
	;; [unrolled: 1-line block ×3, first 2 shown]
	v_and_b32_e32 v2, 4, v30
	s_mov_b32 s27, exec_lo
	s_delay_alu instid0(VALU_DEP_1)
	v_cmpx_ne_u32_e32 0, v2
	s_cbranch_execz .LBB8_2602
; %bb.2581:                             ;   in Loop: Header=BB8_2580 Depth=2
	v_add_nc_u64_e32 v[8:9], 2, v[58:59]
	s_mov_b32 s40, exec_lo
	s_wait_loadcnt_dscnt 0x1
	s_delay_alu instid0(VALU_DEP_1)
	v_cmpx_lt_u64_e64 v[82:83], v[8:9]
	s_cbranch_execz .LBB8_2593
; %bb.2582:                             ;   in Loop: Header=BB8_2580 Depth=2
	v_and_b32_e32 v2, 64, v30
	s_mov_b32 s41, 0
	s_mov_b32 s77, 0
                                        ; implicit-def: $sgpr74
                                        ; implicit-def: $sgpr75
                                        ; implicit-def: $sgpr76
	s_delay_alu instid0(VALU_DEP_1)
	v_cmp_eq_u32_e32 vcc_lo, 0, v2
	s_branch .LBB8_2586
.LBB8_2583:                             ;   in Loop: Header=BB8_2586 Depth=3
	s_wait_loadcnt_dscnt 0x0
	v_cmp_ge_u64_e64 s13, v[82:83], v[8:9]
	s_or_b32 s88, s88, exec_lo
	s_or_not1_b32 s79, s13, exec_lo
.LBB8_2584:                             ;   in Loop: Header=BB8_2586 Depth=3
	s_or_b32 exec_lo, exec_lo, s90
	s_delay_alu instid0(SALU_CYCLE_1)
	s_and_not1_b32 s13, s76, exec_lo
	s_and_b32 s76, s88, exec_lo
	s_and_not1_b32 s75, s75, exec_lo
	s_and_b32 s79, s79, exec_lo
	s_or_b32 s76, s13, s76
	s_or_b32 s75, s75, s79
.LBB8_2585:                             ;   in Loop: Header=BB8_2586 Depth=3
	s_or_b32 exec_lo, exec_lo, s78
	s_delay_alu instid0(SALU_CYCLE_1) | instskip(NEXT) | instid1(SALU_CYCLE_1)
	s_and_b32 s13, exec_lo, s75
	s_or_b32 s41, s13, s41
	s_and_not1_b32 s13, s74, exec_lo
	s_and_b32 s74, s76, exec_lo
	s_delay_alu instid0(SALU_CYCLE_1)
	s_or_b32 s74, s13, s74
	s_and_not1_b32 exec_lo, exec_lo, s41
	s_cbranch_execz .LBB8_2590
.LBB8_2586:                             ;   Parent Loop BB8_47 Depth=1
                                        ;     Parent Loop BB8_2580 Depth=2
                                        ; =>    This Inner Loop Header: Depth=3
	s_sleep 1
	s_wait_loadcnt_dscnt 0x0
	flat_load_b64 v[82:83], v[64:65] scope:SCOPE_SYS
	s_or_b32 s76, s76, exec_lo
	s_or_b32 s75, s75, exec_lo
                                        ; implicit-def: $vgpr2
	s_wait_xcnt 0x0
	s_and_saveexec_b32 s78, vcc_lo
	s_cbranch_execz .LBB8_2585
; %bb.2587:                             ;   in Loop: Header=BB8_2586 Depth=3
	s_cmp_lt_i32 s77, 0x270f
	s_mov_b32 s79, -1
	s_cselect_b32 s89, -1, 0
	s_cmp_gt_i32 s77, 0x270e
	s_cbranch_scc0 .LBB8_2589
; %bb.2588:                             ;   in Loop: Header=BB8_2586 Depth=3
	s_trap 2
	ds_load_b64 v[4:5], v0
	s_and_not1_b32 s77, s89, exec_lo
	s_mov_b32 s88, 0
	s_wait_storecnt 0x0
	s_wait_loadcnt_dscnt 0x0
	flat_load_b32 v2, v[4:5] scope:SCOPE_SYS
	s_wait_loadcnt_dscnt 0x0
	global_inv scope:SCOPE_SYS
	v_cmp_eq_u32_e64 s13, 0, v2
	s_and_b32 s13, s13, exec_lo
	s_delay_alu instid0(SALU_CYCLE_1)
	s_or_b32 s89, s77, s13
	s_mov_b32 s77, 0
	s_wait_xcnt 0x0
	s_and_saveexec_b32 s90, s89
	s_cbranch_execz .LBB8_2584
	s_branch .LBB8_2583
.LBB8_2589:                             ;   in Loop: Header=BB8_2586 Depth=3
	s_add_co_i32 s77, s77, 1
	s_mov_b32 s88, -1
                                        ; implicit-def: $vgpr2
	s_and_saveexec_b32 s90, s89
	s_cbranch_execz .LBB8_2584
	s_branch .LBB8_2583
.LBB8_2590:                             ;   in Loop: Header=BB8_2580 Depth=2
	s_or_b32 exec_lo, exec_lo, s41
	s_xor_b32 s13, s74, -1
	s_delay_alu instid0(SALU_CYCLE_1) | instskip(NEXT) | instid1(SALU_CYCLE_1)
	s_and_saveexec_b32 s41, s13
	s_xor_b32 s13, exec_lo, s41
	s_cbranch_execz .LBB8_2592
; %bb.2591:                             ;   in Loop: Header=BB8_2580 Depth=2
	v_or_b32_e32 v30, 64, v30
	s_wait_storecnt 0x0
	s_wait_loadcnt_dscnt 0x0
	ds_store_b32 v0, v2
	s_trap 2
.LBB8_2592:                             ;   in Loop: Header=BB8_2580 Depth=2
	s_or_b32 exec_lo, exec_lo, s13
.LBB8_2593:                             ;   in Loop: Header=BB8_2580 Depth=2
	s_delay_alu instid0(SALU_CYCLE_1) | instskip(SKIP_3) | instid1(VALU_DEP_1)
	s_or_b32 exec_lo, exec_lo, s40
	v_and_b32_e32 v2, 0x100, v30
	s_mov_b32 s13, -1
	;;#ASMSTART
	s_wakeup
	;;#ASMEND
                                        ; implicit-def: $vgpr10_vgpr11
	v_cmp_ne_u32_e32 vcc_lo, 0, v2
	v_and_b32_e32 v2, 7, v58
	s_and_saveexec_b32 s40, vcc_lo
	s_cbranch_execz .LBB8_2597
; %bb.2594:                             ;   in Loop: Header=BB8_2580 Depth=2
	s_delay_alu instid0(VALU_DEP_1)
	v_mad_nc_u64_u32 v[12:13], v2, 24, v[6:7]
	s_mov_b32 s41, exec_lo
                                        ; implicit-def: $vgpr10_vgpr11
	flat_load_b32 v4, v[12:13]
	s_wait_loadcnt_dscnt 0x0
	v_cmp_ne_u32_e32 vcc_lo, 1, v4
	s_wait_xcnt 0x0
	v_cmpx_eq_u32_e32 1, v4
	s_cbranch_execz .LBB8_2596
; %bb.2595:                             ;   in Loop: Header=BB8_2580 Depth=2
	flat_load_b32 v4, v[12:13] offset:4 scope:SCOPE_SYS
	s_wait_loadcnt_dscnt 0x0
	v_ashrrev_i32_e32 v5, 31, v4
	s_delay_alu instid0(VALU_DEP_1)
	v_lshrrev_b64 v[10:11], 1, v[4:5]
.LBB8_2596:                             ;   in Loop: Header=BB8_2580 Depth=2
	s_wait_xcnt 0x0
	s_or_b32 exec_lo, exec_lo, s41
	s_delay_alu instid0(SALU_CYCLE_1)
	s_or_not1_b32 s13, vcc_lo, exec_lo
.LBB8_2597:                             ;   in Loop: Header=BB8_2580 Depth=2
	s_or_b32 exec_lo, exec_lo, s40
	s_and_saveexec_b32 s40, s13
; %bb.2598:                             ;   in Loop: Header=BB8_2580 Depth=2
	v_mul_u64_e32 v[10:11], v[2:3], v[66:67]
; %bb.2599:                             ;   in Loop: Header=BB8_2580 Depth=2
	s_or_b32 exec_lo, exec_lo, s40
	v_and_b32_e32 v2, 0x2000, v30
	s_delay_alu instid0(VALU_DEP_2)
	v_lshl_add_u64 v[4:5], v[10:11], 1, v[68:69]
	s_mov_b32 s13, exec_lo
	ds_store_b64 v0, v[4:5] offset:720
	v_cmpx_ne_u32_e32 0, v2
	s_cbranch_execz .LBB8_2601
; %bb.2600:                             ;   in Loop: Header=BB8_2580 Depth=2
	ds_load_b64 v[4:5], v0 offset:872
	s_wait_dscnt 0x0
	v_add_nc_u64_e32 v[4:5], 1, v[4:5]
	ds_store_b64 v0, v[4:5] offset:872
.LBB8_2601:                             ;   in Loop: Header=BB8_2580 Depth=2
	s_or_b32 exec_lo, exec_lo, s13
	v_mov_b64_e32 v[58:59], v[8:9]
.LBB8_2602:                             ;   in Loop: Header=BB8_2580 Depth=2
	s_or_b32 exec_lo, exec_lo, s27
	s_xor_b32 s13, s18, -1
	s_delay_alu instid0(SALU_CYCLE_1) | instskip(NEXT) | instid1(SALU_CYCLE_1)
	s_and_b32 s13, exec_lo, s13
	s_or_b32 s15, s13, s15
	s_and_saveexec_b32 s13, s2
	s_cbranch_execz .LBB8_2621
; %bb.2603:                             ;   in Loop: Header=BB8_2580 Depth=2
	s_and_saveexec_b32 s18, s3
	s_delay_alu instid0(SALU_CYCLE_1)
	s_xor_b32 s18, exec_lo, s18
	s_cbranch_execz .LBB8_2618
; %bb.2604:                             ;   in Loop: Header=BB8_2580 Depth=2
	s_and_saveexec_b32 s27, s6
	s_cbranch_execz .LBB8_2617
; %bb.2605:                             ;   in Loop: Header=BB8_2580 Depth=2
	s_mov_b32 s41, exec_lo
	s_mov_b32 s40, exec_lo
	v_mbcnt_lo_u32_b32 v2, s41, 0
	global_wb scope:SCOPE_DEV
	s_wait_storecnt 0x0
	s_wait_loadcnt_dscnt 0x0
	global_inv scope:SCOPE_DEV
	v_cmpx_eq_u32_e32 0, v2
	s_cbranch_execz .LBB8_2607
; %bb.2606:                             ;   in Loop: Header=BB8_2580 Depth=2
	s_bcnt1_i32_b32 s41, s41
	s_delay_alu instid0(SALU_CYCLE_1)
	v_mov_b32_e32 v2, s41
	s_wait_loadcnt 0x0
	ds_add_u64 v0, v[2:3]
	s_trap 2
.LBB8_2607:                             ;   in Loop: Header=BB8_2580 Depth=2
	s_or_b32 exec_lo, exec_lo, s40
	s_trap 2
	ds_load_b64 v[4:5], v0
	s_wait_dscnt 0x0
	v_add_nc_u64_e32 v[80:81], v[80:81], v[84:85]
	s_mov_b32 s40, exec_lo
	s_delay_alu instid0(VALU_DEP_1)
	v_cmpx_lt_u64_e64 v[4:5], v[80:81]
	s_cbranch_execz .LBB8_2616
; %bb.2608:                             ;   in Loop: Header=BB8_2580 Depth=2
	s_mov_b32 s41, 0
	s_mov_b32 s76, 0
                                        ; implicit-def: $sgpr74
                                        ; implicit-def: $sgpr75
	s_branch .LBB8_2610
.LBB8_2609:                             ;   in Loop: Header=BB8_2610 Depth=3
	s_or_b32 exec_lo, exec_lo, s78
	s_delay_alu instid0(SALU_CYCLE_1) | instskip(NEXT) | instid1(SALU_CYCLE_1)
	s_and_b32 s77, exec_lo, s79
	s_or_b32 s41, s77, s41
	s_and_not1_b32 s74, s74, exec_lo
	s_and_b32 s77, s75, exec_lo
	s_delay_alu instid0(SALU_CYCLE_1)
	s_or_b32 s74, s74, s77
	s_and_not1_b32 exec_lo, exec_lo, s41
	s_cbranch_execz .LBB8_2614
.LBB8_2610:                             ;   Parent Loop BB8_47 Depth=1
                                        ;     Parent Loop BB8_2580 Depth=2
                                        ; =>    This Inner Loop Header: Depth=3
	s_add_co_i32 s76, s76, 1
	s_delay_alu instid0(SALU_CYCLE_1) | instskip(SKIP_1) | instid1(SALU_CYCLE_1)
	s_cmp_lg_u32 s76, 0x2710
	s_cselect_b32 s77, -1, 0
	s_and_b32 vcc_lo, exec_lo, s77
	s_cbranch_vccz .LBB8_2612
; %bb.2611:                             ;   in Loop: Header=BB8_2610 Depth=3
	s_mov_b32 s79, -1
	s_or_b32 s75, s75, exec_lo
	s_and_saveexec_b32 s78, s77
	s_cbranch_execz .LBB8_2609
	s_branch .LBB8_2613
.LBB8_2612:                             ;   in Loop: Header=BB8_2610 Depth=3
	s_trap 2
	ds_load_b64 v[4:5], v0
	s_and_not1_b32 s77, s77, exec_lo
	s_mov_b32 s76, 0
	s_wait_loadcnt_dscnt 0x0
	flat_load_b32 v2, v[4:5] scope:SCOPE_SYS
	s_wait_loadcnt_dscnt 0x0
	global_inv scope:SCOPE_SYS
	v_cmp_eq_u32_e32 vcc_lo, 0, v2
	s_and_b32 s78, vcc_lo, exec_lo
	s_delay_alu instid0(SALU_CYCLE_1)
	s_or_b32 s77, s77, s78
	s_mov_b32 s79, -1
	s_or_b32 s75, s75, exec_lo
	s_wait_xcnt 0x0
	s_and_saveexec_b32 s78, s77
	s_cbranch_execz .LBB8_2609
.LBB8_2613:                             ;   in Loop: Header=BB8_2610 Depth=3
	s_sleep 1
	s_trap 2
	ds_load_b64 v[4:5], v0
	s_wait_dscnt 0x0
	s_and_not1_b32 s75, s75, exec_lo
	v_cmp_ge_u64_e32 vcc_lo, v[4:5], v[80:81]
	s_or_not1_b32 s79, vcc_lo, exec_lo
	s_branch .LBB8_2609
.LBB8_2614:                             ;   in Loop: Header=BB8_2580 Depth=2
	s_or_b32 exec_lo, exec_lo, s41
	s_and_saveexec_b32 s41, s74
	s_delay_alu instid0(SALU_CYCLE_1)
	s_xor_b32 s41, exec_lo, s41
	s_cbranch_execz .LBB8_2616
; %bb.2615:                             ;   in Loop: Header=BB8_2580 Depth=2
	ds_store_b32 v0, v111
	s_trap 2
.LBB8_2616:                             ;   in Loop: Header=BB8_2580 Depth=2
	s_or_b32 exec_lo, exec_lo, s40
	;;#ASMSTART
	s_wakeup
	;;#ASMEND
.LBB8_2617:                             ;   in Loop: Header=BB8_2580 Depth=2
	s_or_b32 exec_lo, exec_lo, s27
.LBB8_2618:                             ;   in Loop: Header=BB8_2580 Depth=2
	s_and_not1_saveexec_b32 s18, s18
	s_cbranch_execz .LBB8_2620
; %bb.2619:                             ;   in Loop: Header=BB8_2580 Depth=2
	global_wb scope:SCOPE_DEV
	s_wait_storecnt 0x0
	s_wait_loadcnt_dscnt 0x0
	global_inv scope:SCOPE_DEV
	s_barrier_signal -1
	s_barrier_wait -1
.LBB8_2620:                             ;   in Loop: Header=BB8_2580 Depth=2
	s_or_b32 exec_lo, exec_lo, s18
.LBB8_2621:                             ;   in Loop: Header=BB8_2580 Depth=2
	s_delay_alu instid0(SALU_CYCLE_1) | instskip(SKIP_1) | instid1(VALU_DEP_1)
	s_or_b32 exec_lo, exec_lo, s13
	v_sub_nc_u32_e32 v2, v90, v60
	v_min_i32_e32 v91, v91, v2
	s_and_saveexec_b32 s13, s10
	s_delay_alu instid0(SALU_CYCLE_1)
	s_xor_b32 s18, exec_lo, s13
	s_cbranch_execz .LBB8_2625
; %bb.2622:                             ;   in Loop: Header=BB8_2580 Depth=2
	s_trap 2
	ds_load_b32 v2, v0
	v_cmp_lt_i32_e32 vcc_lo, 0, v91
	s_wait_dscnt 0x0
	v_readfirstlane_b32 s13, v2
	v_and_b32_e32 v2, 16, v30
	s_cmp_eq_u32 s13, 0
	s_delay_alu instid0(VALU_DEP_1) | instskip(SKIP_1) | instid1(SALU_CYCLE_1)
	v_cmp_ne_u32_e64 s13, 0, v2
	s_cselect_b32 s27, -1, 0
	s_and_b32 s27, vcc_lo, s27
	s_delay_alu instid0(SALU_CYCLE_1) | instskip(NEXT) | instid1(SALU_CYCLE_1)
	s_and_b32 s27, s13, s27
	s_and_saveexec_b32 s13, s27
	s_cbranch_execz .LBB8_2624
; %bb.2623:                             ;   in Loop: Header=BB8_2580 Depth=2
	global_wb scope:SCOPE_SYS
	s_wait_loadcnt 0x0
	s_wait_storecnt 0x0
	global_inv scope:SCOPE_SYS
.LBB8_2624:                             ;   in Loop: Header=BB8_2580 Depth=2
	s_or_b32 exec_lo, exec_lo, s13
.LBB8_2625:                             ;   in Loop: Header=BB8_2580 Depth=2
	s_and_not1_saveexec_b32 s13, s18
	s_cbranch_execz .LBB8_2644
; %bb.2626:                             ;   in Loop: Header=BB8_2580 Depth=2
	s_and_saveexec_b32 s18, s3
	s_delay_alu instid0(SALU_CYCLE_1)
	s_xor_b32 s18, exec_lo, s18
	s_cbranch_execz .LBB8_2641
; %bb.2627:                             ;   in Loop: Header=BB8_2580 Depth=2
	s_and_saveexec_b32 s27, s6
	s_cbranch_execz .LBB8_2640
; %bb.2628:                             ;   in Loop: Header=BB8_2580 Depth=2
	s_mov_b32 s41, exec_lo
	s_mov_b32 s40, exec_lo
	v_mbcnt_lo_u32_b32 v2, s41, 0
	;;#ASMSTART
	s_waitcnt lgkmcnt(0) vmcnt(0)
	;;#ASMEND
	s_delay_alu instid0(VALU_DEP_1)
	v_cmpx_eq_u32_e32 0, v2
	s_cbranch_execz .LBB8_2630
; %bb.2629:                             ;   in Loop: Header=BB8_2580 Depth=2
	s_bcnt1_i32_b32 s41, s41
	s_delay_alu instid0(SALU_CYCLE_1)
	v_mov_b32_e32 v2, s41
	s_wait_storecnt 0x0
	s_wait_loadcnt_dscnt 0x0
	ds_add_u64 v0, v[2:3]
	s_trap 2
.LBB8_2630:                             ;   in Loop: Header=BB8_2580 Depth=2
	s_or_b32 exec_lo, exec_lo, s40
	s_trap 2
	ds_load_b64 v[4:5], v0
	s_wait_dscnt 0x0
	v_add_nc_u64_e32 v[80:81], v[80:81], v[84:85]
	s_mov_b32 s40, exec_lo
	s_delay_alu instid0(VALU_DEP_1)
	v_cmpx_lt_u64_e64 v[4:5], v[80:81]
	s_cbranch_execz .LBB8_2639
; %bb.2631:                             ;   in Loop: Header=BB8_2580 Depth=2
	s_mov_b32 s41, 0
	s_mov_b32 s76, 0
                                        ; implicit-def: $sgpr74
                                        ; implicit-def: $sgpr75
	s_branch .LBB8_2633
.LBB8_2632:                             ;   in Loop: Header=BB8_2633 Depth=3
	s_or_b32 exec_lo, exec_lo, s78
	s_delay_alu instid0(SALU_CYCLE_1) | instskip(NEXT) | instid1(SALU_CYCLE_1)
	s_and_b32 s77, exec_lo, s79
	s_or_b32 s41, s77, s41
	s_and_not1_b32 s74, s74, exec_lo
	s_and_b32 s77, s75, exec_lo
	s_delay_alu instid0(SALU_CYCLE_1)
	s_or_b32 s74, s74, s77
	s_and_not1_b32 exec_lo, exec_lo, s41
	s_cbranch_execz .LBB8_2637
.LBB8_2633:                             ;   Parent Loop BB8_47 Depth=1
                                        ;     Parent Loop BB8_2580 Depth=2
                                        ; =>    This Inner Loop Header: Depth=3
	s_add_co_i32 s76, s76, 1
	s_delay_alu instid0(SALU_CYCLE_1) | instskip(SKIP_1) | instid1(SALU_CYCLE_1)
	s_cmp_lg_u32 s76, 0x2710
	s_cselect_b32 s77, -1, 0
	s_and_b32 vcc_lo, exec_lo, s77
	s_cbranch_vccz .LBB8_2635
; %bb.2634:                             ;   in Loop: Header=BB8_2633 Depth=3
	s_mov_b32 s79, -1
	s_or_b32 s75, s75, exec_lo
	s_and_saveexec_b32 s78, s77
	s_cbranch_execz .LBB8_2632
	s_branch .LBB8_2636
.LBB8_2635:                             ;   in Loop: Header=BB8_2633 Depth=3
	s_trap 2
	ds_load_b64 v[4:5], v0
	s_and_not1_b32 s77, s77, exec_lo
	s_mov_b32 s76, 0
	s_wait_storecnt 0x0
	s_wait_loadcnt_dscnt 0x0
	flat_load_b32 v2, v[4:5] scope:SCOPE_SYS
	s_wait_loadcnt_dscnt 0x0
	global_inv scope:SCOPE_SYS
	v_cmp_eq_u32_e32 vcc_lo, 0, v2
	s_and_b32 s78, vcc_lo, exec_lo
	s_delay_alu instid0(SALU_CYCLE_1)
	s_or_b32 s77, s77, s78
	s_mov_b32 s79, -1
	s_or_b32 s75, s75, exec_lo
	s_wait_xcnt 0x0
	s_and_saveexec_b32 s78, s77
	s_cbranch_execz .LBB8_2632
.LBB8_2636:                             ;   in Loop: Header=BB8_2633 Depth=3
	s_sleep 1
	s_trap 2
	ds_load_b64 v[4:5], v0
	s_wait_dscnt 0x0
	s_and_not1_b32 s75, s75, exec_lo
	v_cmp_ge_u64_e32 vcc_lo, v[4:5], v[80:81]
	s_or_not1_b32 s79, vcc_lo, exec_lo
	s_branch .LBB8_2632
.LBB8_2637:                             ;   in Loop: Header=BB8_2580 Depth=2
	s_or_b32 exec_lo, exec_lo, s41
	s_and_saveexec_b32 s41, s74
	s_delay_alu instid0(SALU_CYCLE_1)
	s_xor_b32 s41, exec_lo, s41
	s_cbranch_execz .LBB8_2639
; %bb.2638:                             ;   in Loop: Header=BB8_2580 Depth=2
	ds_store_b32 v0, v111
	s_trap 2
.LBB8_2639:                             ;   in Loop: Header=BB8_2580 Depth=2
	s_or_b32 exec_lo, exec_lo, s40
	;;#ASMSTART
	s_wakeup
	;;#ASMEND
.LBB8_2640:                             ;   in Loop: Header=BB8_2580 Depth=2
	s_or_b32 exec_lo, exec_lo, s27
.LBB8_2641:                             ;   in Loop: Header=BB8_2580 Depth=2
	s_and_not1_saveexec_b32 s18, s18
	s_cbranch_execz .LBB8_2643
; %bb.2642:                             ;   in Loop: Header=BB8_2580 Depth=2
	;;#ASMSTART
	s_waitcnt lgkmcnt(0) vmcnt(0)
	;;#ASMEND
	s_barrier_signal -1
	s_barrier_wait -1
.LBB8_2643:                             ;   in Loop: Header=BB8_2580 Depth=2
	s_or_b32 exec_lo, exec_lo, s18
.LBB8_2644:                             ;   in Loop: Header=BB8_2580 Depth=2
	s_delay_alu instid0(SALU_CYCLE_1) | instskip(SKIP_2) | instid1(VALU_DEP_1)
	s_or_b32 exec_lo, exec_lo, s13
	v_and_b32_e32 v2, 32, v30
	s_mov_b32 s13, exec_lo
	v_cmpx_ne_u32_e32 0, v2
	s_cbranch_execz .LBB8_2579
; %bb.2645:                             ;   in Loop: Header=BB8_2580 Depth=2
	v_add_nc_u64_e32 v[58:59], 2, v[58:59]
	global_wb scope:SCOPE_SYS
	s_wait_storecnt 0x0
	s_wait_loadcnt_dscnt 0x0
	flat_store_b64 v[64:65], v[58:59] scope:SCOPE_SYS
	s_branch .LBB8_2579
.LBB8_2646:
	s_or_b32 exec_lo, exec_lo, s73
	s_clause 0x1
	scratch_load_b64 v[24:25], off, s33 offset:288
	scratch_load_b32 v8, off, s33 offset:296
.LBB8_2647:
	s_wait_xcnt 0x0
	s_or_b32 exec_lo, exec_lo, s43
	v_and_b32_e32 v0, 0x800, v30
	s_mov_b32 s1, exec_lo
	s_delay_alu instid0(VALU_DEP_1)
	v_cmpx_eq_u32_e32 0, v0
	s_cbranch_execz .LBB8_2680
; %bb.2648:
	v_and_b32_e32 v0, 48, v30
	s_mov_b32 s0, exec_lo
	s_delay_alu instid0(VALU_DEP_1)
	v_cmpx_ne_u32_e32 0, v0
	s_cbranch_execz .LBB8_2650
; %bb.2649:
	s_wait_loadcnt 0x1
	flat_store_b64 v[24:25], v[58:59] offset:104
.LBB8_2650:
	s_wait_xcnt 0x0
	s_or_b32 exec_lo, exec_lo, s0
	v_and_b32_e32 v0, 0x88, v30
	s_mov_b32 s2, exec_lo
	s_delay_alu instid0(VALU_DEP_1)
	v_cmpx_eq_u32_e32 0x88, v0
	s_cbranch_execz .LBB8_2660
; %bb.2651:
	v_add_nc_u32_e32 v0, 6, v58
	s_mov_b32 s3, 0
	s_delay_alu instid0(VALU_DEP_1) | instskip(NEXT) | instid1(VALU_DEP_1)
	v_and_b32_e32 v0, 7, v0
	v_mad_nc_u64_u32 v[2:3], v0, 24, v[6:7]
	v_and_b32_e32 v0, 64, v30
	s_delay_alu instid0(VALU_DEP_1)
	v_cmp_eq_u32_e64 s0, 0, v0
	flat_load_b64 v[4:5], v[2:3] offset:8 scope:SCOPE_SYS
	s_wait_loadcnt_dscnt 0x0
	v_cmp_ne_u64_e32 vcc_lo, -1, v[4:5]
	s_and_b32 s0, vcc_lo, s0
	s_wait_xcnt 0x0
	s_and_b32 exec_lo, exec_lo, s0
	s_cbranch_execz .LBB8_2660
; %bb.2652:
	s_mov_b32 s5, 0
                                        ; implicit-def: $sgpr0
                                        ; implicit-def: $sgpr4
	s_branch .LBB8_2655
.LBB8_2653:                             ;   in Loop: Header=BB8_2655 Depth=1
	flat_load_b64 v[4:5], v[2:3] offset:8 scope:SCOPE_SYS
	s_wait_loadcnt 0x0
	s_and_not1_b32 s4, s4, exec_lo
	s_wait_dscnt 0x0
	v_cmp_eq_u64_e32 vcc_lo, -1, v[4:5]
	s_or_not1_b32 s7, vcc_lo, exec_lo
.LBB8_2654:                             ;   in Loop: Header=BB8_2655 Depth=1
	s_wait_xcnt 0x0
	s_or_b32 exec_lo, exec_lo, s10
	s_delay_alu instid0(SALU_CYCLE_1) | instskip(NEXT) | instid1(SALU_CYCLE_1)
	s_and_b32 s6, exec_lo, s7
	s_or_b32 s3, s6, s3
	s_and_not1_b32 s0, s0, exec_lo
	s_and_b32 s6, s4, exec_lo
	s_delay_alu instid0(SALU_CYCLE_1)
	s_or_b32 s0, s0, s6
	s_and_not1_b32 exec_lo, exec_lo, s3
	s_cbranch_execz .LBB8_2658
.LBB8_2655:                             ; =>This Inner Loop Header: Depth=1
	s_cmp_lt_i32 s5, 0x270f
	s_cselect_b32 s6, -1, 0
	s_delay_alu instid0(SALU_CYCLE_1)
	s_and_b32 vcc_lo, exec_lo, s6
	s_cbranch_vccnz .LBB8_2657
; %bb.2656:                             ;   in Loop: Header=BB8_2655 Depth=1
	s_trap 2
	ds_load_b64 v[4:5], v0
	s_and_not1_b32 s6, s6, exec_lo
	s_mov_b32 s5, 0
	s_wait_storecnt_dscnt 0x0
	flat_load_b32 v0, v[4:5] scope:SCOPE_SYS
	s_wait_loadcnt_dscnt 0x0
	global_inv scope:SCOPE_SYS
	v_cmp_eq_u32_e32 vcc_lo, 0, v0
	s_and_b32 s7, vcc_lo, exec_lo
	s_delay_alu instid0(SALU_CYCLE_1)
	s_or_b32 s6, s6, s7
	s_mov_b32 s7, -1
	s_or_b32 s4, s4, exec_lo
	s_wait_xcnt 0x0
	s_and_saveexec_b32 s10, s6
	s_cbranch_execz .LBB8_2654
	s_branch .LBB8_2653
.LBB8_2657:                             ;   in Loop: Header=BB8_2655 Depth=1
	s_add_co_i32 s5, s5, 1
                                        ; implicit-def: $vgpr0
	s_mov_b32 s7, -1
	s_or_b32 s4, s4, exec_lo
	s_and_saveexec_b32 s10, s6
	s_cbranch_execz .LBB8_2654
	s_branch .LBB8_2653
.LBB8_2658:
	s_or_b32 exec_lo, exec_lo, s3
	s_and_saveexec_b32 s3, s0
	s_delay_alu instid0(SALU_CYCLE_1)
	s_xor_b32 s3, exec_lo, s3
	s_cbranch_execz .LBB8_2660
; %bb.2659:
	s_wait_loadcnt 0x0
	s_wait_storecnt 0x0
	ds_store_b32 v0, v0
	s_trap 2
.LBB8_2660:
	s_or_b32 exec_lo, exec_lo, s2
	v_and_b32_e32 v0, 0x2000, v30
	s_mov_b32 s0, exec_lo
	s_delay_alu instid0(VALU_DEP_1)
	v_cmpx_ne_u32_e32 0, v0
	s_cbranch_execz .LBB8_2662
; %bb.2661:
	s_trap 2
	scratch_load_b64 v[4:5], off, s33 offset:300 th:TH_LOAD_LU ; 8-byte Folded Reload
	ds_load_b64 v[2:3], v0
	s_wait_loadcnt_dscnt 0x0
	flat_store_b64 v[4:5], v[2:3] offset:16
.LBB8_2662:
	s_wait_xcnt 0x0
	s_or_b32 exec_lo, exec_lo, s0
	v_cmp_ne_u32_e32 vcc_lo, 32, v1
	s_and_b32 exec_lo, exec_lo, vcc_lo
	s_cbranch_execz .LBB8_2680
; %bb.2663:
	s_mov_b32 s0, exec_lo
	s_wait_loadcnt 0x0
	v_cmpx_ne_u32_e64 v1, v8
	s_xor_b32 s0, exec_lo, s0
	s_cbranch_execz .LBB8_2678
; %bb.2664:
	v_and_b32_e32 v0, 31, v31
	s_mov_b32 s2, exec_lo
	s_delay_alu instid0(VALU_DEP_1)
	v_cmpx_eq_u32_e32 0, v0
	s_cbranch_execz .LBB8_2677
; %bb.2665:
	s_mov_b32 s4, exec_lo
	s_mov_b32 s3, exec_lo
	v_mbcnt_lo_u32_b32 v0, s4, 0
	global_wb scope:SCOPE_DEV
	s_wait_storecnt_dscnt 0x0
	global_inv scope:SCOPE_DEV
	v_cmpx_eq_u32_e32 0, v0
	s_cbranch_execz .LBB8_2667
; %bb.2666:
	s_bcnt1_i32_b32 s4, s4
	s_delay_alu instid0(SALU_CYCLE_1)
	v_dual_mov_b32 v3, 0 :: v_dual_mov_b32 v2, s4
	s_wait_loadcnt 0x0
	ds_add_u64 v0, v[2:3]
	s_trap 2
.LBB8_2667:
	s_or_b32 exec_lo, exec_lo, s3
	s_trap 2
	ds_load_b64 v[2:3], v0
	s_wait_dscnt 0x0
	v_dual_mov_b32 v1, 0 :: v_dual_lshrrev_b32 v0, 5, v1
	s_mov_b32 s3, exec_lo
	s_delay_alu instid0(VALU_DEP_1) | instskip(NEXT) | instid1(VALU_DEP_1)
	v_add_nc_u64_e32 v[0:1], v[80:81], v[0:1]
	v_cmpx_lt_u64_e64 v[2:3], v[0:1]
	s_cbranch_execz .LBB8_2676
; %bb.2668:
	s_mov_b32 s4, 0
	s_mov_b32 s7, 0
                                        ; implicit-def: $sgpr5
                                        ; implicit-def: $sgpr6
	s_branch .LBB8_2670
.LBB8_2669:                             ;   in Loop: Header=BB8_2670 Depth=1
	s_or_b32 exec_lo, exec_lo, s11
	s_delay_alu instid0(SALU_CYCLE_1) | instskip(NEXT) | instid1(SALU_CYCLE_1)
	s_and_b32 s10, exec_lo, s12
	s_or_b32 s4, s10, s4
	s_and_not1_b32 s5, s5, exec_lo
	s_and_b32 s10, s6, exec_lo
	s_delay_alu instid0(SALU_CYCLE_1)
	s_or_b32 s5, s5, s10
	s_and_not1_b32 exec_lo, exec_lo, s4
	s_cbranch_execz .LBB8_2674
.LBB8_2670:                             ; =>This Inner Loop Header: Depth=1
	s_add_co_i32 s7, s7, 1
	s_delay_alu instid0(SALU_CYCLE_1) | instskip(SKIP_1) | instid1(SALU_CYCLE_1)
	s_cmp_lg_u32 s7, 0x2710
	s_cselect_b32 s10, -1, 0
	s_and_b32 vcc_lo, exec_lo, s10
	s_cbranch_vccz .LBB8_2672
; %bb.2671:                             ;   in Loop: Header=BB8_2670 Depth=1
	s_mov_b32 s12, -1
	s_or_b32 s6, s6, exec_lo
	s_and_saveexec_b32 s11, s10
	s_cbranch_execz .LBB8_2669
	s_branch .LBB8_2673
.LBB8_2672:                             ;   in Loop: Header=BB8_2670 Depth=1
	s_trap 2
	ds_load_b64 v[2:3], v0
	s_and_not1_b32 s10, s10, exec_lo
	s_mov_b32 s7, 0
	s_wait_loadcnt_dscnt 0x0
	flat_load_b32 v2, v[2:3] scope:SCOPE_SYS
	s_wait_loadcnt_dscnt 0x0
	global_inv scope:SCOPE_SYS
	v_cmp_eq_u32_e32 vcc_lo, 0, v2
	s_and_b32 s11, vcc_lo, exec_lo
	s_delay_alu instid0(SALU_CYCLE_1)
	s_or_b32 s10, s10, s11
	s_mov_b32 s12, -1
	s_or_b32 s6, s6, exec_lo
	s_and_saveexec_b32 s11, s10
	s_cbranch_execz .LBB8_2669
.LBB8_2673:                             ;   in Loop: Header=BB8_2670 Depth=1
	s_sleep 1
	s_trap 2
	ds_load_b64 v[2:3], v0
	s_wait_dscnt 0x0
	s_and_not1_b32 s6, s6, exec_lo
	v_cmp_ge_u64_e32 vcc_lo, v[2:3], v[0:1]
	s_or_not1_b32 s12, vcc_lo, exec_lo
	s_branch .LBB8_2669
.LBB8_2674:
	s_or_b32 exec_lo, exec_lo, s4
	s_and_saveexec_b32 s4, s5
	s_delay_alu instid0(SALU_CYCLE_1)
	s_xor_b32 s4, exec_lo, s4
	s_cbranch_execz .LBB8_2676
; %bb.2675:
	v_mov_b32_e32 v0, 1
	ds_store_b32 v0, v0
	s_trap 2
.LBB8_2676:
	s_or_b32 exec_lo, exec_lo, s3
	;;#ASMSTART
	s_wakeup
	;;#ASMEND
.LBB8_2677:
	s_or_b32 exec_lo, exec_lo, s2
.LBB8_2678:
	s_and_not1_saveexec_b32 s0, s0
	s_cbranch_execz .LBB8_2680
; %bb.2679:
	global_wb scope:SCOPE_DEV
	s_wait_storecnt 0x0
	s_wait_loadcnt_dscnt 0x0
	global_inv scope:SCOPE_DEV
	s_barrier_signal -1
	s_barrier_wait -1
.LBB8_2680:
	s_or_b32 exec_lo, exec_lo, s1
.LBB8_2681:
	s_and_not1_saveexec_b32 s21, s42
	s_cbranch_execz .LBB8_2683
; %bb.2682:
	s_get_pc_i64 s[0:1]
	s_add_nc_u64 s[0:1], s[0:1], __PRETTY_FUNCTION__._ZN10PrimitivesI12hip_bfloat168FuncProdIS0_E12FanSymmetricILi1EELi0E11ProtoSimpleILi2ELi2ELi0ELi2ELi0ELi0EELi0ELb0ELi0ELi1ELi0EEC2EiiPKiS9_PKvPvmhhhP15ncclDevWorkCollP14ncclDevWorkP2pii@rel64+4
	s_get_pc_i64 s[2:3]
	s_add_nc_u64 s[2:3], s[2:3], __assert_fail@rel64+4
	v_dual_mov_b32 v0, s0 :: v_dual_mov_b32 v1, s1
	s_swap_pc_i64 s[30:31], s[2:3]
	; divergent unreachable
.LBB8_2683:
	s_or_b32 exec_lo, exec_lo, s21
	s_clause 0x2e
	scratch_load_b32 v126, off, s33
	scratch_load_b32 v125, off, s33 offset:4
	scratch_load_b32 v124, off, s33 offset:8
	;; [unrolled: 1-line block ×46, first 2 shown]
	v_readlane_b32 s30, v127, 0
	v_readlane_b32 s31, v127, 1
	s_mov_b32 s32, s33
	s_wait_xcnt 0x0
	s_or_saveexec_b32 s0, -1
	scratch_load_b32 v127, off, s33 offset:308 ; 4-byte Folded Reload
	s_wait_xcnt 0x0
	s_mov_b32 exec_lo, s0
	s_mov_b32 s33, s94
	s_wait_loadcnt_dscnt 0x0
	s_set_pc_i64 s[30:31]
.Lfunc_end8:
	.size	_ZN12_GLOBAL__N_17runRingI12hip_bfloat168FuncProdIS1_E11ProtoSimpleILi2ELi2ELi0ELi2ELi0ELi0EELi0ELi0ELi2ELi1EEEviiP15ncclDevWorkColl, .Lfunc_end8-_ZN12_GLOBAL__N_17runRingI12hip_bfloat168FuncProdIS1_E11ProtoSimpleILi2ELi2ELi0ELi2ELi0ELi0EELi0ELi0ELi2ELi1EEEviiP15ncclDevWorkColl
                                        ; -- End function
	.set .L_ZN12_GLOBAL__N_17runRingI12hip_bfloat168FuncProdIS1_E11ProtoSimpleILi2ELi2ELi0ELi2ELi0ELi0EELi0ELi0ELi2ELi1EEEviiP15ncclDevWorkColl.num_vgpr, max(128, .L__assert_fail.num_vgpr)
	.set .L_ZN12_GLOBAL__N_17runRingI12hip_bfloat168FuncProdIS1_E11ProtoSimpleILi2ELi2ELi0ELi2ELi0ELi0EELi0ELi0ELi2ELi1EEEviiP15ncclDevWorkColl.num_agpr, max(0, .L__assert_fail.num_agpr)
	.set .L_ZN12_GLOBAL__N_17runRingI12hip_bfloat168FuncProdIS1_E11ProtoSimpleILi2ELi2ELi0ELi2ELi0ELi0EELi0ELi0ELi2ELi1EEEviiP15ncclDevWorkColl.numbered_sgpr, max(95, .L__assert_fail.numbered_sgpr)
	.set .L_ZN12_GLOBAL__N_17runRingI12hip_bfloat168FuncProdIS1_E11ProtoSimpleILi2ELi2ELi0ELi2ELi0ELi0EELi0ELi0ELi2ELi1EEEviiP15ncclDevWorkColl.num_named_barrier, max(0, .L__assert_fail.num_named_barrier)
	.set .L_ZN12_GLOBAL__N_17runRingI12hip_bfloat168FuncProdIS1_E11ProtoSimpleILi2ELi2ELi0ELi2ELi0ELi0EELi0ELi0ELi2ELi1EEEviiP15ncclDevWorkColl.private_seg_size, 320+max(.L__assert_fail.private_seg_size)
	.set .L_ZN12_GLOBAL__N_17runRingI12hip_bfloat168FuncProdIS1_E11ProtoSimpleILi2ELi2ELi0ELi2ELi0ELi0EELi0ELi0ELi2ELi1EEEviiP15ncclDevWorkColl.uses_vcc, or(1, .L__assert_fail.uses_vcc)
	.set .L_ZN12_GLOBAL__N_17runRingI12hip_bfloat168FuncProdIS1_E11ProtoSimpleILi2ELi2ELi0ELi2ELi0ELi0EELi0ELi0ELi2ELi1EEEviiP15ncclDevWorkColl.uses_flat_scratch, or(1, .L__assert_fail.uses_flat_scratch)
	.set .L_ZN12_GLOBAL__N_17runRingI12hip_bfloat168FuncProdIS1_E11ProtoSimpleILi2ELi2ELi0ELi2ELi0ELi0EELi0ELi0ELi2ELi1EEEviiP15ncclDevWorkColl.has_dyn_sized_stack, or(0, .L__assert_fail.has_dyn_sized_stack)
	.set .L_ZN12_GLOBAL__N_17runRingI12hip_bfloat168FuncProdIS1_E11ProtoSimpleILi2ELi2ELi0ELi2ELi0ELi0EELi0ELi0ELi2ELi1EEEviiP15ncclDevWorkColl.has_recursion, or(1, .L__assert_fail.has_recursion)
	.set .L_ZN12_GLOBAL__N_17runRingI12hip_bfloat168FuncProdIS1_E11ProtoSimpleILi2ELi2ELi0ELi2ELi0ELi0EELi0ELi0ELi2ELi1EEEviiP15ncclDevWorkColl.has_indirect_call, or(0, .L__assert_fail.has_indirect_call)
	.section	.AMDGPU.csdata,"",@progbits
; Function info:
; codeLenInByte = 90984
; TotalNumSgprs: 97
; NumVgprs: 128
; ScratchSize: 384
; MemoryBound: 1
	.text
	.p2align	2                               ; -- Begin function _Z49ncclDevFunc_AllReduce_RING_SIMPLE_Prod_bf16_0_1_2v
	.type	_Z49ncclDevFunc_AllReduce_RING_SIMPLE_Prod_bf16_0_1_2v,@function
_Z49ncclDevFunc_AllReduce_RING_SIMPLE_Prod_bf16_0_1_2v: ; @_Z49ncclDevFunc_AllReduce_RING_SIMPLE_Prod_bf16_0_1_2v
; %bb.0:
	s_wait_loadcnt_dscnt 0x0
	s_wait_kmcnt 0x0
	s_mov_b32 s0, s33
	s_mov_b32 s33, s32
	s_or_saveexec_b32 s1, -1
	scratch_store_b32 off, v42, s33 offset:12 ; 4-byte Folded Spill
	s_wait_xcnt 0x0
	s_mov_b32 exec_lo, s1
	v_writelane_b32 v42, s0, 7
	s_add_co_i32 s32, s32, 32
	s_clause 0x2
	scratch_store_b32 off, v40, s33 offset:8
	; meta instruction
	scratch_store_b32 off, v41, s33 offset:4
	; meta instruction
	scratch_store_b32 off, v127, s33
	v_writelane_b32 v42, s34, 0
	v_writelane_b32 v42, s35, 1
	v_writelane_b32 v42, s36, 2
	v_writelane_b32 v42, s37, 3
	v_writelane_b32 v42, s38, 4
	v_writelane_b32 v42, s30, 5
	v_writelane_b32 v42, s31, 6
	s_trap 2
	ds_load_b32 v0, v0
	s_wait_xcnt 0x2
	v_mov_b32_e32 v40, v31
	s_mov_b64 s[34:35], s[8:9]
	s_wait_dscnt 0x0
	v_cmp_gt_i32_e32 vcc_lo, 1, v0
	s_cbranch_vccnz .LBB9_8
; %bb.1:
	s_wait_xcnt 0x1
	v_and_b32_e32 v41, 0x3ff, v40
	s_mov_b32 s95, s12
	s_mov_b32 vcc_hi, 0
	s_get_pc_i64 s[36:37]
	s_add_nc_u64 s[36:37], s[36:37], _ZN12_GLOBAL__N_17runRingI12hip_bfloat168FuncProdIS1_E11ProtoSimpleILi2ELi2ELi0ELi2ELi0ELi0EELi0ELi0ELi2ELi1EEEviiP15ncclDevWorkColl@rel64+4
	s_branch .LBB9_3
.LBB9_2:                                ;   in Loop: Header=BB9_3 Depth=1
	s_or_b32 exec_lo, exec_lo, s38
	s_trap 2
	ds_load_b32 v0, v0
	s_add_co_i32 vcc_hi, vcc_hi, 1
	s_wait_dscnt 0x0
	v_cmp_lt_i32_e32 vcc_lo, vcc_hi, v0
	s_cbranch_vccz .LBB9_8
.LBB9_3:                                ; =>This Inner Loop Header: Depth=1
	s_trap 2
	ds_load_b32 v0, v0
	s_cmp_eq_u32 vcc_hi, 0
	s_cbranch_scc1 .LBB9_6
; %bb.4:                                ;   in Loop: Header=BB9_3 Depth=1
	s_trap 2
	s_wait_dscnt 0x0
	ds_load_b32 v1, v0
	s_wait_dscnt 0x0
	v_xor_b32_e32 v1, v1, v0
	s_delay_alu instid0(VALU_DEP_1) | instskip(NEXT) | instid1(VALU_DEP_1)
	v_and_b32_e32 v1, 0xff0000, v1
	v_cmp_eq_u32_e32 vcc_lo, 0, v1
	s_cbranch_vccnz .LBB9_6
; %bb.5:                                ;   in Loop: Header=BB9_3 Depth=1
	s_wait_storecnt 0x0
	s_barrier_signal -1
	s_barrier_wait -1
	ds_load_b32 v0, v0
.LBB9_6:                                ;   in Loop: Header=BB9_3 Depth=1
	s_wait_dscnt 0x0
	v_lshrrev_b32_e32 v0, 11, v0
	s_mov_b32 s38, exec_lo
	s_delay_alu instid0(VALU_DEP_1) | instskip(SKIP_1) | instid1(VALU_DEP_1)
	v_and_b32_e32 v1, 0x1fe0, v0
	s_wait_xcnt 0x0
	v_cmpx_lt_u32_e64 v41, v1
	s_cbranch_execz .LBB9_2
; %bb.7:                                ;   in Loop: Header=BB9_3 Depth=1
	s_mov_b64 s[0:1], src_shared_base
	v_dual_mov_b32 v31, v40 :: v_dual_mov_b32 v0, v41
	v_mov_b32_e32 v3, s1
	s_mov_b64 s[8:9], s[34:35]
	s_mov_b32 s12, s95
	s_swap_pc_i64 s[30:31], s[36:37]
	s_branch .LBB9_2
.LBB9_8:
	s_clause 0x2
	scratch_load_b32 v127, off, s33
	scratch_load_b32 v41, off, s33 offset:4
	scratch_load_b32 v40, off, s33 offset:8
	v_readlane_b32 s30, v42, 5
	v_readlane_b32 s31, v42, 6
	;; [unrolled: 1-line block ×7, first 2 shown]
	s_mov_b32 s32, s33
	v_readlane_b32 s0, v42, 7
	s_wait_xcnt 0x0
	s_or_saveexec_b32 s1, -1
	scratch_load_b32 v42, off, s33 offset:12 ; 4-byte Folded Reload
	s_wait_xcnt 0x0
	s_mov_b32 exec_lo, s1
	s_mov_b32 s33, s0
	s_wait_loadcnt 0x0
	s_set_pc_i64 s[30:31]
.Lfunc_end9:
	.size	_Z49ncclDevFunc_AllReduce_RING_SIMPLE_Prod_bf16_0_1_2v, .Lfunc_end9-_Z49ncclDevFunc_AllReduce_RING_SIMPLE_Prod_bf16_0_1_2v
                                        ; -- End function
	.set .L_Z49ncclDevFunc_AllReduce_RING_SIMPLE_Prod_bf16_0_1_2v.num_vgpr, max(128, .L_ZN12_GLOBAL__N_17runRingI12hip_bfloat168FuncProdIS1_E11ProtoSimpleILi2ELi2ELi0ELi2ELi0ELi0EELi0ELi0ELi2ELi1EEEviiP15ncclDevWorkColl.num_vgpr)
	.set .L_Z49ncclDevFunc_AllReduce_RING_SIMPLE_Prod_bf16_0_1_2v.num_agpr, max(0, .L_ZN12_GLOBAL__N_17runRingI12hip_bfloat168FuncProdIS1_E11ProtoSimpleILi2ELi2ELi0ELi2ELi0ELi0EELi0ELi0ELi2ELi1EEEviiP15ncclDevWorkColl.num_agpr)
	.set .L_Z49ncclDevFunc_AllReduce_RING_SIMPLE_Prod_bf16_0_1_2v.numbered_sgpr, max(96, .L_ZN12_GLOBAL__N_17runRingI12hip_bfloat168FuncProdIS1_E11ProtoSimpleILi2ELi2ELi0ELi2ELi0ELi0EELi0ELi0ELi2ELi1EEEviiP15ncclDevWorkColl.numbered_sgpr)
	.set .L_Z49ncclDevFunc_AllReduce_RING_SIMPLE_Prod_bf16_0_1_2v.num_named_barrier, max(0, .L_ZN12_GLOBAL__N_17runRingI12hip_bfloat168FuncProdIS1_E11ProtoSimpleILi2ELi2ELi0ELi2ELi0ELi0EELi0ELi0ELi2ELi1EEEviiP15ncclDevWorkColl.num_named_barrier)
	.set .L_Z49ncclDevFunc_AllReduce_RING_SIMPLE_Prod_bf16_0_1_2v.private_seg_size, 32+max(.L_ZN12_GLOBAL__N_17runRingI12hip_bfloat168FuncProdIS1_E11ProtoSimpleILi2ELi2ELi0ELi2ELi0ELi0EELi0ELi0ELi2ELi1EEEviiP15ncclDevWorkColl.private_seg_size)
	.set .L_Z49ncclDevFunc_AllReduce_RING_SIMPLE_Prod_bf16_0_1_2v.uses_vcc, or(1, .L_ZN12_GLOBAL__N_17runRingI12hip_bfloat168FuncProdIS1_E11ProtoSimpleILi2ELi2ELi0ELi2ELi0ELi0EELi0ELi0ELi2ELi1EEEviiP15ncclDevWorkColl.uses_vcc)
	.set .L_Z49ncclDevFunc_AllReduce_RING_SIMPLE_Prod_bf16_0_1_2v.uses_flat_scratch, or(1, .L_ZN12_GLOBAL__N_17runRingI12hip_bfloat168FuncProdIS1_E11ProtoSimpleILi2ELi2ELi0ELi2ELi0ELi0EELi0ELi0ELi2ELi1EEEviiP15ncclDevWorkColl.uses_flat_scratch)
	.set .L_Z49ncclDevFunc_AllReduce_RING_SIMPLE_Prod_bf16_0_1_2v.has_dyn_sized_stack, or(0, .L_ZN12_GLOBAL__N_17runRingI12hip_bfloat168FuncProdIS1_E11ProtoSimpleILi2ELi2ELi0ELi2ELi0ELi0EELi0ELi0ELi2ELi1EEEviiP15ncclDevWorkColl.has_dyn_sized_stack)
	.set .L_Z49ncclDevFunc_AllReduce_RING_SIMPLE_Prod_bf16_0_1_2v.has_recursion, or(1, .L_ZN12_GLOBAL__N_17runRingI12hip_bfloat168FuncProdIS1_E11ProtoSimpleILi2ELi2ELi0ELi2ELi0ELi0EELi0ELi0ELi2ELi1EEEviiP15ncclDevWorkColl.has_recursion)
	.set .L_Z49ncclDevFunc_AllReduce_RING_SIMPLE_Prod_bf16_0_1_2v.has_indirect_call, or(0, .L_ZN12_GLOBAL__N_17runRingI12hip_bfloat168FuncProdIS1_E11ProtoSimpleILi2ELi2ELi0ELi2ELi0ELi0EELi0ELi0ELi2ELi1EEEviiP15ncclDevWorkColl.has_indirect_call)
	.section	.AMDGPU.csdata,"",@progbits
; Function info:
; codeLenInByte = 560
; TotalNumSgprs: 98
; NumVgprs: 128
; ScratchSize: 416
; MemoryBound: 0
	.text
	.p2align	2                               ; -- Begin function _ZN12_GLOBAL__N_17runRingI12hip_bfloat168FuncProdIS1_E11ProtoSimpleILi2ELi2ELi0ELi4ELi0ELi0EELi0ELi0ELi4ELi0EEEviiP15ncclDevWorkColl
	.type	_ZN12_GLOBAL__N_17runRingI12hip_bfloat168FuncProdIS1_E11ProtoSimpleILi2ELi2ELi0ELi4ELi0ELi0EELi0ELi0ELi4ELi0EEEviiP15ncclDevWorkColl,@function
_ZN12_GLOBAL__N_17runRingI12hip_bfloat168FuncProdIS1_E11ProtoSimpleILi2ELi2ELi0ELi4ELi0ELi0EELi0ELi0ELi4ELi0EEEviiP15ncclDevWorkColl: ; @_ZN12_GLOBAL__N_17runRingI12hip_bfloat168FuncProdIS1_E11ProtoSimpleILi2ELi2ELi0ELi4ELi0ELi0EELi0ELi0ELi4ELi0EEEviiP15ncclDevWorkColl
; %bb.0:
	s_wait_loadcnt_dscnt 0x0
	s_wait_kmcnt 0x0
	s_mov_b32 s79, s33
	s_mov_b32 s33, s32
	s_or_saveexec_b32 s0, -1
	scratch_store_b32 off, v127, s33 offset:216 ; 4-byte Folded Spill
	s_wait_xcnt 0x0
	s_mov_b32 exec_lo, s0
	s_addk_co_i32 s32, 0xe0
	s_clause 0x2e
	scratch_store_b32 off, v40, s33 offset:184
	; meta instruction
	scratch_store_b32 off, v41, s33 offset:180
	; meta instruction
	;; [unrolled: 2-line block ×46, first 2 shown]
	scratch_store_b32 off, v126, s33
	v_writelane_b32 v127, s30, 0
	v_writelane_b32 v127, s31, 1
	s_trap 2
	flat_load_b32 v7, v[2:3]
	ds_load_b32 v6, v0
	s_mov_b32 s0, exec_lo
                                        ; implicit-def: $vgpr4_vgpr5
                                        ; implicit-def: $vgpr14_vgpr15
                                        ; kill: killed $vgpr4_vgpr5
                                        ; implicit-def: $vgpr4_vgpr5
	s_wait_dscnt 0x0
	v_readfirstlane_b32 s16, v6
	s_wait_loadcnt 0x0
	v_and_b32_e32 v8, 0xff, v7
	s_wait_xcnt 0x0
	s_delay_alu instid0(VALU_DEP_1)
	v_cmpx_ne_u32_e64 v6, v8
	s_xor_b32 s0, exec_lo, s0
	s_cbranch_execz .LBB10_6
; %bb.1:
	v_bfe_u32 v9, v7, 8, 8
	v_not_b32_e32 v8, v8
	s_mov_b32 s1, exec_lo
                                        ; implicit-def: $vgpr4_vgpr5
                                        ; implicit-def: $vgpr14_vgpr15
                                        ; kill: killed $vgpr4_vgpr5
                                        ; implicit-def: $vgpr4_vgpr5
	s_delay_alu instid0(VALU_DEP_2)
	v_cmpx_ne_u32_e64 v6, v9
	s_xor_b32 s1, exec_lo, s1
	s_cbranch_execz .LBB10_3
; %bb.2:
	s_clause 0x1
	flat_load_b128 v[10:13], v[2:3] offset:72
	flat_load_b64 v[4:5], v[2:3] offset:96
	v_add_nc_u32_e32 v6, v6, v8
	s_wait_loadcnt_dscnt 0x101
	s_delay_alu instid0(VALU_DEP_1) | instskip(SKIP_3) | instid1(VALU_DEP_3)
	v_mad_nc_u64_u32 v[8:9], v12, v6, v[10:11]
	s_wait_loadcnt_dscnt 0x0
	v_lshrrev_b64 v[14:15], 13, v[4:5]
	v_mov_b64_e32 v[4:5], v[12:13]
	v_mad_u32 v7, v13, v6, v9
	v_ashrrev_i32_e32 v6, 31, v6
	s_delay_alu instid0(VALU_DEP_1)
	v_mad_u32 v9, v12, v6, v7
	scratch_store_b64 off, v[8:9], s33 offset:188 ; 8-byte Folded Spill
                                        ; implicit-def: $vgpr9
                                        ; implicit-def: $vgpr8
.LBB10_3:
	s_wait_xcnt 0x0
	s_and_not1_saveexec_b32 s1, s1
	s_cbranch_execz .LBB10_5
; %bb.4:
	s_clause 0x1
	flat_load_b128 v[10:13], v[2:3] offset:72
	flat_load_b128 v[4:7], v[2:3] offset:88
	s_wait_loadcnt_dscnt 0x0
	v_dual_add_nc_u32 v6, v9, v8 :: v_dual_lshrrev_b32 v14, 2, v7
	s_delay_alu instid0(VALU_DEP_1) | instskip(NEXT) | instid1(VALU_DEP_1)
	v_mad_nc_u64_u32 v[10:11], v12, v6, v[10:11]
	v_mad_u32 v8, v13, v6, v11
	v_ashrrev_i32_e32 v6, 31, v6
	s_delay_alu instid0(VALU_DEP_1)
	v_mad_u32 v11, v12, v6, v8
	scratch_store_b64 off, v[10:11], s33 offset:188 ; 8-byte Folded Spill
.LBB10_5:
	s_wait_xcnt 0x0
	s_or_b32 exec_lo, exec_lo, s1
.LBB10_6:
	s_and_not1_saveexec_b32 s0, s0
	s_cbranch_execz .LBB10_8
; %bb.7:
	s_clause 0x1
	flat_load_b64 v[6:7], v[2:3] offset:96
	flat_load_b64 v[4:5], v[2:3] offset:72
	s_wait_loadcnt_dscnt 0x101
	v_lshlrev_b64_e32 v[14:15], 8, v[6:7]
	v_mov_b64_e32 v[6:7], 0
	scratch_store_b64 off, v[6:7], s33 offset:188 ; 8-byte Folded Spill
.LBB10_8:
	s_wait_xcnt 0x0
	s_or_b32 exec_lo, exec_lo, s0
	s_trap 2
	ds_load_b64 v[6:7], v0
	s_mov_b32 s1, 0
	s_mov_b32 s2, exec_lo
	s_wait_dscnt 0x0
	v_cmp_ne_u32_e32 vcc_lo, -1, v6
	v_cndmask_b32_e64 v15, 0, 1, vcc_lo
	v_cmp_ne_u32_e32 vcc_lo, -1, v7
	s_delay_alu instid0(VALU_DEP_2) | instskip(NEXT) | instid1(VALU_DEP_1)
	v_add_co_ci_u32_e64 v8, null, 0, v15, vcc_lo
	v_lshlrev_b32_e32 v6, 1, v8
	s_delay_alu instid0(VALU_DEP_1)
	v_cmpx_le_u32_e64 v6, v1
	s_xor_b32 s42, exec_lo, s2
	s_cbranch_execz .LBB10_1942
; %bb.9:
	s_clause 0x3
	flat_load_b128 v[10:13], v[2:3] offset:16
	flat_load_b64 v[16:17], v[2:3] offset:104
	flat_load_u16 v7, v[2:3] offset:8
	flat_load_b32 v6, v[2:3] offset:4
	s_trap 2
	s_load_b32 s0, s[8:9], 0x0
	s_bfe_u32 s2, ttmp6, 0x4000c
	s_and_b32 s3, ttmp6, 15
	s_add_co_i32 s2, s2, 1
	s_getreg_b32 s4, hwreg(HW_REG_IB_STS2, 6, 4)
	s_mul_i32 s2, ttmp9, s2
	v_dual_mov_b32 v9, 0 :: v_dual_mov_b32 v30, 4
	s_add_co_i32 s3, s3, s2
	s_cmp_eq_u32 s4, 0
	s_cselect_b32 s2, ttmp9, s3
	s_wait_kmcnt 0x0
	s_cmp_lt_u32 s2, s0
	s_cselect_b32 s0, 12, 18
	s_delay_alu instid0(SALU_CYCLE_1)
	s_add_nc_u64 s[0:1], s[8:9], s[0:1]
	global_load_u16 v18, v9, s[0:1]
	s_wait_xcnt 0x0
	ds_load_b32 v9, v0
	s_mov_b32 s1, exec_lo
	s_wait_dscnt 0x0
	v_readfirstlane_b32 s6, v9
	v_cmpx_ge_i32_e64 v0, v15
	s_cbranch_execz .LBB10_19
; %bb.10:
	v_cmp_ge_u32_e64 s0, v0, v8
                                        ; implicit-def: $vgpr30
	s_and_saveexec_b32 s2, s0
	s_delay_alu instid0(SALU_CYCLE_1)
	s_xor_b32 s0, exec_lo, s2
	s_cbranch_execz .LBB10_16
; %bb.11:
	v_cndmask_b32_e64 v9, 0, 1, vcc_lo
	s_mov_b32 s2, exec_lo
	s_delay_alu instid0(VALU_DEP_1) | instskip(NEXT) | instid1(VALU_DEP_1)
	v_sub_nc_u32_e32 v9, v1, v9
	v_cmpx_ge_u32_e64 v0, v9
	s_xor_b32 s2, exec_lo, s2
; %bb.12:
                                        ; implicit-def: $vgpr8
; %bb.13:
	s_delay_alu instid0(SALU_CYCLE_1)
	s_or_saveexec_b32 s2, s2
	v_mov_b32_e32 v30, 16
	s_xor_b32 exec_lo, exec_lo, s2
; %bb.14:
	v_sub_nc_u32_e32 v8, v1, v8
	s_delay_alu instid0(VALU_DEP_1)
	v_cmp_lt_i32_e32 vcc_lo, v0, v8
	v_cndmask_b32_e64 v30, 32, 0, vcc_lo
; %bb.15:
	s_or_b32 exec_lo, exec_lo, s2
.LBB10_16:
	s_and_not1_saveexec_b32 s0, s0
; %bb.17:
	v_mov_b32_e32 v30, 8
; %bb.18:
	s_or_b32 exec_lo, exec_lo, s0
.LBB10_19:
	s_delay_alu instid0(SALU_CYCLE_1) | instskip(NEXT) | instid1(VALU_DEP_1)
	s_or_b32 exec_lo, exec_lo, s1
	v_dual_mov_b32 v19, -1 :: v_dual_bitop2_b32 v8, 36, v30 bitop3:0x40
	s_delay_alu instid0(VALU_DEP_1)
	v_cmp_ne_u32_e32 vcc_lo, 0, v8
	s_and_saveexec_b32 s0, vcc_lo
	s_cbranch_execz .LBB10_21
; %bb.20:
	s_trap 2
	ds_load_b32 v19, v0
.LBB10_21:
	s_or_b32 exec_lo, exec_lo, s0
	v_and_b32_e32 v8, 24, v30
	s_mov_b32 s1, exec_lo
	s_delay_alu instid0(VALU_DEP_1)
	v_cmpx_ne_u32_e32 0, v8
	s_cbranch_execz .LBB10_23
; %bb.22:
	s_trap 2
	s_wait_dscnt 0x0
	ds_load_b32 v19, v0
.LBB10_23:
	s_or_b32 exec_lo, exec_lo, s1
	s_wait_loadcnt 0x1
	v_lshrrev_b64 v[8:9], 31, v[6:7]
	v_mov_b64_e32 v[22:23], 0
	v_mov_b64_e32 v[6:7], 0
                                        ; implicit-def: $vgpr66
                                        ; implicit-def: $vgpr60_vgpr61
                                        ; implicit-def: $vgpr68_vgpr69
                                        ; implicit-def: $vgpr82_vgpr83
                                        ; implicit-def: $vgpr64_vgpr65
	s_delay_alu instid0(VALU_DEP_3)
	v_and_b32_e32 v20, 3, v8
                                        ; implicit-def: $vgpr8_vgpr9
                                        ; kill: killed $vgpr8_vgpr9
	s_and_saveexec_b32 s0, vcc_lo
	s_cbranch_execz .LBB10_33
; %bb.24:
	s_trap 2
	ds_load_b64 v[6:7], v0
	v_and_b32_e32 v8, 0xffff, v20
	s_wait_dscnt 0x0
	v_readfirstlane_b32 s2, v6
	v_readfirstlane_b32 s3, v7
	flat_load_b64 v[6:7], v19, s[2:3] scale_offset
	s_wait_loadcnt_dscnt 0x0
	v_mad_nc_u64_u32 v[8:9], 0xa8, v8, v[6:7]
	flat_load_b32 v6, v[8:9] offset:640
	s_wait_loadcnt_dscnt 0x0
	v_cmp_eq_u32_e32 vcc_lo, 1, v6
                                        ; implicit-def: $vgpr6_vgpr7
                                        ; kill: killed $vgpr6_vgpr7
	s_wait_xcnt 0x0
	s_and_saveexec_b32 s1, vcc_lo
	s_cbranch_execz .LBB10_26
; %bb.25:
	flat_load_b64 v[22:23], v[8:9] offset:648
	v_or_b32_e32 v30, 0x2000, v30
	s_wait_loadcnt_dscnt 0x0
	flat_load_b64 v[6:7], v[22:23]
	s_trap 2
	scratch_store_b64 off, v[22:23], s33 offset:208 ; 8-byte Folded Spill
	s_wait_loadcnt_dscnt 0x0
	ds_store_b64 v0, v[6:7]
	flat_load_b64 v[6:7], v[22:23] offset:8
	s_wait_loadcnt_dscnt 0x0
	ds_store_b64 v0, v[6:7]
	flat_load_b64 v[6:7], v[22:23] offset:16
	s_wait_loadcnt_dscnt 0x0
	ds_store_b64 v0, v[6:7]
.LBB10_26:
	s_wait_xcnt 0x0
	s_or_b32 exec_lo, exec_lo, s1
	flat_load_b64 v[6:7], v[8:9] offset:608
	s_mov_b32 s1, exec_lo
                                        ; implicit-def: $vgpr64_vgpr65
	s_wait_loadcnt_dscnt 0x0
	v_add_nc_u64_e32 v[60:61], 3, v[6:7]
	v_and_b32_e32 v6, 32, v30
	s_delay_alu instid0(VALU_DEP_2) | instskip(SKIP_1) | instid1(VALU_DEP_2)
	v_and_b32_e32 v60, -4, v60
	s_wait_xcnt 0x0
	v_cmpx_ne_u32_e32 0, v6
	s_cbranch_execz .LBB10_28
; %bb.27:
	flat_load_b64 v[64:65], v[8:9] offset:560
	global_wb scope:SCOPE_SYS
	s_wait_storecnt 0x0
	s_wait_xcnt 0x0
	s_wait_loadcnt_dscnt 0x0
	flat_store_b64 v[64:65], v[60:61] scope:SCOPE_SYS
.LBB10_28:
	s_wait_xcnt 0x0
	s_or_b32 exec_lo, exec_lo, s1
	v_add_nc_u64_e32 v[22:23], 0x1f8, v[8:9]
	v_mov_b64_e32 v[6:7], 0
	v_and_b32_e32 v21, 4, v30
	s_mov_b32 s1, exec_lo
                                        ; implicit-def: $vgpr66
                                        ; implicit-def: $vgpr68_vgpr69
                                        ; implicit-def: $vgpr82_vgpr83
	s_delay_alu instid0(VALU_DEP_1)
	v_cmpx_ne_u32_e32 0, v21
	s_cbranch_execz .LBB10_32
; %bb.29:
	v_and_b32_e32 v6, 0x800, v30
	s_mov_b32 s2, exec_lo
	s_delay_alu instid0(VALU_DEP_1)
	v_cmpx_eq_u32_e32 0, v6
	s_cbranch_execz .LBB10_31
; %bb.30:
	s_trap 2
	ds_store_b64 v0, v[22:23]
.LBB10_31:
	s_or_b32 exec_lo, exec_lo, s2
	flat_load_b64 v[64:65], v[8:9] offset:552
	s_wait_loadcnt_dscnt 0x0
	flat_load_b64 v[82:83], v[64:65] scope:SCOPE_SYS
	s_clause 0x2
	flat_load_b32 v21, v[8:9] offset:576
	flat_load_b64 v[6:7], v[8:9] offset:600
	flat_load_b64 v[68:69], v[8:9] offset:520
	s_wait_xcnt 0x0
	v_or_b32_e32 v8, 0x100, v30
	s_wait_loadcnt_dscnt 0x101
	v_cmp_eq_u64_e32 vcc_lo, 0, v[6:7]
	s_delay_alu instid0(VALU_DEP_2)
	v_dual_ashrrev_i32 v66, 1, v21 :: v_dual_cndmask_b32 v30, v8, v30, vcc_lo
.LBB10_32:
	s_or_b32 exec_lo, exec_lo, s1
.LBB10_33:
	s_delay_alu instid0(SALU_CYCLE_1) | instskip(NEXT) | instid1(VALU_DEP_1)
	s_or_b32 exec_lo, exec_lo, s0
	v_and_b32_e32 v8, 24, v30
	s_mov_b32 s0, exec_lo
                                        ; implicit-def: $vgpr70_vgpr71
	s_delay_alu instid0(VALU_DEP_1)
	v_cmpx_ne_u32_e32 0, v8
	s_cbranch_execz .LBB10_41
; %bb.34:
	s_trap 2
	ds_load_b64 v[6:7], v0
	v_and_b32_e32 v8, 0xffff, v20
	s_mov_b32 s1, exec_lo
                                        ; implicit-def: $vgpr70_vgpr71
	s_wait_dscnt 0x0
	v_readfirstlane_b32 s2, v6
	v_readfirstlane_b32 s3, v7
	flat_load_b64 v[6:7], v19, s[2:3] scale_offset
	s_wait_xcnt 0x0
	v_or_b32_e32 v19, 0x100, v30
	s_wait_loadcnt_dscnt 0x0
	v_mad_nc_u64_u32 v[22:23], 0xa8, v8, v[6:7]
	flat_load_b128 v[6:9], v[22:23] offset:96
	s_wait_loadcnt_dscnt 0x0
	v_cmp_eq_u64_e32 vcc_lo, 0, v[6:7]
	v_cndmask_b32_e32 v30, v19, v30, vcc_lo
	s_delay_alu instid0(VALU_DEP_1) | instskip(SKIP_1) | instid1(VALU_DEP_1)
	v_and_b32_e32 v19, 16, v30
	s_wait_xcnt 0x0
	v_cmpx_ne_u32_e32 0, v19
	s_cbranch_execz .LBB10_36
; %bb.35:
	s_clause 0x2
	flat_load_b64 v[64:65], v[22:23] offset:48
	flat_load_b64 v[70:71], v[22:23] offset:120
	;; [unrolled: 1-line block ×3, first 2 shown]
.LBB10_36:
	s_wait_xcnt 0x0
	s_or_b32 exec_lo, exec_lo, s1
	v_add_nc_u64_e32 v[60:61], 3, v[8:9]
	v_and_b32_e32 v8, 8, v30
	s_mov_b32 s1, exec_lo
	s_delay_alu instid0(VALU_DEP_2) | instskip(NEXT) | instid1(VALU_DEP_2)
	v_and_b32_e32 v60, -4, v60
	v_cmpx_ne_u32_e32 0, v8
	s_cbranch_execz .LBB10_40
; %bb.37:
	v_and_b32_e32 v8, 0x800, v30
	s_mov_b32 s2, exec_lo
	s_delay_alu instid0(VALU_DEP_1)
	v_cmpx_eq_u32_e32 0, v8
	s_cbranch_execz .LBB10_39
; %bb.38:
	s_trap 2
	ds_store_b64 v0, v[22:23]
.LBB10_39:
	s_or_b32 exec_lo, exec_lo, s2
	s_wait_loadcnt_dscnt 0x202
	flat_load_b64 v[64:65], v[22:23] offset:56
	s_wait_loadcnt_dscnt 0x0
	flat_load_b64 v[82:83], v[64:65] scope:SCOPE_SYS
	s_clause 0x1
	flat_load_b32 v8, v[22:23] offset:72
	flat_load_b64 v[68:69], v[22:23] offset:16
	s_wait_loadcnt_dscnt 0x101
	v_ashrrev_i32_e32 v66, 1, v8
.LBB10_40:
	s_wait_xcnt 0x0
	s_or_b32 exec_lo, exec_lo, s1
.LBB10_41:
	s_delay_alu instid0(SALU_CYCLE_1)
	s_or_b32 exec_lo, exec_lo, s0
	v_cmp_eq_u32_e64 s0, 0, v0
	s_and_saveexec_b32 s1, s0
	s_cbranch_execz .LBB10_43
; %bb.42:
	flat_load_b64 v[8:9], v[2:3] offset:32
	ds_store_2addr_b64 v0, v[12:13], v[10:11] offset1:1
	s_trap 2
	s_wait_loadcnt_dscnt 0x1
	ds_store_b64 v0, v[8:9]
	ds_store_b64 v0, v[16:17]
.LBB10_43:
	s_wait_xcnt 0x0
	s_or_b32 exec_lo, exec_lo, s1
	v_mov_b64_e32 v[80:81], 0
	s_wait_loadcnt 0x0
	v_and_b32_e32 v10, 0xffff, v18
	s_mov_b32 s43, exec_lo
	v_cmpx_lt_i64_e32 0, v[4:5]
	s_cbranch_execz .LBB10_1908
; %bb.44:
	flat_load_b32 v8, v[2:3] offset:4
	s_clause 0x1
	scratch_store_b64 off, v[22:23], s33 offset:196
	scratch_store_b32 off, v10, s33 offset:204
	s_wait_xcnt 0x2
	v_dual_mov_b32 v3, 0 :: v_dual_bitop2_b32 v9, 31, v31 bitop3:0x40
	v_dual_ashrrev_i32 v67, 31, v66 :: v_dual_lshrrev_b32 v84, 5, v1
	v_cmp_ne_u32_e64 s3, v1, v10
	s_wait_xcnt 0x0
	v_dual_ashrrev_i32 v10, 31, v0 :: v_dual_lshlrev_b32 v11, 1, v1
	s_ashr_i32 s7, s6, 31
	v_and_b32_e32 v2, 0x1fffff00, v14
	s_lshr_b32 s7, s7, 29
	v_mov_b32_e32 v85, v3
	s_add_co_i32 s7, s6, s7
	v_cmp_eq_u32_e64 s6, 0, v9
	v_dual_lshrrev_b32 v9, 27, v10 :: v_dual_mov_b32 v101, v3
	v_lshlrev_b32_e32 v102, 9, v84
	s_ashr_i32 s17, s16, 31
	v_and_b32_e32 v114, 0x3fc0, v11
	v_mul_u64_e32 v[28:29], s[16:17], v[2:3]
	v_mov_b64_e32 v[58:59], v[2:3]
	v_add_nc_u32_e32 v118, 0xfffffe00, v102
	v_add_nc_u32_e32 v2, v0, v9
	v_subrev_nc_u32_e32 v40, 64, v114
	s_add_co_i32 s44, s16, s16
	s_not_b32 s10, s16
	v_ashrrev_i32_e32 v119, 31, v118
	s_delay_alu instid0(VALU_DEP_2) | instskip(SKIP_3) | instid1(VALU_DEP_2)
	v_dual_ashrrev_i32 v124, 5, v2 :: v_dual_ashrrev_i32 v41, 31, v40
	v_and_b32_e32 v2, 0xffffffe0, v2
	s_ashr_i32 s11, s7, 4
	s_cmp_gt_i32 s16, 0
	v_lshlrev_b32_e32 v9, 11, v124
	s_cselect_b32 s10, s10, -1
	v_dual_sub_nc_u32 v125, v0, v2 :: v_dual_lshlrev_b32 v2, 12, v124
	s_ashr_i32 s7, s7, 31
	s_add_co_i32 s24, s10, s44
	s_lshr_b32 s7, s7, 28
	s_ashr_i32 s25, s24, 31
	v_lshl_add_u32 v44, v125, 4, v2
	s_add_co_i32 s11, s11, s7
	v_cmp_ge_i32_e32 vcc_lo, v0, v1
	s_ashr_i32 s45, s11, 4
	s_cmp_gt_i32 s16, 2
	v_mov_b64_e32 v[86:87], 0
	s_cselect_b32 s46, -1, 0
	s_add_co_i32 s13, s16, 1
	s_wait_dscnt 0x2
	v_cmp_eq_u64_e64 s4, 0, v[70:71]
	v_cmp_ne_u64_e64 s5, 0, v[70:71]
	v_mov_b64_e32 v[54:55], 0
	v_mov_b64_e32 v[80:81], 0
	v_add_nc_u64_e32 v[42:43], 0x200, v[118:119]
	v_add_nc_u64_e32 v[46:47], 64, v[40:41]
	v_cmp_eq_u32_e64 s1, 32, v1
	v_cmp_ne_u32_e64 s2, 32, v1
	v_dual_mov_b32 v121, 1 :: v_dual_mov_b32 v122, 0x90
	v_dual_mov_b32 v123, 0x88 :: v_dual_lshlrev_b32 v100, 12, v84
	v_dual_mov_b32 v103, v3 :: v_dual_lshlrev_b32 v112, 10, v84
	v_dual_mov_b32 v113, v3 :: v_dual_mov_b32 v115, v3
	v_dual_mov_b32 v117, v3 :: v_dual_lshlrev_b32 v116, 11, v84
	v_cmp_gt_i32_e64 s7, 1, v125
	v_cmp_lt_i32_e64 s11, v125, v15
	v_cmp_le_i32_e64 s12, v125, v15
	v_ashrrev_i32_e32 v45, 31, v44
	s_mov_b32 s19, 0
	s_mov_b64 s[20:21], 0xffffffff
	s_add_nc_u64 s[22:23], s[16:17], -1
	s_mov_b32 s59, 0
	s_trap 2
	v_sub_nc_u32_e32 v56, v44, v9
	s_delay_alu instid0(VALU_DEP_1) | instskip(SKIP_2) | instid1(VALU_DEP_1)
	v_ashrrev_i32_e32 v57, 31, v56
	s_wait_loadcnt_dscnt 0x0
	v_and_b32_e32 v8, 1, v8
	v_cmp_eq_u32_e64 s10, 1, v8
	s_xor_b32 s47, s10, -1
	s_cmp_ge_i32 s13, s16
	s_cselect_b32 s14, s16, 0
	s_add_co_i32 s56, s16, -2
	s_sub_co_i32 s28, s13, s14
	s_xor_b32 s57, vcc_lo, -1
	s_ashr_i32 s26, s17, 31
	s_sub_co_i32 s58, 0, s16
	s_ashr_i32 s29, s28, 31
	s_branch .LBB10_47
.LBB10_45:                              ;   in Loop: Header=BB10_47 Depth=1
	s_or_b32 exec_lo, exec_lo, s15
.LBB10_46:                              ;   in Loop: Header=BB10_47 Depth=1
	s_delay_alu instid0(SALU_CYCLE_1) | instskip(SKIP_1) | instid1(VALU_DEP_1)
	s_or_b32 exec_lo, exec_lo, s14
	v_add_nc_u64_e32 v[54:55], v[54:55], v[28:29]
	v_cmp_ge_i64_e32 vcc_lo, v[54:55], v[4:5]
	s_or_b32 s59, vcc_lo, s59
	s_delay_alu instid0(SALU_CYCLE_1)
	s_and_not1_b32 exec_lo, exec_lo, s59
	s_cbranch_execz .LBB10_1907
.LBB10_47:                              ; =>This Loop Header: Depth=1
                                        ;     Child Loop BB10_57 Depth 2
                                        ;       Child Loop BB10_65 Depth 3
                                        ;       Child Loop BB10_89 Depth 3
                                        ;       Child Loop BB10_110 Depth 3
                                        ;       Child Loop BB10_136 Depth 3
                                        ;       Child Loop BB10_141 Depth 3
                                        ;       Child Loop BB10_149 Depth 3
                                        ;       Child Loop BB10_154 Depth 3
                                        ;       Child Loop BB10_163 Depth 3
                                        ;       Child Loop BB10_182 Depth 3
                                        ;     Child Loop BB10_201 Depth 2
                                        ;       Child Loop BB10_207 Depth 3
                                        ;       Child Loop BB10_231 Depth 3
                                        ;       Child Loop BB10_256 Depth 3
                                        ;     Child Loop BB10_275 Depth 2
                                        ;       Child Loop BB10_278 Depth 3
                                        ;         Child Loop BB10_286 Depth 4
                                        ;         Child Loop BB10_314 Depth 4
	;; [unrolled: 1-line block ×9, first 2 shown]
                                        ;       Child Loop BB10_652 Depth 3
                                        ;         Child Loop BB10_658 Depth 4
                                        ;         Child Loop BB10_686 Depth 4
                                        ;         Child Loop BB10_705 Depth 4
                                        ;     Child Loop BB10_727 Depth 2
                                        ;       Child Loop BB10_735 Depth 3
                                        ;       Child Loop BB10_763 Depth 3
	;; [unrolled: 1-line block ×5, first 2 shown]
                                        ;         Child Loop BB10_975 Depth 4
                                        ;       Child Loop BB10_985 Depth 3
                                        ;       Child Loop BB10_1053 Depth 3
                                        ;         Child Loop BB10_1058 Depth 4
                                        ;       Child Loop BB10_1071 Depth 3
                                        ;       Child Loop BB10_1204 Depth 3
                                        ;       Child Loop BB10_1244 Depth 3
                                        ;       Child Loop BB10_1313 Depth 3
                                        ;       Child Loop BB10_1326 Depth 3
                                        ;       Child Loop BB10_1345 Depth 3
                                        ;     Child Loop BB10_1364 Depth 2
                                        ;       Child Loop BB10_1370 Depth 3
                                        ;       Child Loop BB10_1398 Depth 3
	;; [unrolled: 1-line block ×3, first 2 shown]
                                        ;     Child Loop BB10_1439 Depth 2
                                        ;       Child Loop BB10_1442 Depth 3
                                        ;         Child Loop BB10_1450 Depth 4
                                        ;         Child Loop BB10_1478 Depth 4
                                        ;         Child Loop BB10_1497 Depth 4
                                        ;         Child Loop BB10_1524 Depth 4
                                        ;         Child Loop BB10_1529 Depth 4
                                        ;           Child Loop BB10_1530 Depth 5
                                        ;         Child Loop BB10_1539 Depth 4
                                        ;         Child Loop BB10_1544 Depth 4
                                        ;           Child Loop BB10_1545 Depth 5
                                        ;         Child Loop BB10_1557 Depth 4
                                        ;         Child Loop BB10_1562 Depth 4
	;; [unrolled: 1-line block ×6, first 2 shown]
                                        ;       Child Loop BB10_1623 Depth 3
                                        ;         Child Loop BB10_1629 Depth 4
                                        ;         Child Loop BB10_1657 Depth 4
	;; [unrolled: 1-line block ×3, first 2 shown]
                                        ;     Child Loop BB10_1701 Depth 2
                                        ;       Child Loop BB10_1709 Depth 3
                                        ;       Child Loop BB10_1733 Depth 3
	;; [unrolled: 1-line block ×9, first 2 shown]
                                        ;     Child Loop BB10_1841 Depth 2
                                        ;       Child Loop BB10_1847 Depth 3
                                        ;       Child Loop BB10_1871 Depth 3
	;; [unrolled: 1-line block ×3, first 2 shown]
	v_sub_nc_u64_e32 v[62:63], v[4:5], v[54:55]
	s_mov_b32 s40, exec_lo
	s_delay_alu instid0(VALU_DEP_1)
	v_cmpx_lt_i64_e64 v[62:63], v[28:29]
	s_cbranch_execz .LBB10_53
; %bb.48:                               ;   in Loop: Header=BB10_47 Depth=1
	v_add_nc_u64_e32 v[8:9], s[22:23], v[62:63]
	s_delay_alu instid0(VALU_DEP_1) | instskip(NEXT) | instid1(VALU_DEP_1)
	v_dual_mov_b32 v10, v3 :: v_dual_bitop2_b32 v11, s17, v9 bitop3:0x54
	v_cmp_ne_u64_e32 vcc_lo, 0, v[10:11]
                                        ; implicit-def: $vgpr10_vgpr11
	s_and_saveexec_b32 s13, vcc_lo
	s_delay_alu instid0(SALU_CYCLE_1)
	s_xor_b32 s41, exec_lo, s13
	s_cbranch_execz .LBB10_50
; %bb.49:                               ;   in Loop: Header=BB10_47 Depth=1
	s_mov_b32 s27, s26
	v_dual_mov_b32 v15, v3 :: v_dual_ashrrev_i32 v10, 31, v9
	s_add_nc_u64 s[14:15], s[16:17], s[26:27]
	v_mov_b32_e32 v19, v3
	s_xor_b64 s[14:15], s[14:15], s[26:27]
	s_delay_alu instid0(VALU_DEP_2) | instskip(SKIP_3) | instid1(VALU_DEP_1)
	v_mov_b32_e32 v11, v10
	s_cvt_f32_u32 s13, s14
	s_cvt_f32_u32 s18, s15
	s_sub_nc_u64 s[62:63], 0, s[14:15]
	v_add_nc_u64_e32 v[8:9], v[8:9], v[10:11]
	s_delay_alu instid0(SALU_CYCLE_1) | instskip(NEXT) | instid1(SALU_CYCLE_3)
	s_fmamk_f32 s13, s18, 0x4f800000, s13
	v_s_rcp_f32 s13, s13
	s_delay_alu instid0(VALU_DEP_1) | instskip(NEXT) | instid1(VALU_DEP_2)
	v_xor_b32_e32 v2, v8, v10
	v_xor_b32_e32 v14, v9, v10
	;; [unrolled: 1-line block ×3, first 2 shown]
	s_delay_alu instid0(TRANS32_DEP_1) | instskip(NEXT) | instid1(SALU_CYCLE_3)
	s_mul_f32 s13, s13, 0x5f7ffffc
	s_mul_f32 s18, s13, 0x2f800000
	s_delay_alu instid0(SALU_CYCLE_3) | instskip(NEXT) | instid1(SALU_CYCLE_3)
	s_trunc_f32 s18, s18
	s_fmamk_f32 s13, s18, 0xcf800000, s13
	s_cvt_u32_f32 s61, s18
	s_delay_alu instid0(SALU_CYCLE_2) | instskip(NEXT) | instid1(SALU_CYCLE_3)
	s_cvt_u32_f32 s60, s13
	s_mul_u64 s[72:73], s[62:63], s[60:61]
	s_delay_alu instid0(SALU_CYCLE_1)
	s_mul_hi_u32 s75, s60, s73
	s_mul_i32 s74, s60, s73
	s_mul_hi_u32 s18, s60, s72
	s_mul_i32 s27, s61, s72
	s_add_nc_u64 s[74:75], s[18:19], s[74:75]
	s_mul_hi_u32 s13, s61, s72
	s_mul_hi_u32 s76, s61, s73
	s_add_co_u32 s18, s74, s27
	s_add_co_ci_u32 s18, s75, s13
	s_mul_i32 s72, s61, s73
	s_add_co_ci_u32 s73, s76, 0
	s_delay_alu instid0(SALU_CYCLE_1) | instskip(NEXT) | instid1(SALU_CYCLE_1)
	s_add_nc_u64 s[72:73], s[18:19], s[72:73]
	s_add_co_u32 s60, s60, s72
	s_cselect_b32 s13, -1, 0
	s_delay_alu instid0(SALU_CYCLE_1) | instskip(SKIP_1) | instid1(SALU_CYCLE_1)
	s_cmp_lg_u32 s13, 0
	s_add_co_ci_u32 s61, s61, s73
	s_mul_u64 s[62:63], s[62:63], s[60:61]
	s_delay_alu instid0(SALU_CYCLE_1)
	s_mul_hi_u32 s73, s60, s63
	s_mul_i32 s72, s60, s63
	s_mul_hi_u32 s18, s60, s62
	s_mul_i32 s27, s61, s62
	s_add_nc_u64 s[72:73], s[18:19], s[72:73]
	s_mul_hi_u32 s13, s61, s62
	s_mul_hi_u32 s74, s61, s63
	s_add_co_u32 s18, s72, s27
	s_add_co_ci_u32 s18, s73, s13
	s_mul_i32 s62, s61, s63
	s_add_co_ci_u32 s63, s74, 0
	s_delay_alu instid0(SALU_CYCLE_1) | instskip(NEXT) | instid1(SALU_CYCLE_1)
	s_add_nc_u64 s[62:63], s[18:19], s[62:63]
	s_add_co_u32 s60, s60, s62
	s_cselect_b32 s13, -1, 0
	v_mul_hi_u32 v18, v2, s60
	s_cmp_lg_u32 s13, 0
	s_add_co_ci_u32 s18, s61, s63
	s_and_b64 s[62:63], s[60:61], s[20:21]
	v_mul_u64_e32 v[12:13], s[18:19], v[2:3]
	v_mul_u64_e32 v[8:9], s[62:63], v[14:15]
	v_mul_u64_e32 v[16:17], s[18:19], v[14:15]
	s_delay_alu instid0(VALU_DEP_3) | instskip(NEXT) | instid1(VALU_DEP_1)
	v_add_nc_u64_e32 v[12:13], v[18:19], v[12:13]
	v_add_co_u32 v8, vcc_lo, v12, v8
	s_delay_alu instid0(VALU_DEP_2) | instskip(NEXT) | instid1(VALU_DEP_4)
	v_add_co_ci_u32_e32 v18, vcc_lo, v13, v9, vcc_lo
	v_add_co_ci_u32_e32 v17, vcc_lo, 0, v17, vcc_lo
	s_delay_alu instid0(VALU_DEP_1) | instskip(NEXT) | instid1(VALU_DEP_1)
	v_add_nc_u64_e32 v[8:9], v[18:19], v[16:17]
	v_mul_u64_e32 v[12:13], s[14:15], v[8:9]
	s_delay_alu instid0(VALU_DEP_1) | instskip(NEXT) | instid1(VALU_DEP_2)
	v_sub_nc_u32_e32 v11, v14, v13
	v_sub_co_u32 v2, vcc_lo, v2, v12
	s_delay_alu instid0(VALU_DEP_1) | instskip(NEXT) | instid1(VALU_DEP_3)
	v_sub_co_ci_u32_e64 v16, null, v14, v13, vcc_lo
	v_subrev_co_ci_u32_e64 v11, null, s15, v11, vcc_lo
	s_delay_alu instid0(VALU_DEP_3) | instskip(SKIP_1) | instid1(VALU_DEP_3)
	v_sub_co_u32 v12, s13, v2, s14
	v_add_nc_u64_e32 v[14:15], 1, v[8:9]
	v_subrev_co_ci_u32_e64 v11, null, 0, v11, s13
	s_delay_alu instid0(VALU_DEP_3) | instskip(SKIP_1) | instid1(VALU_DEP_3)
	v_cmp_le_u32_e32 vcc_lo, s14, v12
	v_cndmask_b32_e64 v12, 0, -1, vcc_lo
	v_cmp_le_u32_e32 vcc_lo, s15, v11
	v_cndmask_b32_e64 v13, 0, -1, vcc_lo
	;; [unrolled: 2-line block ×4, first 2 shown]
	v_cmp_eq_u32_e32 vcc_lo, s15, v11
	v_cndmask_b32_e32 v11, v13, v12, vcc_lo
	v_cmp_eq_u32_e32 vcc_lo, s15, v16
	v_add_nc_u64_e32 v[12:13], 2, v[8:9]
	v_cndmask_b32_e32 v2, v17, v2, vcc_lo
	s_delay_alu instid0(VALU_DEP_4) | instskip(NEXT) | instid1(VALU_DEP_2)
	v_cmp_ne_u32_e32 vcc_lo, 0, v11
	v_cmp_ne_u32_e64 s13, 0, v2
	s_delay_alu instid0(VALU_DEP_4) | instskip(NEXT) | instid1(VALU_DEP_1)
	v_dual_cndmask_b32 v11, v15, v13 :: v_dual_cndmask_b32 v2, v14, v12
	v_dual_cndmask_b32 v9, v9, v11, s13 :: v_dual_cndmask_b32 v2, v8, v2, s13
	s_delay_alu instid0(VALU_DEP_1) | instskip(NEXT) | instid1(VALU_DEP_2)
	v_dual_mov_b32 v11, v10 :: v_dual_bitop2_b32 v9, v9, v10 bitop3:0x14
	v_xor_b32_e32 v8, v2, v10
	s_delay_alu instid0(VALU_DEP_1)
	v_sub_nc_u64_e32 v[10:11], v[8:9], v[10:11]
                                        ; implicit-def: $vgpr8_vgpr9
.LBB10_50:                              ;   in Loop: Header=BB10_47 Depth=1
	s_and_not1_saveexec_b32 s13, s41
	s_cbranch_execz .LBB10_52
; %bb.51:                               ;   in Loop: Header=BB10_47 Depth=1
	v_cvt_f32_u32_e32 v2, s16
	s_delay_alu instid0(VALU_DEP_1) | instskip(SKIP_1) | instid1(TRANS32_DEP_1)
	v_rcp_iflag_f32_e32 v2, v2
	v_nop
	v_mul_f32_e32 v2, 0x4f7ffffe, v2
	s_delay_alu instid0(VALU_DEP_1) | instskip(NEXT) | instid1(VALU_DEP_1)
	v_cvt_u32_f32_e32 v2, v2
	v_mul_lo_u32 v9, s58, v2
	s_delay_alu instid0(VALU_DEP_1) | instskip(NEXT) | instid1(VALU_DEP_1)
	v_mul_hi_u32 v9, v2, v9
	v_add_nc_u32_e32 v2, v2, v9
	s_delay_alu instid0(VALU_DEP_1) | instskip(NEXT) | instid1(VALU_DEP_1)
	v_mul_hi_u32 v2, v8, v2
	v_mul_lo_u32 v9, v2, s16
	s_delay_alu instid0(VALU_DEP_1) | instskip(NEXT) | instid1(VALU_DEP_1)
	v_dual_sub_nc_u32 v8, v8, v9 :: v_dual_add_nc_u32 v9, 1, v2
	v_subrev_nc_u32_e32 v10, s16, v8
	v_cmp_le_u32_e32 vcc_lo, s16, v8
	s_delay_alu instid0(VALU_DEP_2) | instskip(NEXT) | instid1(VALU_DEP_1)
	v_dual_cndmask_b32 v8, v8, v10, vcc_lo :: v_dual_cndmask_b32 v2, v2, v9, vcc_lo
	v_cmp_le_u32_e32 vcc_lo, s16, v8
	s_delay_alu instid0(VALU_DEP_2) | instskip(NEXT) | instid1(VALU_DEP_1)
	v_add_nc_u32_e32 v9, 1, v2
	v_cndmask_b32_e32 v2, v2, v9, vcc_lo
	s_delay_alu instid0(VALU_DEP_1)
	v_mov_b64_e32 v[10:11], v[2:3]
.LBB10_52:                              ;   in Loop: Header=BB10_47 Depth=1
	s_or_b32 exec_lo, exec_lo, s13
	s_delay_alu instid0(VALU_DEP_1) | instskip(NEXT) | instid1(VALU_DEP_1)
	v_add_nc_u64_e32 v[58:59], 7, v[10:11]
	v_and_b32_e32 v58, -8, v58
.LBB10_53:                              ;   in Loop: Header=BB10_47 Depth=1
	s_or_b32 exec_lo, exec_lo, s40
	scratch_load_b64 v[10:11], off, s33 offset:188 ; 8-byte Folded Reload
	v_mul_u64_e32 v[12:13], s[24:25], v[58:59]
	s_delay_alu instid0(VALU_DEP_1) | instskip(NEXT) | instid1(VALU_DEP_1)
	v_sub_nc_u64_e32 v[8:9], v[62:63], v[12:13]
	v_min_i64 v[8:9], v[58:59], v[8:9]
	s_delay_alu instid0(VALU_DEP_1) | instskip(SKIP_1) | instid1(VALU_DEP_2)
	v_max_i32_e32 v24, 0, v8
	v_cmp_lt_i32_e32 vcc_lo, 0, v8
	v_add_nc_u32_e32 v2, 31, v24
	s_and_b32 s13, s57, vcc_lo
	s_delay_alu instid0(VALU_DEP_1) | instskip(NEXT) | instid1(VALU_DEP_1)
	v_lshrrev_b32_e32 v2, 1, v2
	v_and_b32_e32 v9, 0x3ffffff0, v2
	s_delay_alu instid0(VALU_DEP_1)
	v_dual_mov_b32 v2, 0 :: v_dual_max_i32 v8, s45, v9
	s_wait_loadcnt 0x0
	v_add_nc_u64_e32 v[72:73], v[54:55], v[10:11]
	v_mov_b32_e32 v10, 0
	s_wait_xcnt 0x0
	s_and_saveexec_b32 s14, s13
	s_cbranch_execz .LBB10_197
; %bb.54:                               ;   in Loop: Header=BB10_47 Depth=1
	v_mov_b32_e32 v10, 0
	s_mov_b32 s27, 1
	s_mov_b32 s18, -1
	s_mov_b32 s15, 0
	s_branch .LBB10_57
.LBB10_55:                              ;   in Loop: Header=BB10_57 Depth=2
	s_wait_xcnt 0x0
	s_or_b32 exec_lo, exec_lo, s40
	v_add_nc_u64_e32 v[60:61], 2, v[60:61]
	global_wb scope:SCOPE_SYS
	s_wait_storecnt 0x0
	s_wait_loadcnt_dscnt 0x0
	flat_store_b64 v[64:65], v[60:61] scope:SCOPE_SYS
.LBB10_56:                              ;   in Loop: Header=BB10_57 Depth=2
	s_wait_xcnt 0x0
	s_or_b32 exec_lo, exec_lo, s13
	v_dual_add_nc_u32 v10, v8, v10 :: v_dual_mov_b32 v2, s27
	s_xor_b32 s13, s18, -1
	s_mov_b32 s18, 0
	s_mov_b32 s27, 2
	s_delay_alu instid0(VALU_DEP_1) | instskip(SKIP_1) | instid1(SALU_CYCLE_1)
	v_cmp_ge_i32_e32 vcc_lo, v10, v24
	s_or_b32 s13, s13, vcc_lo
	s_and_b32 s13, exec_lo, s13
	s_delay_alu instid0(SALU_CYCLE_1) | instskip(NEXT) | instid1(SALU_CYCLE_1)
	s_or_b32 s15, s13, s15
	s_and_not1_b32 exec_lo, exec_lo, s15
	s_cbranch_execz .LBB10_196
.LBB10_57:                              ;   Parent Loop BB10_47 Depth=1
                                        ; =>  This Loop Header: Depth=2
                                        ;       Child Loop BB10_65 Depth 3
                                        ;       Child Loop BB10_89 Depth 3
	;; [unrolled: 1-line block ×9, first 2 shown]
	s_and_saveexec_b32 s13, s0
	s_cbranch_execz .LBB10_59
; %bb.58:                               ;   in Loop: Header=BB10_57 Depth=2
	s_trap 2
	ds_load_b64 v[14:15], v0
	v_ashrrev_i32_e32 v11, 31, v10
	s_wait_dscnt 0x0
	v_lshl_add_u64 v[14:15], v[72:73], 1, v[14:15]
	s_delay_alu instid0(VALU_DEP_1) | instskip(NEXT) | instid1(VALU_DEP_1)
	v_lshl_add_u64 v[14:15], v[12:13], 1, v[14:15]
	v_lshl_add_u64 v[14:15], v[10:11], 1, v[14:15]
	ds_store_b64 v0, v[14:15]
	ds_store_b64 v0, v[86:87]
.LBB10_59:                              ;   in Loop: Header=BB10_57 Depth=2
	s_or_b32 exec_lo, exec_lo, s13
	v_sub_nc_u32_e32 v2, v24, v10
	v_and_b32_e32 v9, 8, v30
	s_mov_b32 s40, exec_lo
	s_delay_alu instid0(VALU_DEP_2) | instskip(NEXT) | instid1(VALU_DEP_2)
	v_min_i32_e32 v8, v8, v2
	v_cmpx_ne_u32_e32 0, v9
	s_cbranch_execz .LBB10_81
; %bb.60:                               ;   in Loop: Header=BB10_57 Depth=2
	s_wait_loadcnt_dscnt 0x1
	v_add_nc_u64_e32 v[16:17], 8, v[82:83]
	v_add_nc_u64_e32 v[14:15], 2, v[60:61]
	s_mov_b32 s41, exec_lo
	s_delay_alu instid0(VALU_DEP_1)
	v_cmpx_lt_u64_e64 v[16:17], v[14:15]
	s_cbranch_execz .LBB10_72
; %bb.61:                               ;   in Loop: Header=BB10_57 Depth=2
	v_and_b32_e32 v2, 64, v30
	s_mov_b32 s60, 0
	s_mov_b32 s72, 0
                                        ; implicit-def: $sgpr61
                                        ; implicit-def: $sgpr62
                                        ; implicit-def: $sgpr63
	s_delay_alu instid0(VALU_DEP_1)
	v_cmp_eq_u32_e32 vcc_lo, 0, v2
	s_branch .LBB10_65
.LBB10_62:                              ;   in Loop: Header=BB10_65 Depth=3
	s_wait_loadcnt_dscnt 0x0
	v_add_nc_u64_e32 v[16:17], 8, v[82:83]
	s_or_b32 s75, s75, exec_lo
	s_delay_alu instid0(VALU_DEP_1)
	v_cmp_ge_u64_e64 s13, v[16:17], v[14:15]
	s_or_not1_b32 s74, s13, exec_lo
.LBB10_63:                              ;   in Loop: Header=BB10_65 Depth=3
	s_or_b32 exec_lo, exec_lo, s77
	s_delay_alu instid0(SALU_CYCLE_1)
	s_and_not1_b32 s13, s63, exec_lo
	s_and_b32 s63, s75, exec_lo
	s_and_not1_b32 s62, s62, exec_lo
	s_and_b32 s74, s74, exec_lo
	s_or_b32 s63, s13, s63
	s_or_b32 s62, s62, s74
.LBB10_64:                              ;   in Loop: Header=BB10_65 Depth=3
	s_or_b32 exec_lo, exec_lo, s73
	s_delay_alu instid0(SALU_CYCLE_1) | instskip(NEXT) | instid1(SALU_CYCLE_1)
	s_and_b32 s13, exec_lo, s62
	s_or_b32 s60, s13, s60
	s_and_not1_b32 s13, s61, exec_lo
	s_and_b32 s61, s63, exec_lo
	s_delay_alu instid0(SALU_CYCLE_1)
	s_or_b32 s61, s13, s61
	s_and_not1_b32 exec_lo, exec_lo, s60
	s_cbranch_execz .LBB10_69
.LBB10_65:                              ;   Parent Loop BB10_47 Depth=1
                                        ;     Parent Loop BB10_57 Depth=2
                                        ; =>    This Inner Loop Header: Depth=3
	s_sleep 1
	s_wait_loadcnt_dscnt 0x0
	flat_load_b64 v[82:83], v[64:65] scope:SCOPE_SYS
	s_or_b32 s63, s63, exec_lo
	s_or_b32 s62, s62, exec_lo
                                        ; implicit-def: $vgpr2
	s_wait_xcnt 0x0
	s_and_saveexec_b32 s73, vcc_lo
	s_cbranch_execz .LBB10_64
; %bb.66:                               ;   in Loop: Header=BB10_65 Depth=3
	s_cmp_lt_i32 s72, 0x270f
	s_mov_b32 s74, -1
	s_cselect_b32 s76, -1, 0
	s_cmp_gt_i32 s72, 0x270e
	s_cbranch_scc0 .LBB10_68
; %bb.67:                               ;   in Loop: Header=BB10_65 Depth=3
	s_trap 2
	ds_load_b64 v[16:17], v0
	s_and_not1_b32 s72, s76, exec_lo
	s_mov_b32 s75, 0
	s_wait_storecnt 0x0
	s_wait_loadcnt_dscnt 0x0
	flat_load_b32 v2, v[16:17] scope:SCOPE_SYS
	s_wait_loadcnt_dscnt 0x0
	global_inv scope:SCOPE_SYS
	v_cmp_eq_u32_e64 s13, 0, v2
	s_and_b32 s13, s13, exec_lo
	s_delay_alu instid0(SALU_CYCLE_1)
	s_or_b32 s76, s72, s13
	s_mov_b32 s72, 0
	s_and_saveexec_b32 s77, s76
	s_cbranch_execz .LBB10_63
	s_branch .LBB10_62
.LBB10_68:                              ;   in Loop: Header=BB10_65 Depth=3
	s_add_co_i32 s72, s72, 1
	s_mov_b32 s75, -1
                                        ; implicit-def: $vgpr2
	s_and_saveexec_b32 s77, s76
	s_cbranch_execz .LBB10_63
	s_branch .LBB10_62
.LBB10_69:                              ;   in Loop: Header=BB10_57 Depth=2
	s_or_b32 exec_lo, exec_lo, s60
	s_xor_b32 s13, s61, -1
	s_delay_alu instid0(SALU_CYCLE_1) | instskip(NEXT) | instid1(SALU_CYCLE_1)
	s_and_saveexec_b32 s60, s13
	s_xor_b32 s13, exec_lo, s60
	s_cbranch_execz .LBB10_71
; %bb.70:                               ;   in Loop: Header=BB10_57 Depth=2
	v_or_b32_e32 v30, 64, v30
	s_wait_storecnt 0x0
	s_wait_loadcnt_dscnt 0x0
	ds_store_b32 v0, v2
	s_trap 2
.LBB10_71:                              ;   in Loop: Header=BB10_57 Depth=2
	s_or_b32 exec_lo, exec_lo, s13
.LBB10_72:                              ;   in Loop: Header=BB10_57 Depth=2
	s_delay_alu instid0(SALU_CYCLE_1) | instskip(SKIP_4) | instid1(VALU_DEP_1)
	s_or_b32 exec_lo, exec_lo, s41
	v_and_b32_e32 v2, 0x100, v30
	s_mov_b32 s41, 0
	s_mov_b32 s13, exec_lo
	;;#ASMSTART
	s_wakeup
	;;#ASMEND
                                        ; implicit-def: $vgpr16_vgpr17
	v_cmpx_ne_u32_e32 0, v2
	s_xor_b32 s13, exec_lo, s13
	s_cbranch_execz .LBB10_93
; %bb.73:                               ;   in Loop: Header=BB10_57 Depth=2
	v_and_b32_e32 v2, 7, v60
	v_ashrrev_i32_e32 v9, 31, v8
	s_mov_b32 s41, -1
	s_mov_b32 s60, exec_lo
	s_delay_alu instid0(VALU_DEP_2) | instskip(NEXT) | instid1(VALU_DEP_2)
	v_mad_nc_u64_u32 v[18:19], v2, 24, v[6:7]
	v_lshlrev_b64_e32 v[16:17], 1, v[8:9]
	s_clause 0x1
	flat_load_b32 v11, v[18:19]
	flat_store_b64 v[18:19], v[16:17] offset:8
                                        ; implicit-def: $vgpr16_vgpr17
	s_wait_loadcnt_dscnt 0x1
	v_cmpx_eq_u32_e32 1, v11
	s_cbranch_execz .LBB10_75
; %bb.74:                               ;   in Loop: Header=BB10_57 Depth=2
	flat_load_b32 v16, v[18:19] offset:4 scope:SCOPE_SYS
	s_xor_b32 s41, exec_lo, -1
	s_wait_loadcnt_dscnt 0x0
	v_ashrrev_i32_e32 v17, 31, v16
	s_delay_alu instid0(VALU_DEP_1)
	v_lshrrev_b64 v[16:17], 1, v[16:17]
.LBB10_75:                              ;   in Loop: Header=BB10_57 Depth=2
	s_wait_xcnt 0x0
	s_or_b32 exec_lo, exec_lo, s60
	s_delay_alu instid0(SALU_CYCLE_1)
	s_and_b32 s41, s41, exec_lo
                                        ; implicit-def: $vgpr60_vgpr61
	s_and_not1_saveexec_b32 s13, s13
	s_cbranch_execnz .LBB10_94
.LBB10_76:                              ;   in Loop: Header=BB10_57 Depth=2
	s_or_b32 exec_lo, exec_lo, s13
	s_and_saveexec_b32 s13, s41
.LBB10_77:                              ;   in Loop: Header=BB10_57 Depth=2
	v_mul_u64_e32 v[16:17], v[2:3], v[66:67]
.LBB10_78:                              ;   in Loop: Header=BB10_57 Depth=2
	s_or_b32 exec_lo, exec_lo, s13
	v_and_b32_e32 v2, 0x2000, v30
	s_delay_alu instid0(VALU_DEP_2)
	v_lshl_add_u64 v[16:17], v[16:17], 1, v[68:69]
	s_mov_b32 s13, exec_lo
	ds_store_b64 v0, v[16:17] offset:784
	v_cmpx_ne_u32_e32 0, v2
	s_cbranch_execz .LBB10_80
; %bb.79:                               ;   in Loop: Header=BB10_57 Depth=2
	ds_load_b64 v[16:17], v0 offset:872
	s_wait_dscnt 0x0
	v_add_nc_u64_e32 v[16:17], 1, v[16:17]
	ds_store_b64 v0, v[16:17] offset:872
.LBB10_80:                              ;   in Loop: Header=BB10_57 Depth=2
	s_or_b32 exec_lo, exec_lo, s13
	v_mov_b64_e32 v[60:61], v[14:15]
.LBB10_81:                              ;   in Loop: Header=BB10_57 Depth=2
	s_or_b32 exec_lo, exec_lo, s40
	s_and_saveexec_b32 s13, s2
	s_cbranch_execz .LBB10_102
; %bb.82:                               ;   in Loop: Header=BB10_57 Depth=2
	s_and_saveexec_b32 s40, s3
	s_delay_alu instid0(SALU_CYCLE_1)
	s_xor_b32 s40, exec_lo, s40
	s_cbranch_execz .LBB10_99
; %bb.83:                               ;   in Loop: Header=BB10_57 Depth=2
	s_and_saveexec_b32 s41, s6
	s_cbranch_execz .LBB10_98
; %bb.84:                               ;   in Loop: Header=BB10_57 Depth=2
	s_mov_b32 s61, exec_lo
	s_mov_b32 s60, exec_lo
	v_mbcnt_lo_u32_b32 v2, s61, 0
	global_wb scope:SCOPE_DEV
	s_wait_storecnt 0x0
	s_wait_loadcnt_dscnt 0x0
	global_inv scope:SCOPE_DEV
	v_cmpx_eq_u32_e32 0, v2
	s_cbranch_execz .LBB10_86
; %bb.85:                               ;   in Loop: Header=BB10_57 Depth=2
	s_bcnt1_i32_b32 s61, s61
	s_delay_alu instid0(SALU_CYCLE_1)
	v_mov_b32_e32 v2, s61
	s_wait_loadcnt 0x0
	ds_add_u64 v0, v[2:3]
	s_trap 2
.LBB10_86:                              ;   in Loop: Header=BB10_57 Depth=2
	s_or_b32 exec_lo, exec_lo, s60
	s_trap 2
	ds_load_b64 v[14:15], v0
	s_wait_dscnt 0x0
	v_add_nc_u64_e32 v[80:81], v[80:81], v[84:85]
	s_mov_b32 s60, exec_lo
	s_delay_alu instid0(VALU_DEP_1)
	v_cmpx_lt_u64_e64 v[14:15], v[80:81]
	s_cbranch_execz .LBB10_97
; %bb.87:                               ;   in Loop: Header=BB10_57 Depth=2
	s_mov_b32 s61, 0
	s_mov_b32 s72, 0
                                        ; implicit-def: $sgpr62
                                        ; implicit-def: $sgpr63
	s_branch .LBB10_89
.LBB10_88:                              ;   in Loop: Header=BB10_89 Depth=3
	s_or_b32 exec_lo, exec_lo, s74
	s_delay_alu instid0(SALU_CYCLE_1) | instskip(NEXT) | instid1(SALU_CYCLE_1)
	s_and_b32 s73, exec_lo, s75
	s_or_b32 s61, s73, s61
	s_and_not1_b32 s62, s62, exec_lo
	s_and_b32 s73, s63, exec_lo
	s_delay_alu instid0(SALU_CYCLE_1)
	s_or_b32 s62, s62, s73
	s_and_not1_b32 exec_lo, exec_lo, s61
	s_cbranch_execz .LBB10_95
.LBB10_89:                              ;   Parent Loop BB10_47 Depth=1
                                        ;     Parent Loop BB10_57 Depth=2
                                        ; =>    This Inner Loop Header: Depth=3
	s_add_co_i32 s72, s72, 1
	s_delay_alu instid0(SALU_CYCLE_1) | instskip(SKIP_1) | instid1(SALU_CYCLE_1)
	s_cmp_lg_u32 s72, 0x2710
	s_cselect_b32 s73, -1, 0
	s_and_b32 vcc_lo, exec_lo, s73
	s_cbranch_vccz .LBB10_91
; %bb.90:                               ;   in Loop: Header=BB10_89 Depth=3
	s_mov_b32 s75, -1
	s_or_b32 s63, s63, exec_lo
	s_and_saveexec_b32 s74, s73
	s_cbranch_execz .LBB10_88
	s_branch .LBB10_92
.LBB10_91:                              ;   in Loop: Header=BB10_89 Depth=3
	s_trap 2
	ds_load_b64 v[14:15], v0
	s_and_not1_b32 s73, s73, exec_lo
	s_mov_b32 s72, 0
	s_wait_loadcnt_dscnt 0x0
	flat_load_b32 v2, v[14:15] scope:SCOPE_SYS
	s_wait_loadcnt_dscnt 0x0
	global_inv scope:SCOPE_SYS
	v_cmp_eq_u32_e32 vcc_lo, 0, v2
	s_and_b32 s74, vcc_lo, exec_lo
	s_delay_alu instid0(SALU_CYCLE_1)
	s_or_b32 s73, s73, s74
	s_mov_b32 s75, -1
	s_or_b32 s63, s63, exec_lo
	s_and_saveexec_b32 s74, s73
	s_cbranch_execz .LBB10_88
.LBB10_92:                              ;   in Loop: Header=BB10_89 Depth=3
	s_sleep 1
	s_trap 2
	ds_load_b64 v[14:15], v0
	s_wait_dscnt 0x0
	s_and_not1_b32 s63, s63, exec_lo
	v_cmp_ge_u64_e32 vcc_lo, v[14:15], v[80:81]
	s_or_not1_b32 s75, vcc_lo, exec_lo
	s_branch .LBB10_88
.LBB10_93:                              ;   in Loop: Header=BB10_57 Depth=2
	s_and_not1_saveexec_b32 s13, s13
	s_cbranch_execz .LBB10_76
.LBB10_94:                              ;   in Loop: Header=BB10_57 Depth=2
	v_and_b32_e32 v2, 7, v60
	s_or_b32 s41, s41, exec_lo
	s_or_b32 exec_lo, exec_lo, s13
	s_and_saveexec_b32 s13, s41
	s_cbranch_execnz .LBB10_77
	s_branch .LBB10_78
.LBB10_95:                              ;   in Loop: Header=BB10_57 Depth=2
	s_or_b32 exec_lo, exec_lo, s61
	s_and_saveexec_b32 s61, s62
	s_delay_alu instid0(SALU_CYCLE_1)
	s_xor_b32 s61, exec_lo, s61
	s_cbranch_execz .LBB10_97
; %bb.96:                               ;   in Loop: Header=BB10_57 Depth=2
	ds_store_b32 v0, v121
	s_trap 2
.LBB10_97:                              ;   in Loop: Header=BB10_57 Depth=2
	s_or_b32 exec_lo, exec_lo, s60
	;;#ASMSTART
	s_wakeup
	;;#ASMEND
.LBB10_98:                              ;   in Loop: Header=BB10_57 Depth=2
	s_or_b32 exec_lo, exec_lo, s41
.LBB10_99:                              ;   in Loop: Header=BB10_57 Depth=2
	s_and_not1_saveexec_b32 s40, s40
	s_cbranch_execz .LBB10_101
; %bb.100:                              ;   in Loop: Header=BB10_57 Depth=2
	global_wb scope:SCOPE_DEV
	s_wait_storecnt 0x0
	s_wait_loadcnt_dscnt 0x0
	global_inv scope:SCOPE_DEV
	s_barrier_signal -1
	s_barrier_wait -1
.LBB10_101:                             ;   in Loop: Header=BB10_57 Depth=2
	s_or_b32 exec_lo, exec_lo, s40
.LBB10_102:                             ;   in Loop: Header=BB10_57 Depth=2
	s_delay_alu instid0(SALU_CYCLE_1) | instskip(SKIP_4) | instid1(VALU_DEP_1)
	s_or_b32 exec_lo, exec_lo, s13
	s_trap 2
	ds_load_b32 v9, v0
	v_and_b32_e32 v2, 0x4000, v30
	s_xor_b32 s13, s1, -1
	v_cmp_ne_u32_e32 vcc_lo, 0, v2
	s_and_b32 s40, s13, vcc_lo
	s_delay_alu instid0(SALU_CYCLE_1)
	s_and_saveexec_b32 s13, s40
	s_cbranch_execz .LBB10_121
; %bb.103:                              ;   in Loop: Header=BB10_57 Depth=2
	s_and_saveexec_b32 s40, s3
	s_delay_alu instid0(SALU_CYCLE_1)
	s_xor_b32 s40, exec_lo, s40
	s_cbranch_execz .LBB10_118
; %bb.104:                              ;   in Loop: Header=BB10_57 Depth=2
	s_and_saveexec_b32 s41, s6
	s_cbranch_execz .LBB10_117
; %bb.105:                              ;   in Loop: Header=BB10_57 Depth=2
	s_mov_b32 s61, exec_lo
	s_mov_b32 s60, exec_lo
	v_mbcnt_lo_u32_b32 v2, s61, 0
	global_wb scope:SCOPE_DEV
	s_wait_storecnt 0x0
	s_wait_loadcnt_dscnt 0x0
	global_inv scope:SCOPE_DEV
	v_cmpx_eq_u32_e32 0, v2
	s_cbranch_execz .LBB10_107
; %bb.106:                              ;   in Loop: Header=BB10_57 Depth=2
	s_bcnt1_i32_b32 s61, s61
	s_delay_alu instid0(SALU_CYCLE_1)
	v_mov_b32_e32 v2, s61
	s_wait_loadcnt 0x0
	ds_add_u64 v0, v[2:3]
	s_trap 2
.LBB10_107:                             ;   in Loop: Header=BB10_57 Depth=2
	s_or_b32 exec_lo, exec_lo, s60
	s_trap 2
	ds_load_b64 v[14:15], v0
	s_wait_dscnt 0x0
	v_add_nc_u64_e32 v[80:81], v[80:81], v[84:85]
	s_mov_b32 s60, exec_lo
	s_delay_alu instid0(VALU_DEP_1)
	v_cmpx_lt_u64_e64 v[14:15], v[80:81]
	s_cbranch_execz .LBB10_116
; %bb.108:                              ;   in Loop: Header=BB10_57 Depth=2
	s_mov_b32 s61, 0
	s_mov_b32 s72, 0
                                        ; implicit-def: $sgpr62
                                        ; implicit-def: $sgpr63
	s_branch .LBB10_110
.LBB10_109:                             ;   in Loop: Header=BB10_110 Depth=3
	s_or_b32 exec_lo, exec_lo, s74
	s_delay_alu instid0(SALU_CYCLE_1) | instskip(NEXT) | instid1(SALU_CYCLE_1)
	s_and_b32 s73, exec_lo, s75
	s_or_b32 s61, s73, s61
	s_and_not1_b32 s62, s62, exec_lo
	s_and_b32 s73, s63, exec_lo
	s_delay_alu instid0(SALU_CYCLE_1)
	s_or_b32 s62, s62, s73
	s_and_not1_b32 exec_lo, exec_lo, s61
	s_cbranch_execz .LBB10_114
.LBB10_110:                             ;   Parent Loop BB10_47 Depth=1
                                        ;     Parent Loop BB10_57 Depth=2
                                        ; =>    This Inner Loop Header: Depth=3
	s_add_co_i32 s72, s72, 1
	s_delay_alu instid0(SALU_CYCLE_1) | instskip(SKIP_1) | instid1(SALU_CYCLE_1)
	s_cmp_lg_u32 s72, 0x2710
	s_cselect_b32 s73, -1, 0
	s_and_b32 vcc_lo, exec_lo, s73
	s_cbranch_vccz .LBB10_112
; %bb.111:                              ;   in Loop: Header=BB10_110 Depth=3
	s_mov_b32 s75, -1
	s_or_b32 s63, s63, exec_lo
	s_and_saveexec_b32 s74, s73
	s_cbranch_execz .LBB10_109
	s_branch .LBB10_113
.LBB10_112:                             ;   in Loop: Header=BB10_110 Depth=3
	s_trap 2
	ds_load_b64 v[14:15], v0
	s_and_not1_b32 s73, s73, exec_lo
	s_mov_b32 s72, 0
	s_wait_loadcnt_dscnt 0x0
	flat_load_b32 v2, v[14:15] scope:SCOPE_SYS
	s_wait_loadcnt_dscnt 0x0
	global_inv scope:SCOPE_SYS
	v_cmp_eq_u32_e32 vcc_lo, 0, v2
	s_and_b32 s74, vcc_lo, exec_lo
	s_delay_alu instid0(SALU_CYCLE_1)
	s_or_b32 s73, s73, s74
	s_mov_b32 s75, -1
	s_or_b32 s63, s63, exec_lo
	s_and_saveexec_b32 s74, s73
	s_cbranch_execz .LBB10_109
.LBB10_113:                             ;   in Loop: Header=BB10_110 Depth=3
	s_sleep 1
	s_trap 2
	ds_load_b64 v[14:15], v0
	s_wait_dscnt 0x0
	s_and_not1_b32 s63, s63, exec_lo
	v_cmp_ge_u64_e32 vcc_lo, v[14:15], v[80:81]
	s_or_not1_b32 s75, vcc_lo, exec_lo
	s_branch .LBB10_109
.LBB10_114:                             ;   in Loop: Header=BB10_57 Depth=2
	s_or_b32 exec_lo, exec_lo, s61
	s_and_saveexec_b32 s61, s62
	s_delay_alu instid0(SALU_CYCLE_1)
	s_xor_b32 s61, exec_lo, s61
	s_cbranch_execz .LBB10_116
; %bb.115:                              ;   in Loop: Header=BB10_57 Depth=2
	ds_store_b32 v0, v121
	s_trap 2
.LBB10_116:                             ;   in Loop: Header=BB10_57 Depth=2
	s_or_b32 exec_lo, exec_lo, s60
	;;#ASMSTART
	s_wakeup
	;;#ASMEND
.LBB10_117:                             ;   in Loop: Header=BB10_57 Depth=2
	s_or_b32 exec_lo, exec_lo, s41
.LBB10_118:                             ;   in Loop: Header=BB10_57 Depth=2
	s_and_not1_saveexec_b32 s40, s40
	s_cbranch_execz .LBB10_120
; %bb.119:                              ;   in Loop: Header=BB10_57 Depth=2
	global_wb scope:SCOPE_DEV
	s_wait_storecnt 0x0
	s_wait_loadcnt_dscnt 0x0
	global_inv scope:SCOPE_DEV
	s_barrier_signal -1
	s_barrier_wait -1
.LBB10_120:                             ;   in Loop: Header=BB10_57 Depth=2
	s_or_b32 exec_lo, exec_lo, s40
.LBB10_121:                             ;   in Loop: Header=BB10_57 Depth=2
	s_delay_alu instid0(SALU_CYCLE_1)
	s_or_b32 exec_lo, exec_lo, s13
	s_trap 2
	ds_load_b64 v[14:15], v0
	s_wait_dscnt 0x0
	v_cmp_eq_u64_e32 vcc_lo, 0, v[14:15]
	s_cbranch_vccnz .LBB10_129
; %bb.122:                              ;   in Loop: Header=BB10_57 Depth=2
	s_trap 2
	ds_load_b64 v[16:17], v0
	s_wait_dscnt 0x0
	v_cmp_eq_u64_e32 vcc_lo, 0, v[16:17]
	s_cbranch_vccnz .LBB10_129
; %bb.123:                              ;   in Loop: Header=BB10_57 Depth=2
	s_mov_b32 s13, -1
	s_and_saveexec_b32 s40, s7
	s_cbranch_execz .LBB10_125
; %bb.124:                              ;   in Loop: Header=BB10_57 Depth=2
	ds_load_b32 v2, v0 offset:720
	s_wait_dscnt 0x0
	v_and_b32_e32 v2, 15, v2
	s_delay_alu instid0(VALU_DEP_1)
	v_cmp_eq_u32_e32 vcc_lo, 0, v2
	s_or_not1_b32 s13, vcc_lo, exec_lo
.LBB10_125:                             ;   in Loop: Header=BB10_57 Depth=2
	s_or_b32 exec_lo, exec_lo, s40
	s_and_saveexec_b32 s40, s11
	s_cbranch_execz .LBB10_127
; %bb.126:                              ;   in Loop: Header=BB10_57 Depth=2
	ds_load_b32 v2, v0 offset:784
	s_wait_dscnt 0x0
	v_and_b32_e32 v2, 15, v2
	s_delay_alu instid0(VALU_DEP_1) | instskip(SKIP_3) | instid1(SALU_CYCLE_1)
	v_cmp_eq_u32_e32 vcc_lo, 0, v2
	s_and_b32 s41, s13, vcc_lo
	s_and_not1_b32 s13, s13, exec_lo
	s_and_b32 s41, s41, exec_lo
	s_or_b32 s13, s13, s41
.LBB10_127:                             ;   in Loop: Header=BB10_57 Depth=2
	s_or_b32 exec_lo, exec_lo, s40
	v_cmp_eq_u32_e32 vcc_lo, 0, v9
	s_xor_b32 s13, s13, -1
	s_mov_b32 s41, -1
	v_cndmask_b32_e64 v11, 0, 1, s13
	v_cndmask_b32_e32 v2, 0, v8, vcc_lo
	s_delay_alu instid0(VALU_DEP_2) | instskip(NEXT) | instid1(VALU_DEP_2)
	v_cmp_ne_u32_e32 vcc_lo, 0, v11
	v_dual_mov_b32 v11, 0 :: v_dual_lshlrev_b32 v9, 1, v2
	s_cbranch_vccz .LBB10_134
; %bb.128:                              ;   in Loop: Header=BB10_57 Depth=2
	v_dual_mov_b32 v25, v0 :: v_dual_mov_b32 v18, v124
	s_and_saveexec_b32 s13, s41
	s_cbranch_execnz .LBB10_147
	s_branch .LBB10_155
.LBB10_129:                             ;   in Loop: Header=BB10_57 Depth=2
	s_mov_b32 s13, 0
	s_and_saveexec_b32 s40, s2
	s_cbranch_execnz .LBB10_156
.LBB10_130:                             ;   in Loop: Header=BB10_57 Depth=2
	s_or_b32 exec_lo, exec_lo, s40
                                        ; implicit-def: $vgpr2
	s_and_saveexec_b32 s40, s10
	s_delay_alu instid0(SALU_CYCLE_1)
	s_xor_b32 s40, exec_lo, s40
	s_cbranch_execz .LBB10_174
.LBB10_131:                             ;   in Loop: Header=BB10_57 Depth=2
	v_and_b32_e32 v2, 16, v30
	s_delay_alu instid0(VALU_DEP_1) | instskip(SKIP_2) | instid1(SALU_CYCLE_1)
	v_cmp_ne_u32_e32 vcc_lo, 0, v2
	v_and_b32_e32 v2, 16, v30
	s_and_b32 s41, vcc_lo, s13
	s_and_saveexec_b32 s13, s41
	s_cbranch_execz .LBB10_133
; %bb.132:                              ;   in Loop: Header=BB10_57 Depth=2
	v_mov_b32_e32 v2, 1
	global_wb scope:SCOPE_SYS
	s_wait_storecnt 0x0
	s_wait_loadcnt_dscnt 0x0
	global_inv scope:SCOPE_SYS
.LBB10_133:                             ;   in Loop: Header=BB10_57 Depth=2
	s_or_b32 exec_lo, exec_lo, s13
	s_and_not1_saveexec_b32 s13, s40
	s_cbranch_execz .LBB10_193
	s_branch .LBB10_175
.LBB10_134:                             ;   in Loop: Header=BB10_57 Depth=2
	s_delay_alu instid0(VALU_DEP_1) | instskip(SKIP_1) | instid1(VALU_DEP_1)
	v_ashrrev_i32_e32 v11, 31, v9
	s_mov_b32 s13, exec_lo
	v_lshrrev_b32_e32 v11, 20, v11
	s_delay_alu instid0(VALU_DEP_1) | instskip(NEXT) | instid1(VALU_DEP_1)
	v_add_nc_u32_e32 v11, v9, v11
	v_ashrrev_i32_e32 v11, 12, v11
	s_delay_alu instid0(VALU_DEP_1) | instskip(NEXT) | instid1(VALU_DEP_1)
	v_sub_nc_u32_e32 v22, v11, v124
	v_cmpx_lt_i32_e32 0, v22
	s_cbranch_execz .LBB10_138
; %bb.135:                              ;   in Loop: Header=BB10_57 Depth=2
	v_mov_b64_e32 v[18:19], v[16:17]
	v_mov_b64_e32 v[20:21], v[14:15]
	s_mov_b32 s40, 0
.LBB10_136:                             ;   Parent Loop BB10_47 Depth=1
                                        ;     Parent Loop BB10_57 Depth=2
                                        ; =>    This Inner Loop Header: Depth=3
	s_delay_alu instid0(VALU_DEP_1)
	v_add_nc_u64_e32 v[26:27], v[44:45], v[20:21]
	v_sub_nc_u32_e32 v22, v22, v84
	v_add_nc_u64_e32 v[20:21], v[20:21], v[100:101]
	s_clause 0x7
	global_load_b128 v[32:35], v[26:27], off th:TH_LOAD_NT
	global_load_b128 v[36:39], v[26:27], off offset:512 th:TH_LOAD_NT
	global_load_b128 v[48:51], v[26:27], off offset:1024 th:TH_LOAD_NT
	;; [unrolled: 1-line block ×7, first 2 shown]
	s_wait_xcnt 0x0
	v_add_nc_u64_e32 v[26:27], v[44:45], v[18:19]
	v_add_nc_u64_e32 v[18:19], v[18:19], v[100:101]
	v_cmp_gt_i32_e32 vcc_lo, 1, v22
	s_wait_loadcnt 0x7
	global_store_b128 v[26:27], v[32:35], off th:TH_STORE_NT
	s_wait_loadcnt 0x6
	global_store_b128 v[26:27], v[36:39], off offset:512 th:TH_STORE_NT
	s_wait_loadcnt 0x5
	global_store_b128 v[26:27], v[48:51], off offset:1024 th:TH_STORE_NT
	;; [unrolled: 2-line block ×7, first 2 shown]
	s_or_b32 s40, vcc_lo, s40
	s_wait_xcnt 0x0
	s_and_not1_b32 exec_lo, exec_lo, s40
	s_cbranch_execnz .LBB10_136
; %bb.137:                              ;   in Loop: Header=BB10_57 Depth=2
	s_or_b32 exec_lo, exec_lo, s40
.LBB10_138:                             ;   in Loop: Header=BB10_57 Depth=2
	s_delay_alu instid0(SALU_CYCLE_1) | instskip(SKIP_3) | instid1(VALU_DEP_1)
	s_or_b32 exec_lo, exec_lo, s13
	v_dual_mov_b32 v11, 0 :: v_dual_lshlrev_b32 v20, 12, v11
	s_mov_b32 s41, 0
	s_mov_b32 s40, exec_lo
                                        ; implicit-def: $vgpr25
                                        ; implicit-def: $vgpr18
	v_cmpx_ne_u32_e64 v9, v20
	s_cbranch_execz .LBB10_146
; %bb.139:                              ;   in Loop: Header=BB10_57 Depth=2
	v_dual_lshlrev_b32 v11, 5, v22 :: v_dual_sub_nc_u32 v19, v9, v20
	s_mov_b32 s41, exec_lo
	s_delay_alu instid0(VALU_DEP_1) | instskip(NEXT) | instid1(VALU_DEP_2)
	v_sub_nc_u32_e32 v11, v125, v11
	v_ashrrev_i32_e32 v21, 31, v19
	s_delay_alu instid0(VALU_DEP_1) | instskip(NEXT) | instid1(VALU_DEP_1)
	v_dual_ashrrev_i32 v18, 31, v11 :: v_dual_lshrrev_b32 v21, 23, v21
	v_lshrrev_b32_e32 v18, 27, v18
	s_delay_alu instid0(VALU_DEP_1) | instskip(NEXT) | instid1(VALU_DEP_1)
	v_add_nc_u32_e32 v18, v11, v18
	v_dual_add_nc_u32 v25, v19, v21 :: v_dual_ashrrev_i32 v26, 5, v18
	v_and_b32_e32 v22, 0xffffffe0, v18
	s_delay_alu instid0(VALU_DEP_2) | instskip(NEXT) | instid1(VALU_DEP_2)
	v_and_b32_e32 v21, 0xfffffe00, v25
	v_dual_ashrrev_i32 v25, 9, v25 :: v_dual_sub_nc_u32 v22, v11, v22
	s_delay_alu instid0(VALU_DEP_1) | instskip(NEXT) | instid1(VALU_DEP_1)
	v_dual_sub_nc_u32 v23, v19, v21 :: v_dual_lshlrev_b32 v11, 4, v22
	v_cmp_lt_i32_e32 vcc_lo, 15, v23
	s_delay_alu instid0(VALU_DEP_2) | instskip(NEXT) | instid1(VALU_DEP_4)
	v_lshl_add_u32 v18, v26, 9, v11
	v_add_co_ci_u32_e64 v25, null, 0, v25, vcc_lo
	s_delay_alu instid0(VALU_DEP_2) | instskip(NEXT) | instid1(VALU_DEP_2)
	v_sub_nc_u32_e32 v11, v19, v18
	v_sub_nc_u32_e32 v26, v25, v26
	s_delay_alu instid0(VALU_DEP_2)
	v_cmpx_lt_i32_e32 15, v11
	s_cbranch_execz .LBB10_143
; %bb.140:                              ;   in Loop: Header=BB10_57 Depth=2
	v_add_nc_u32_e32 v18, v18, v20
	s_mov_b32 s60, 0
	s_delay_alu instid0(VALU_DEP_1)
	v_ashrrev_i32_e32 v19, 31, v18
.LBB10_141:                             ;   Parent Loop BB10_47 Depth=1
                                        ;     Parent Loop BB10_57 Depth=2
                                        ; =>    This Inner Loop Header: Depth=3
	s_delay_alu instid0(VALU_DEP_1) | instskip(SKIP_3) | instid1(VALU_DEP_3)
	v_add_nc_u64_e32 v[32:33], v[14:15], v[18:19]
	v_dual_sub_nc_u32 v11, v11, v102 :: v_dual_sub_nc_u32 v26, v26, v84
	v_add_nc_u64_e32 v[36:37], v[16:17], v[18:19]
	v_add_nc_u64_e32 v[18:19], v[18:19], v[102:103]
	v_cmp_gt_i32_e64 s13, 16, v11
	global_load_b128 v[32:35], v[32:33], off th:TH_LOAD_NT
	s_or_b32 s60, s13, s60
	s_wait_loadcnt 0x0
	global_store_b128 v[36:37], v[32:35], off th:TH_STORE_NT
	s_wait_xcnt 0x0
	s_and_not1_b32 exec_lo, exec_lo, s60
	s_cbranch_execnz .LBB10_141
; %bb.142:                              ;   in Loop: Header=BB10_57 Depth=2
	s_or_b32 exec_lo, exec_lo, s60
.LBB10_143:                             ;   in Loop: Header=BB10_57 Depth=2
	s_delay_alu instid0(SALU_CYCLE_1) | instskip(SKIP_3) | instid1(VALU_DEP_1)
	s_or_b32 exec_lo, exec_lo, s41
	v_dual_mov_b32 v11, 0 :: v_dual_bitop2_b32 v19, 14, v9 bitop3:0x40
	s_mov_b32 s41, 0
	s_mov_b32 s60, exec_lo
                                        ; implicit-def: $vgpr25
                                        ; implicit-def: $vgpr18
	v_cndmask_b32_e32 v9, v23, v19, vcc_lo
	s_delay_alu instid0(VALU_DEP_1)
	v_cmpx_ne_u32_e32 0, v9
	s_cbranch_execz .LBB10_145
; %bb.144:                              ;   in Loop: Header=BB10_57 Depth=2
	v_cmp_lt_i32_e64 s13, 0, v26
	s_mov_b32 s41, exec_lo
	v_dual_sub_nc_u32 v18, v23, v19 :: v_dual_cndmask_b32 v11, 0, v84, s13
	s_delay_alu instid0(VALU_DEP_1) | instskip(NEXT) | instid1(VALU_DEP_2)
	v_cndmask_b32_e32 v18, 0, v18, vcc_lo
	v_sub_nc_u32_e32 v11, v11, v26
	s_delay_alu instid0(VALU_DEP_1) | instskip(NEXT) | instid1(VALU_DEP_1)
	v_lshl_add_u32 v25, v11, 5, v22
	v_ashrrev_i32_e32 v11, 31, v25
	s_delay_alu instid0(VALU_DEP_1) | instskip(NEXT) | instid1(VALU_DEP_1)
	v_lshrrev_b32_e32 v11, 27, v11
	v_add_nc_u32_e32 v19, v25, v11
	v_add3_u32 v11, v21, v20, v18
	s_delay_alu instid0(VALU_DEP_2)
	v_ashrrev_i32_e32 v18, 5, v19
.LBB10_145:                             ;   in Loop: Header=BB10_57 Depth=2
	s_or_b32 exec_lo, exec_lo, s60
	s_delay_alu instid0(SALU_CYCLE_1)
	s_and_b32 s41, s41, exec_lo
.LBB10_146:                             ;   in Loop: Header=BB10_57 Depth=2
	s_or_b32 exec_lo, exec_lo, s40
	s_and_saveexec_b32 s13, s41
	s_cbranch_execz .LBB10_155
.LBB10_147:                             ;   in Loop: Header=BB10_57 Depth=2
	v_ashrrev_i32_e32 v19, 31, v9
	s_mov_b32 s40, exec_lo
	s_delay_alu instid0(VALU_DEP_1) | instskip(NEXT) | instid1(VALU_DEP_1)
	v_lshrrev_b32_e32 v19, 22, v19
	v_add_nc_u32_e32 v19, v9, v19
	s_delay_alu instid0(VALU_DEP_1) | instskip(NEXT) | instid1(VALU_DEP_1)
	v_dual_ashrrev_i32 v32, 10, v19 :: v_dual_ashrrev_i32 v19, 31, v25
	v_dual_sub_nc_u32 v26, v32, v18 :: v_dual_lshrrev_b32 v27, 27, v19
	s_delay_alu instid0(VALU_DEP_1)
	v_cmpx_lt_i32_e32 0, v26
	s_cbranch_execz .LBB10_151
; %bb.148:                              ;   in Loop: Header=BB10_57 Depth=2
	s_delay_alu instid0(VALU_DEP_2) | instskip(SKIP_3) | instid1(VALU_DEP_3)
	v_dual_add_nc_u32 v19, v25, v27 :: v_dual_lshlrev_b32 v18, 10, v18
	v_mov_b64_e32 v[20:21], v[16:17]
	v_mov_b64_e32 v[22:23], v[14:15]
	s_mov_b32 s41, 0
	v_and_b32_e32 v19, 0x7fffffe0, v19
	s_delay_alu instid0(VALU_DEP_1) | instskip(NEXT) | instid1(VALU_DEP_1)
	v_sub_nc_u32_e32 v19, v25, v19
	v_lshlrev_b32_e32 v19, 1, v19
	s_delay_alu instid0(VALU_DEP_1) | instskip(NEXT) | instid1(VALU_DEP_1)
	v_add3_u32 v18, v19, v11, v18
	v_ashrrev_i32_e32 v19, 31, v18
.LBB10_149:                             ;   Parent Loop BB10_47 Depth=1
                                        ;     Parent Loop BB10_57 Depth=2
                                        ; =>    This Inner Loop Header: Depth=3
	s_delay_alu instid0(VALU_DEP_1)
	v_add_nc_u64_e32 v[34:35], v[18:19], v[22:23]
	v_sub_nc_u32_e32 v26, v26, v84
	v_add_nc_u64_e32 v[22:23], v[22:23], v[112:113]
	s_clause 0xf
	flat_load_u16 v33, v[34:35] th:TH_LOAD_NT
	flat_load_u16 v36, v[34:35] offset:64 th:TH_LOAD_NT
	flat_load_u16 v37, v[34:35] offset:128 th:TH_LOAD_NT
	;; [unrolled: 1-line block ×15, first 2 shown]
	s_wait_xcnt 0x0
	v_add_nc_u64_e32 v[34:35], v[18:19], v[20:21]
	v_add_nc_u64_e32 v[20:21], v[20:21], v[112:113]
	v_cmp_gt_i32_e32 vcc_lo, 1, v26
	s_wait_loadcnt_dscnt 0xf0f
	flat_store_b16 v[34:35], v33 th:TH_STORE_NT
	s_wait_loadcnt_dscnt 0xe0f
	flat_store_b16 v[34:35], v36 offset:64 th:TH_STORE_NT
	s_wait_loadcnt_dscnt 0xd0f
	flat_store_b16 v[34:35], v37 offset:128 th:TH_STORE_NT
	;; [unrolled: 2-line block ×15, first 2 shown]
	s_or_b32 s41, vcc_lo, s41
	s_wait_xcnt 0x0
	s_and_not1_b32 exec_lo, exec_lo, s41
	s_cbranch_execnz .LBB10_149
; %bb.150:                              ;   in Loop: Header=BB10_57 Depth=2
	s_or_b32 exec_lo, exec_lo, s41
.LBB10_151:                             ;   in Loop: Header=BB10_57 Depth=2
	s_delay_alu instid0(SALU_CYCLE_1) | instskip(SKIP_1) | instid1(VALU_DEP_1)
	s_or_b32 exec_lo, exec_lo, s40
	v_lshlrev_b32_e32 v18, 10, v32
	v_cmp_ne_u32_e32 vcc_lo, v9, v18
	s_and_b32 exec_lo, exec_lo, vcc_lo
	s_cbranch_execz .LBB10_155
; %bb.152:                              ;   in Loop: Header=BB10_57 Depth=2
	v_dual_add_nc_u32 v19, v25, v27 :: v_dual_lshlrev_b32 v20, 5, v26
	s_delay_alu instid0(VALU_DEP_1) | instskip(NEXT) | instid1(VALU_DEP_1)
	v_and_b32_e32 v19, 0xffffffe0, v19
	v_sub_nc_u32_e32 v19, v25, v19
	s_delay_alu instid0(VALU_DEP_1) | instskip(NEXT) | instid1(VALU_DEP_1)
	v_sub_nc_u32_e32 v19, v19, v20
	v_ashrrev_i32_e32 v20, 31, v19
	s_delay_alu instid0(VALU_DEP_1) | instskip(NEXT) | instid1(VALU_DEP_1)
	v_lshrrev_b32_e32 v20, 27, v20
	v_add_nc_u32_e32 v20, v19, v20
	s_delay_alu instid0(VALU_DEP_1) | instskip(NEXT) | instid1(VALU_DEP_1)
	v_and_b32_e32 v21, 0x7fffffe0, v20
	v_dual_lshlrev_b32 v20, 1, v20 :: v_dual_sub_nc_u32 v19, v19, v21
	s_delay_alu instid0(VALU_DEP_1) | instskip(NEXT) | instid1(VALU_DEP_2)
	v_and_b32_e32 v20, 0xffffffc0, v20
	v_lshlrev_b32_e32 v19, 1, v19
	s_delay_alu instid0(VALU_DEP_1) | instskip(NEXT) | instid1(VALU_DEP_1)
	v_add3_u32 v18, v20, v19, v18
	v_sub_nc_u32_e32 v9, v9, v18
	s_delay_alu instid0(VALU_DEP_1)
	v_cmp_lt_i32_e32 vcc_lo, 1, v9
	s_and_b32 exec_lo, exec_lo, vcc_lo
	s_cbranch_execz .LBB10_155
; %bb.153:                              ;   in Loop: Header=BB10_57 Depth=2
	v_add_nc_u32_e32 v18, v18, v11
	s_mov_b32 s40, 0
	s_delay_alu instid0(VALU_DEP_1)
	v_ashrrev_i32_e32 v19, 31, v18
.LBB10_154:                             ;   Parent Loop BB10_47 Depth=1
                                        ;     Parent Loop BB10_57 Depth=2
                                        ; =>    This Inner Loop Header: Depth=3
	s_delay_alu instid0(VALU_DEP_1) | instskip(SKIP_1) | instid1(VALU_DEP_1)
	v_add_nc_u64_e32 v[20:21], v[14:15], v[18:19]
	v_sub_nc_u32_e32 v9, v9, v114
	v_cmp_gt_i32_e32 vcc_lo, 2, v9
	flat_load_u16 v11, v[20:21] th:TH_LOAD_NT
	s_wait_xcnt 0x0
	v_add_nc_u64_e32 v[20:21], v[16:17], v[18:19]
	v_add_nc_u64_e32 v[18:19], v[18:19], v[114:115]
	s_or_b32 s40, vcc_lo, s40
	s_wait_loadcnt_dscnt 0x0
	flat_store_b16 v[20:21], v11 th:TH_STORE_NT
	s_wait_xcnt 0x0
	s_and_not1_b32 exec_lo, exec_lo, s40
	s_cbranch_execnz .LBB10_154
.LBB10_155:                             ;   in Loop: Header=BB10_57 Depth=2
	s_or_b32 exec_lo, exec_lo, s13
	v_cmp_lt_i32_e64 s13, 0, v2
	s_and_saveexec_b32 s40, s2
	s_cbranch_execz .LBB10_130
.LBB10_156:                             ;   in Loop: Header=BB10_57 Depth=2
	s_and_saveexec_b32 s41, s3
	s_delay_alu instid0(SALU_CYCLE_1)
	s_xor_b32 s41, exec_lo, s41
	s_cbranch_execz .LBB10_171
; %bb.157:                              ;   in Loop: Header=BB10_57 Depth=2
	s_and_saveexec_b32 s60, s6
	s_cbranch_execz .LBB10_170
; %bb.158:                              ;   in Loop: Header=BB10_57 Depth=2
	s_mov_b32 s62, exec_lo
	s_mov_b32 s61, exec_lo
	v_mbcnt_lo_u32_b32 v2, s62, 0
	global_wb scope:SCOPE_DEV
	s_wait_storecnt 0x0
	s_wait_loadcnt_dscnt 0x0
	global_inv scope:SCOPE_DEV
	v_cmpx_eq_u32_e32 0, v2
	s_cbranch_execz .LBB10_160
; %bb.159:                              ;   in Loop: Header=BB10_57 Depth=2
	s_bcnt1_i32_b32 s62, s62
	s_delay_alu instid0(SALU_CYCLE_1)
	v_mov_b32_e32 v2, s62
	s_wait_loadcnt 0x0
	ds_add_u64 v0, v[2:3]
	s_trap 2
.LBB10_160:                             ;   in Loop: Header=BB10_57 Depth=2
	s_or_b32 exec_lo, exec_lo, s61
	s_trap 2
	ds_load_b64 v[14:15], v0
	s_wait_dscnt 0x0
	v_add_nc_u64_e32 v[80:81], v[80:81], v[84:85]
	s_mov_b32 s61, exec_lo
	s_delay_alu instid0(VALU_DEP_1)
	v_cmpx_lt_u64_e64 v[14:15], v[80:81]
	s_cbranch_execz .LBB10_169
; %bb.161:                              ;   in Loop: Header=BB10_57 Depth=2
	s_mov_b32 s62, 0
	s_mov_b32 s73, 0
                                        ; implicit-def: $sgpr63
                                        ; implicit-def: $sgpr72
	s_branch .LBB10_163
.LBB10_162:                             ;   in Loop: Header=BB10_163 Depth=3
	s_or_b32 exec_lo, exec_lo, s75
	s_delay_alu instid0(SALU_CYCLE_1) | instskip(NEXT) | instid1(SALU_CYCLE_1)
	s_and_b32 s74, exec_lo, s76
	s_or_b32 s62, s74, s62
	s_and_not1_b32 s63, s63, exec_lo
	s_and_b32 s74, s72, exec_lo
	s_delay_alu instid0(SALU_CYCLE_1)
	s_or_b32 s63, s63, s74
	s_and_not1_b32 exec_lo, exec_lo, s62
	s_cbranch_execz .LBB10_167
.LBB10_163:                             ;   Parent Loop BB10_47 Depth=1
                                        ;     Parent Loop BB10_57 Depth=2
                                        ; =>    This Inner Loop Header: Depth=3
	s_add_co_i32 s73, s73, 1
	s_delay_alu instid0(SALU_CYCLE_1) | instskip(SKIP_1) | instid1(SALU_CYCLE_1)
	s_cmp_lg_u32 s73, 0x2710
	s_cselect_b32 s74, -1, 0
	s_and_b32 vcc_lo, exec_lo, s74
	s_cbranch_vccz .LBB10_165
; %bb.164:                              ;   in Loop: Header=BB10_163 Depth=3
	s_mov_b32 s76, -1
	s_or_b32 s72, s72, exec_lo
	s_and_saveexec_b32 s75, s74
	s_cbranch_execz .LBB10_162
	s_branch .LBB10_166
.LBB10_165:                             ;   in Loop: Header=BB10_163 Depth=3
	s_trap 2
	ds_load_b64 v[14:15], v0
	s_and_not1_b32 s74, s74, exec_lo
	s_mov_b32 s73, 0
	s_wait_loadcnt_dscnt 0x0
	flat_load_b32 v2, v[14:15] scope:SCOPE_SYS
	s_wait_loadcnt_dscnt 0x0
	global_inv scope:SCOPE_SYS
	v_cmp_eq_u32_e32 vcc_lo, 0, v2
	s_and_b32 s75, vcc_lo, exec_lo
	s_delay_alu instid0(SALU_CYCLE_1)
	s_or_b32 s74, s74, s75
	s_mov_b32 s76, -1
	s_or_b32 s72, s72, exec_lo
	s_and_saveexec_b32 s75, s74
	s_cbranch_execz .LBB10_162
.LBB10_166:                             ;   in Loop: Header=BB10_163 Depth=3
	s_sleep 1
	s_trap 2
	ds_load_b64 v[14:15], v0
	s_wait_dscnt 0x0
	s_and_not1_b32 s72, s72, exec_lo
	v_cmp_ge_u64_e32 vcc_lo, v[14:15], v[80:81]
	s_or_not1_b32 s76, vcc_lo, exec_lo
	s_branch .LBB10_162
.LBB10_167:                             ;   in Loop: Header=BB10_57 Depth=2
	s_or_b32 exec_lo, exec_lo, s62
	s_and_saveexec_b32 s62, s63
	s_delay_alu instid0(SALU_CYCLE_1)
	s_xor_b32 s62, exec_lo, s62
	s_cbranch_execz .LBB10_169
; %bb.168:                              ;   in Loop: Header=BB10_57 Depth=2
	ds_store_b32 v0, v121
	s_trap 2
.LBB10_169:                             ;   in Loop: Header=BB10_57 Depth=2
	s_or_b32 exec_lo, exec_lo, s61
	;;#ASMSTART
	s_wakeup
	;;#ASMEND
.LBB10_170:                             ;   in Loop: Header=BB10_57 Depth=2
	s_or_b32 exec_lo, exec_lo, s60
.LBB10_171:                             ;   in Loop: Header=BB10_57 Depth=2
	s_and_not1_saveexec_b32 s41, s41
	s_cbranch_execz .LBB10_173
; %bb.172:                              ;   in Loop: Header=BB10_57 Depth=2
	global_wb scope:SCOPE_DEV
	s_wait_storecnt 0x0
	s_wait_loadcnt_dscnt 0x0
	global_inv scope:SCOPE_DEV
	s_barrier_signal -1
	s_barrier_wait -1
.LBB10_173:                             ;   in Loop: Header=BB10_57 Depth=2
	s_or_b32 exec_lo, exec_lo, s41
	s_delay_alu instid0(SALU_CYCLE_1) | instskip(SKIP_1) | instid1(SALU_CYCLE_1)
	s_or_b32 exec_lo, exec_lo, s40
                                        ; implicit-def: $vgpr2
	s_and_saveexec_b32 s40, s10
	s_xor_b32 s40, exec_lo, s40
	s_cbranch_execnz .LBB10_131
.LBB10_174:                             ;   in Loop: Header=BB10_57 Depth=2
	s_and_not1_saveexec_b32 s13, s40
	s_cbranch_execz .LBB10_193
.LBB10_175:                             ;   in Loop: Header=BB10_57 Depth=2
	s_and_saveexec_b32 s40, s3
	s_delay_alu instid0(SALU_CYCLE_1)
	s_xor_b32 s40, exec_lo, s40
	s_cbranch_execz .LBB10_190
; %bb.176:                              ;   in Loop: Header=BB10_57 Depth=2
	s_and_saveexec_b32 s41, s6
	s_cbranch_execz .LBB10_189
; %bb.177:                              ;   in Loop: Header=BB10_57 Depth=2
	s_mov_b32 s61, exec_lo
	s_mov_b32 s60, exec_lo
	v_mbcnt_lo_u32_b32 v2, s61, 0
	;;#ASMSTART
	s_waitcnt lgkmcnt(0) vmcnt(0)
	;;#ASMEND
	s_delay_alu instid0(VALU_DEP_1)
	v_cmpx_eq_u32_e32 0, v2
	s_cbranch_execz .LBB10_179
; %bb.178:                              ;   in Loop: Header=BB10_57 Depth=2
	s_bcnt1_i32_b32 s61, s61
	s_delay_alu instid0(SALU_CYCLE_1)
	v_mov_b32_e32 v2, s61
	s_wait_storecnt 0x0
	s_wait_loadcnt_dscnt 0x0
	ds_add_u64 v0, v[2:3]
	s_trap 2
.LBB10_179:                             ;   in Loop: Header=BB10_57 Depth=2
	s_or_b32 exec_lo, exec_lo, s60
	s_trap 2
	ds_load_b64 v[14:15], v0
	s_wait_dscnt 0x0
	v_add_nc_u64_e32 v[80:81], v[80:81], v[84:85]
	s_mov_b32 s60, exec_lo
	s_delay_alu instid0(VALU_DEP_1)
	v_cmpx_lt_u64_e64 v[14:15], v[80:81]
	s_cbranch_execz .LBB10_188
; %bb.180:                              ;   in Loop: Header=BB10_57 Depth=2
	s_mov_b32 s61, 0
	s_mov_b32 s72, 0
                                        ; implicit-def: $sgpr62
                                        ; implicit-def: $sgpr63
	s_branch .LBB10_182
.LBB10_181:                             ;   in Loop: Header=BB10_182 Depth=3
	s_or_b32 exec_lo, exec_lo, s74
	s_delay_alu instid0(SALU_CYCLE_1) | instskip(NEXT) | instid1(SALU_CYCLE_1)
	s_and_b32 s73, exec_lo, s75
	s_or_b32 s61, s73, s61
	s_and_not1_b32 s62, s62, exec_lo
	s_and_b32 s73, s63, exec_lo
	s_delay_alu instid0(SALU_CYCLE_1)
	s_or_b32 s62, s62, s73
	s_and_not1_b32 exec_lo, exec_lo, s61
	s_cbranch_execz .LBB10_186
.LBB10_182:                             ;   Parent Loop BB10_47 Depth=1
                                        ;     Parent Loop BB10_57 Depth=2
                                        ; =>    This Inner Loop Header: Depth=3
	s_add_co_i32 s72, s72, 1
	s_delay_alu instid0(SALU_CYCLE_1) | instskip(SKIP_1) | instid1(SALU_CYCLE_1)
	s_cmp_lg_u32 s72, 0x2710
	s_cselect_b32 s73, -1, 0
	s_and_b32 vcc_lo, exec_lo, s73
	s_cbranch_vccz .LBB10_184
; %bb.183:                              ;   in Loop: Header=BB10_182 Depth=3
	s_mov_b32 s75, -1
	s_or_b32 s63, s63, exec_lo
	s_and_saveexec_b32 s74, s73
	s_cbranch_execz .LBB10_181
	s_branch .LBB10_185
.LBB10_184:                             ;   in Loop: Header=BB10_182 Depth=3
	s_trap 2
	ds_load_b64 v[14:15], v0
	s_and_not1_b32 s73, s73, exec_lo
	s_mov_b32 s72, 0
	s_wait_storecnt 0x0
	s_wait_loadcnt_dscnt 0x0
	flat_load_b32 v2, v[14:15] scope:SCOPE_SYS
	s_wait_loadcnt_dscnt 0x0
	global_inv scope:SCOPE_SYS
	v_cmp_eq_u32_e32 vcc_lo, 0, v2
	s_and_b32 s74, vcc_lo, exec_lo
	s_delay_alu instid0(SALU_CYCLE_1)
	s_or_b32 s73, s73, s74
	s_mov_b32 s75, -1
	s_or_b32 s63, s63, exec_lo
	s_and_saveexec_b32 s74, s73
	s_cbranch_execz .LBB10_181
.LBB10_185:                             ;   in Loop: Header=BB10_182 Depth=3
	s_sleep 1
	s_trap 2
	ds_load_b64 v[14:15], v0
	s_wait_dscnt 0x0
	s_and_not1_b32 s63, s63, exec_lo
	v_cmp_ge_u64_e32 vcc_lo, v[14:15], v[80:81]
	s_or_not1_b32 s75, vcc_lo, exec_lo
	s_branch .LBB10_181
.LBB10_186:                             ;   in Loop: Header=BB10_57 Depth=2
	s_or_b32 exec_lo, exec_lo, s61
	s_and_saveexec_b32 s61, s62
	s_delay_alu instid0(SALU_CYCLE_1)
	s_xor_b32 s61, exec_lo, s61
	s_cbranch_execz .LBB10_188
; %bb.187:                              ;   in Loop: Header=BB10_57 Depth=2
	ds_store_b32 v0, v121
	s_trap 2
.LBB10_188:                             ;   in Loop: Header=BB10_57 Depth=2
	s_or_b32 exec_lo, exec_lo, s60
	;;#ASMSTART
	s_wakeup
	;;#ASMEND
.LBB10_189:                             ;   in Loop: Header=BB10_57 Depth=2
	s_or_b32 exec_lo, exec_lo, s41
.LBB10_190:                             ;   in Loop: Header=BB10_57 Depth=2
	s_and_not1_saveexec_b32 s40, s40
	s_cbranch_execz .LBB10_192
; %bb.191:                              ;   in Loop: Header=BB10_57 Depth=2
	;;#ASMSTART
	s_waitcnt lgkmcnt(0) vmcnt(0)
	;;#ASMEND
	s_barrier_signal -1
	s_barrier_wait -1
.LBB10_192:                             ;   in Loop: Header=BB10_57 Depth=2
	s_or_b32 exec_lo, exec_lo, s40
	v_and_b32_e32 v2, 16, v30
.LBB10_193:                             ;   in Loop: Header=BB10_57 Depth=2
	s_or_b32 exec_lo, exec_lo, s13
	s_delay_alu instid0(SALU_CYCLE_1) | instskip(NEXT) | instid1(VALU_DEP_1)
	s_mov_b32 s13, exec_lo
	v_cmpx_ne_u32_e32 0, v2
	s_cbranch_execz .LBB10_56
; %bb.194:                              ;   in Loop: Header=BB10_57 Depth=2
	s_and_saveexec_b32 s40, s5
	s_cbranch_execz .LBB10_55
; %bb.195:                              ;   in Loop: Header=BB10_57 Depth=2
	global_wb scope:SCOPE_SYS
	s_wait_storecnt 0x0
	s_wait_loadcnt_dscnt 0x0
	flat_store_b32 v[70:71], v121 scope:SCOPE_SYS
	s_branch .LBB10_55
.LBB10_196:                             ;   in Loop: Header=BB10_47 Depth=1
	s_or_b32 exec_lo, exec_lo, s15
.LBB10_197:                             ;   in Loop: Header=BB10_47 Depth=1
	s_delay_alu instid0(SALU_CYCLE_1) | instskip(NEXT) | instid1(SALU_CYCLE_1)
	s_or_b32 exec_lo, exec_lo, s14
	s_mov_b32 s14, exec_lo
	v_cmpx_gt_i32_e32 2, v2
	s_cbranch_execz .LBB10_271
; %bb.198:                              ;   in Loop: Header=BB10_47 Depth=1
	v_cmp_eq_u32_e64 s18, 0, v2
	s_mov_b32 s15, 0
	s_branch .LBB10_201
.LBB10_199:                             ;   in Loop: Header=BB10_201 Depth=2
	s_wait_xcnt 0x0
	s_or_b32 exec_lo, exec_lo, s18
	v_add_nc_u64_e32 v[60:61], 2, v[60:61]
	global_wb scope:SCOPE_SYS
	s_wait_storecnt 0x0
	s_wait_loadcnt_dscnt 0x0
	flat_store_b64 v[64:65], v[60:61] scope:SCOPE_SYS
.LBB10_200:                             ;   in Loop: Header=BB10_201 Depth=2
	s_wait_xcnt 0x0
	s_or_b32 exec_lo, exec_lo, s13
	v_add_nc_u32_e32 v10, v8, v10
	s_mov_b32 s18, 0
	s_and_not1_b32 exec_lo, exec_lo, s15
	s_cbranch_execz .LBB10_270
.LBB10_201:                             ;   Parent Loop BB10_47 Depth=1
                                        ; =>  This Loop Header: Depth=2
                                        ;       Child Loop BB10_207 Depth 3
                                        ;       Child Loop BB10_231 Depth 3
	;; [unrolled: 1-line block ×3, first 2 shown]
	s_delay_alu instid0(VALU_DEP_1) | instskip(SKIP_2) | instid1(VALU_DEP_2)
	v_sub_nc_u32_e32 v2, v24, v10
	v_and_b32_e32 v9, 8, v30
	s_mov_b32 s27, exec_lo
	v_min_i32_e32 v8, v8, v2
	s_delay_alu instid0(VALU_DEP_2)
	v_cmpx_ne_u32_e32 0, v9
	s_cbranch_execz .LBB10_223
; %bb.202:                              ;   in Loop: Header=BB10_201 Depth=2
	s_wait_loadcnt_dscnt 0x1
	v_add_nc_u64_e32 v[14:15], 8, v[82:83]
	v_add_nc_u64_e32 v[12:13], 2, v[60:61]
	s_mov_b32 s40, exec_lo
	s_delay_alu instid0(VALU_DEP_1)
	v_cmpx_lt_u64_e64 v[14:15], v[12:13]
	s_cbranch_execz .LBB10_214
; %bb.203:                              ;   in Loop: Header=BB10_201 Depth=2
	v_and_b32_e32 v2, 64, v30
	s_mov_b32 s41, 0
	s_mov_b32 s63, 0
                                        ; implicit-def: $sgpr60
                                        ; implicit-def: $sgpr61
                                        ; implicit-def: $sgpr62
	s_delay_alu instid0(VALU_DEP_1)
	v_cmp_eq_u32_e32 vcc_lo, 0, v2
	s_branch .LBB10_207
.LBB10_204:                             ;   in Loop: Header=BB10_207 Depth=3
	s_wait_loadcnt_dscnt 0x0
	v_add_nc_u64_e32 v[14:15], 8, v[82:83]
	s_or_b32 s74, s74, exec_lo
	s_delay_alu instid0(VALU_DEP_1)
	v_cmp_ge_u64_e64 s13, v[14:15], v[12:13]
	s_or_not1_b32 s73, s13, exec_lo
.LBB10_205:                             ;   in Loop: Header=BB10_207 Depth=3
	s_or_b32 exec_lo, exec_lo, s76
	s_delay_alu instid0(SALU_CYCLE_1)
	s_and_not1_b32 s13, s62, exec_lo
	s_and_b32 s62, s74, exec_lo
	s_and_not1_b32 s61, s61, exec_lo
	s_and_b32 s73, s73, exec_lo
	s_or_b32 s62, s13, s62
	s_or_b32 s61, s61, s73
.LBB10_206:                             ;   in Loop: Header=BB10_207 Depth=3
	s_or_b32 exec_lo, exec_lo, s72
	s_delay_alu instid0(SALU_CYCLE_1) | instskip(NEXT) | instid1(SALU_CYCLE_1)
	s_and_b32 s13, exec_lo, s61
	s_or_b32 s41, s13, s41
	s_and_not1_b32 s13, s60, exec_lo
	s_and_b32 s60, s62, exec_lo
	s_delay_alu instid0(SALU_CYCLE_1)
	s_or_b32 s60, s13, s60
	s_and_not1_b32 exec_lo, exec_lo, s41
	s_cbranch_execz .LBB10_211
.LBB10_207:                             ;   Parent Loop BB10_47 Depth=1
                                        ;     Parent Loop BB10_201 Depth=2
                                        ; =>    This Inner Loop Header: Depth=3
	s_sleep 1
	s_wait_loadcnt_dscnt 0x0
	flat_load_b64 v[82:83], v[64:65] scope:SCOPE_SYS
	s_or_b32 s62, s62, exec_lo
	s_or_b32 s61, s61, exec_lo
                                        ; implicit-def: $vgpr2
	s_wait_xcnt 0x0
	s_and_saveexec_b32 s72, vcc_lo
	s_cbranch_execz .LBB10_206
; %bb.208:                              ;   in Loop: Header=BB10_207 Depth=3
	s_cmp_lt_i32 s63, 0x270f
	s_mov_b32 s73, -1
	s_cselect_b32 s75, -1, 0
	s_cmp_gt_i32 s63, 0x270e
	s_cbranch_scc0 .LBB10_210
; %bb.209:                              ;   in Loop: Header=BB10_207 Depth=3
	s_trap 2
	ds_load_b64 v[14:15], v0
	s_and_not1_b32 s63, s75, exec_lo
	s_mov_b32 s74, 0
	s_wait_storecnt 0x0
	s_wait_loadcnt_dscnt 0x0
	flat_load_b32 v2, v[14:15] scope:SCOPE_SYS
	s_wait_loadcnt_dscnt 0x0
	global_inv scope:SCOPE_SYS
	v_cmp_eq_u32_e64 s13, 0, v2
	s_and_b32 s13, s13, exec_lo
	s_delay_alu instid0(SALU_CYCLE_1)
	s_or_b32 s75, s63, s13
	s_mov_b32 s63, 0
	s_and_saveexec_b32 s76, s75
	s_cbranch_execz .LBB10_205
	s_branch .LBB10_204
.LBB10_210:                             ;   in Loop: Header=BB10_207 Depth=3
	s_add_co_i32 s63, s63, 1
	s_mov_b32 s74, -1
                                        ; implicit-def: $vgpr2
	s_and_saveexec_b32 s76, s75
	s_cbranch_execz .LBB10_205
	s_branch .LBB10_204
.LBB10_211:                             ;   in Loop: Header=BB10_201 Depth=2
	s_or_b32 exec_lo, exec_lo, s41
	s_xor_b32 s13, s60, -1
	s_delay_alu instid0(SALU_CYCLE_1) | instskip(NEXT) | instid1(SALU_CYCLE_1)
	s_and_saveexec_b32 s41, s13
	s_xor_b32 s13, exec_lo, s41
	s_cbranch_execz .LBB10_213
; %bb.212:                              ;   in Loop: Header=BB10_201 Depth=2
	v_or_b32_e32 v30, 64, v30
	s_wait_storecnt 0x0
	s_wait_loadcnt_dscnt 0x0
	ds_store_b32 v0, v2
	s_trap 2
.LBB10_213:                             ;   in Loop: Header=BB10_201 Depth=2
	s_or_b32 exec_lo, exec_lo, s13
.LBB10_214:                             ;   in Loop: Header=BB10_201 Depth=2
	s_delay_alu instid0(SALU_CYCLE_1) | instskip(SKIP_4) | instid1(VALU_DEP_1)
	s_or_b32 exec_lo, exec_lo, s40
	v_and_b32_e32 v2, 0x100, v30
	s_mov_b32 s40, 0
	s_mov_b32 s13, exec_lo
	;;#ASMSTART
	s_wakeup
	;;#ASMEND
                                        ; implicit-def: $vgpr14_vgpr15
	v_cmpx_ne_u32_e32 0, v2
	s_xor_b32 s13, exec_lo, s13
	s_cbranch_execz .LBB10_235
; %bb.215:                              ;   in Loop: Header=BB10_201 Depth=2
	v_and_b32_e32 v2, 7, v60
	v_ashrrev_i32_e32 v9, 31, v8
	s_mov_b32 s40, -1
	s_mov_b32 s41, exec_lo
	s_delay_alu instid0(VALU_DEP_2) | instskip(NEXT) | instid1(VALU_DEP_2)
	v_mad_nc_u64_u32 v[16:17], v2, 24, v[6:7]
	v_lshlrev_b64_e32 v[14:15], 1, v[8:9]
	s_clause 0x1
	flat_load_b32 v11, v[16:17]
	flat_store_b64 v[16:17], v[14:15] offset:8
                                        ; implicit-def: $vgpr14_vgpr15
	s_wait_loadcnt_dscnt 0x1
	v_cmpx_eq_u32_e32 1, v11
	s_cbranch_execz .LBB10_217
; %bb.216:                              ;   in Loop: Header=BB10_201 Depth=2
	flat_load_b32 v14, v[16:17] offset:4 scope:SCOPE_SYS
	s_xor_b32 s40, exec_lo, -1
	s_wait_loadcnt_dscnt 0x0
	v_ashrrev_i32_e32 v15, 31, v14
	s_delay_alu instid0(VALU_DEP_1)
	v_lshrrev_b64 v[14:15], 1, v[14:15]
.LBB10_217:                             ;   in Loop: Header=BB10_201 Depth=2
	s_wait_xcnt 0x0
	s_or_b32 exec_lo, exec_lo, s41
	s_delay_alu instid0(SALU_CYCLE_1)
	s_and_b32 s40, s40, exec_lo
                                        ; implicit-def: $vgpr60_vgpr61
	s_and_not1_saveexec_b32 s13, s13
	s_cbranch_execnz .LBB10_236
.LBB10_218:                             ;   in Loop: Header=BB10_201 Depth=2
	s_or_b32 exec_lo, exec_lo, s13
	s_and_saveexec_b32 s13, s40
.LBB10_219:                             ;   in Loop: Header=BB10_201 Depth=2
	v_mul_u64_e32 v[14:15], v[2:3], v[66:67]
.LBB10_220:                             ;   in Loop: Header=BB10_201 Depth=2
	s_or_b32 exec_lo, exec_lo, s13
	v_and_b32_e32 v2, 0x2000, v30
	s_delay_alu instid0(VALU_DEP_2)
	v_lshl_add_u64 v[14:15], v[14:15], 1, v[68:69]
	s_mov_b32 s13, exec_lo
	ds_store_b64 v0, v[14:15] offset:784
	v_cmpx_ne_u32_e32 0, v2
	s_cbranch_execz .LBB10_222
; %bb.221:                              ;   in Loop: Header=BB10_201 Depth=2
	ds_load_b64 v[14:15], v0 offset:872
	s_wait_dscnt 0x0
	v_add_nc_u64_e32 v[14:15], 1, v[14:15]
	ds_store_b64 v0, v[14:15] offset:872
.LBB10_222:                             ;   in Loop: Header=BB10_201 Depth=2
	s_or_b32 exec_lo, exec_lo, s13
	v_mov_b64_e32 v[60:61], v[12:13]
.LBB10_223:                             ;   in Loop: Header=BB10_201 Depth=2
	s_or_b32 exec_lo, exec_lo, s27
	s_xor_b32 s13, s18, -1
	s_delay_alu instid0(SALU_CYCLE_1) | instskip(NEXT) | instid1(SALU_CYCLE_1)
	s_and_b32 s13, exec_lo, s13
	s_or_b32 s15, s13, s15
	s_and_saveexec_b32 s13, s2
	s_cbranch_execz .LBB10_244
; %bb.224:                              ;   in Loop: Header=BB10_201 Depth=2
	s_and_saveexec_b32 s18, s3
	s_delay_alu instid0(SALU_CYCLE_1)
	s_xor_b32 s18, exec_lo, s18
	s_cbranch_execz .LBB10_241
; %bb.225:                              ;   in Loop: Header=BB10_201 Depth=2
	s_and_saveexec_b32 s27, s6
	s_cbranch_execz .LBB10_240
; %bb.226:                              ;   in Loop: Header=BB10_201 Depth=2
	s_mov_b32 s41, exec_lo
	s_mov_b32 s40, exec_lo
	v_mbcnt_lo_u32_b32 v2, s41, 0
	global_wb scope:SCOPE_DEV
	s_wait_storecnt 0x0
	s_wait_loadcnt_dscnt 0x0
	global_inv scope:SCOPE_DEV
	v_cmpx_eq_u32_e32 0, v2
	s_cbranch_execz .LBB10_228
; %bb.227:                              ;   in Loop: Header=BB10_201 Depth=2
	s_bcnt1_i32_b32 s41, s41
	s_delay_alu instid0(SALU_CYCLE_1)
	v_mov_b32_e32 v2, s41
	s_wait_loadcnt 0x0
	ds_add_u64 v0, v[2:3]
	s_trap 2
.LBB10_228:                             ;   in Loop: Header=BB10_201 Depth=2
	s_or_b32 exec_lo, exec_lo, s40
	s_trap 2
	ds_load_b64 v[12:13], v0
	s_wait_dscnt 0x0
	v_add_nc_u64_e32 v[80:81], v[80:81], v[84:85]
	s_mov_b32 s40, exec_lo
	s_delay_alu instid0(VALU_DEP_1)
	v_cmpx_lt_u64_e64 v[12:13], v[80:81]
	s_cbranch_execz .LBB10_239
; %bb.229:                              ;   in Loop: Header=BB10_201 Depth=2
	s_mov_b32 s41, 0
	s_mov_b32 s62, 0
                                        ; implicit-def: $sgpr60
                                        ; implicit-def: $sgpr61
	s_branch .LBB10_231
.LBB10_230:                             ;   in Loop: Header=BB10_231 Depth=3
	s_or_b32 exec_lo, exec_lo, s72
	s_delay_alu instid0(SALU_CYCLE_1) | instskip(NEXT) | instid1(SALU_CYCLE_1)
	s_and_b32 s63, exec_lo, s73
	s_or_b32 s41, s63, s41
	s_and_not1_b32 s60, s60, exec_lo
	s_and_b32 s63, s61, exec_lo
	s_delay_alu instid0(SALU_CYCLE_1)
	s_or_b32 s60, s60, s63
	s_and_not1_b32 exec_lo, exec_lo, s41
	s_cbranch_execz .LBB10_237
.LBB10_231:                             ;   Parent Loop BB10_47 Depth=1
                                        ;     Parent Loop BB10_201 Depth=2
                                        ; =>    This Inner Loop Header: Depth=3
	s_add_co_i32 s62, s62, 1
	s_delay_alu instid0(SALU_CYCLE_1) | instskip(SKIP_1) | instid1(SALU_CYCLE_1)
	s_cmp_lg_u32 s62, 0x2710
	s_cselect_b32 s63, -1, 0
	s_and_b32 vcc_lo, exec_lo, s63
	s_cbranch_vccz .LBB10_233
; %bb.232:                              ;   in Loop: Header=BB10_231 Depth=3
	s_mov_b32 s73, -1
	s_or_b32 s61, s61, exec_lo
	s_and_saveexec_b32 s72, s63
	s_cbranch_execz .LBB10_230
	s_branch .LBB10_234
.LBB10_233:                             ;   in Loop: Header=BB10_231 Depth=3
	s_trap 2
	ds_load_b64 v[12:13], v0
	s_and_not1_b32 s63, s63, exec_lo
	s_mov_b32 s62, 0
	s_wait_loadcnt_dscnt 0x0
	flat_load_b32 v2, v[12:13] scope:SCOPE_SYS
	s_wait_loadcnt_dscnt 0x0
	global_inv scope:SCOPE_SYS
	v_cmp_eq_u32_e32 vcc_lo, 0, v2
	s_and_b32 s72, vcc_lo, exec_lo
	s_delay_alu instid0(SALU_CYCLE_1)
	s_or_b32 s63, s63, s72
	s_mov_b32 s73, -1
	s_or_b32 s61, s61, exec_lo
	s_and_saveexec_b32 s72, s63
	s_cbranch_execz .LBB10_230
.LBB10_234:                             ;   in Loop: Header=BB10_231 Depth=3
	s_sleep 1
	s_trap 2
	ds_load_b64 v[12:13], v0
	s_wait_dscnt 0x0
	s_and_not1_b32 s61, s61, exec_lo
	v_cmp_ge_u64_e32 vcc_lo, v[12:13], v[80:81]
	s_or_not1_b32 s73, vcc_lo, exec_lo
	s_branch .LBB10_230
.LBB10_235:                             ;   in Loop: Header=BB10_201 Depth=2
	s_and_not1_saveexec_b32 s13, s13
	s_cbranch_execz .LBB10_218
.LBB10_236:                             ;   in Loop: Header=BB10_201 Depth=2
	v_and_b32_e32 v2, 7, v60
	s_or_b32 s40, s40, exec_lo
	s_or_b32 exec_lo, exec_lo, s13
	s_and_saveexec_b32 s13, s40
	s_cbranch_execnz .LBB10_219
	s_branch .LBB10_220
.LBB10_237:                             ;   in Loop: Header=BB10_201 Depth=2
	s_or_b32 exec_lo, exec_lo, s41
	s_and_saveexec_b32 s41, s60
	s_delay_alu instid0(SALU_CYCLE_1)
	s_xor_b32 s41, exec_lo, s41
	s_cbranch_execz .LBB10_239
; %bb.238:                              ;   in Loop: Header=BB10_201 Depth=2
	ds_store_b32 v0, v121
	s_trap 2
.LBB10_239:                             ;   in Loop: Header=BB10_201 Depth=2
	s_or_b32 exec_lo, exec_lo, s40
	;;#ASMSTART
	s_wakeup
	;;#ASMEND
.LBB10_240:                             ;   in Loop: Header=BB10_201 Depth=2
	s_or_b32 exec_lo, exec_lo, s27
.LBB10_241:                             ;   in Loop: Header=BB10_201 Depth=2
	s_and_not1_saveexec_b32 s18, s18
	s_cbranch_execz .LBB10_243
; %bb.242:                              ;   in Loop: Header=BB10_201 Depth=2
	global_wb scope:SCOPE_DEV
	s_wait_storecnt 0x0
	s_wait_loadcnt_dscnt 0x0
	global_inv scope:SCOPE_DEV
	s_barrier_signal -1
	s_barrier_wait -1
.LBB10_243:                             ;   in Loop: Header=BB10_201 Depth=2
	s_or_b32 exec_lo, exec_lo, s18
.LBB10_244:                             ;   in Loop: Header=BB10_201 Depth=2
	s_delay_alu instid0(SALU_CYCLE_1) | instskip(SKIP_1) | instid1(SALU_CYCLE_1)
	s_or_b32 exec_lo, exec_lo, s13
                                        ; implicit-def: $vgpr2
	s_and_saveexec_b32 s13, s10
	s_xor_b32 s18, exec_lo, s13
	s_cbranch_execz .LBB10_248
; %bb.245:                              ;   in Loop: Header=BB10_201 Depth=2
	s_trap 2
	ds_load_b32 v2, v0
	v_cmp_lt_i32_e32 vcc_lo, 0, v8
	s_wait_dscnt 0x0
	v_readfirstlane_b32 s13, v2
	v_and_b32_e32 v2, 16, v30
	s_cmp_eq_u32 s13, 0
	s_delay_alu instid0(VALU_DEP_1) | instskip(SKIP_3) | instid1(SALU_CYCLE_1)
	v_cmp_ne_u32_e64 s13, 0, v2
	s_cselect_b32 s27, -1, 0
	v_and_b32_e32 v2, 16, v30
	s_and_b32 s27, vcc_lo, s27
	s_and_b32 s27, s13, s27
	s_delay_alu instid0(SALU_CYCLE_1)
	s_and_saveexec_b32 s13, s27
	s_cbranch_execz .LBB10_247
; %bb.246:                              ;   in Loop: Header=BB10_201 Depth=2
	v_mov_b32_e32 v2, 1
	global_wb scope:SCOPE_SYS
	s_wait_loadcnt 0x0
	s_wait_storecnt 0x0
	global_inv scope:SCOPE_SYS
.LBB10_247:                             ;   in Loop: Header=BB10_201 Depth=2
	s_or_b32 exec_lo, exec_lo, s13
	s_and_not1_saveexec_b32 s13, s18
	s_cbranch_execz .LBB10_267
	s_branch .LBB10_249
.LBB10_248:                             ;   in Loop: Header=BB10_201 Depth=2
	s_and_not1_saveexec_b32 s13, s18
	s_cbranch_execz .LBB10_267
.LBB10_249:                             ;   in Loop: Header=BB10_201 Depth=2
	s_and_saveexec_b32 s18, s3
	s_delay_alu instid0(SALU_CYCLE_1)
	s_xor_b32 s18, exec_lo, s18
	s_cbranch_execz .LBB10_264
; %bb.250:                              ;   in Loop: Header=BB10_201 Depth=2
	s_and_saveexec_b32 s27, s6
	s_cbranch_execz .LBB10_263
; %bb.251:                              ;   in Loop: Header=BB10_201 Depth=2
	s_mov_b32 s41, exec_lo
	s_mov_b32 s40, exec_lo
	v_mbcnt_lo_u32_b32 v2, s41, 0
	;;#ASMSTART
	s_waitcnt lgkmcnt(0) vmcnt(0)
	;;#ASMEND
	s_delay_alu instid0(VALU_DEP_1)
	v_cmpx_eq_u32_e32 0, v2
	s_cbranch_execz .LBB10_253
; %bb.252:                              ;   in Loop: Header=BB10_201 Depth=2
	s_bcnt1_i32_b32 s41, s41
	s_delay_alu instid0(SALU_CYCLE_1)
	v_mov_b32_e32 v2, s41
	s_wait_storecnt 0x0
	s_wait_loadcnt_dscnt 0x0
	ds_add_u64 v0, v[2:3]
	s_trap 2
.LBB10_253:                             ;   in Loop: Header=BB10_201 Depth=2
	s_or_b32 exec_lo, exec_lo, s40
	s_trap 2
	ds_load_b64 v[12:13], v0
	s_wait_dscnt 0x0
	v_add_nc_u64_e32 v[80:81], v[80:81], v[84:85]
	s_mov_b32 s40, exec_lo
	s_delay_alu instid0(VALU_DEP_1)
	v_cmpx_lt_u64_e64 v[12:13], v[80:81]
	s_cbranch_execz .LBB10_262
; %bb.254:                              ;   in Loop: Header=BB10_201 Depth=2
	s_mov_b32 s41, 0
	s_mov_b32 s62, 0
                                        ; implicit-def: $sgpr60
                                        ; implicit-def: $sgpr61
	s_branch .LBB10_256
.LBB10_255:                             ;   in Loop: Header=BB10_256 Depth=3
	s_or_b32 exec_lo, exec_lo, s72
	s_delay_alu instid0(SALU_CYCLE_1) | instskip(NEXT) | instid1(SALU_CYCLE_1)
	s_and_b32 s63, exec_lo, s73
	s_or_b32 s41, s63, s41
	s_and_not1_b32 s60, s60, exec_lo
	s_and_b32 s63, s61, exec_lo
	s_delay_alu instid0(SALU_CYCLE_1)
	s_or_b32 s60, s60, s63
	s_and_not1_b32 exec_lo, exec_lo, s41
	s_cbranch_execz .LBB10_260
.LBB10_256:                             ;   Parent Loop BB10_47 Depth=1
                                        ;     Parent Loop BB10_201 Depth=2
                                        ; =>    This Inner Loop Header: Depth=3
	s_add_co_i32 s62, s62, 1
	s_delay_alu instid0(SALU_CYCLE_1) | instskip(SKIP_1) | instid1(SALU_CYCLE_1)
	s_cmp_lg_u32 s62, 0x2710
	s_cselect_b32 s63, -1, 0
	s_and_b32 vcc_lo, exec_lo, s63
	s_cbranch_vccz .LBB10_258
; %bb.257:                              ;   in Loop: Header=BB10_256 Depth=3
	s_mov_b32 s73, -1
	s_or_b32 s61, s61, exec_lo
	s_and_saveexec_b32 s72, s63
	s_cbranch_execz .LBB10_255
	s_branch .LBB10_259
.LBB10_258:                             ;   in Loop: Header=BB10_256 Depth=3
	s_trap 2
	ds_load_b64 v[12:13], v0
	s_and_not1_b32 s63, s63, exec_lo
	s_mov_b32 s62, 0
	s_wait_storecnt 0x0
	s_wait_loadcnt_dscnt 0x0
	flat_load_b32 v2, v[12:13] scope:SCOPE_SYS
	s_wait_loadcnt_dscnt 0x0
	global_inv scope:SCOPE_SYS
	v_cmp_eq_u32_e32 vcc_lo, 0, v2
	s_and_b32 s72, vcc_lo, exec_lo
	s_delay_alu instid0(SALU_CYCLE_1)
	s_or_b32 s63, s63, s72
	s_mov_b32 s73, -1
	s_or_b32 s61, s61, exec_lo
	s_and_saveexec_b32 s72, s63
	s_cbranch_execz .LBB10_255
.LBB10_259:                             ;   in Loop: Header=BB10_256 Depth=3
	s_sleep 1
	s_trap 2
	ds_load_b64 v[12:13], v0
	s_wait_dscnt 0x0
	s_and_not1_b32 s61, s61, exec_lo
	v_cmp_ge_u64_e32 vcc_lo, v[12:13], v[80:81]
	s_or_not1_b32 s73, vcc_lo, exec_lo
	s_branch .LBB10_255
.LBB10_260:                             ;   in Loop: Header=BB10_201 Depth=2
	s_or_b32 exec_lo, exec_lo, s41
	s_and_saveexec_b32 s41, s60
	s_delay_alu instid0(SALU_CYCLE_1)
	s_xor_b32 s41, exec_lo, s41
	s_cbranch_execz .LBB10_262
; %bb.261:                              ;   in Loop: Header=BB10_201 Depth=2
	ds_store_b32 v0, v121
	s_trap 2
.LBB10_262:                             ;   in Loop: Header=BB10_201 Depth=2
	s_or_b32 exec_lo, exec_lo, s40
	;;#ASMSTART
	s_wakeup
	;;#ASMEND
.LBB10_263:                             ;   in Loop: Header=BB10_201 Depth=2
	s_or_b32 exec_lo, exec_lo, s27
.LBB10_264:                             ;   in Loop: Header=BB10_201 Depth=2
	s_and_not1_saveexec_b32 s18, s18
	s_cbranch_execz .LBB10_266
; %bb.265:                              ;   in Loop: Header=BB10_201 Depth=2
	;;#ASMSTART
	s_waitcnt lgkmcnt(0) vmcnt(0)
	;;#ASMEND
	s_barrier_signal -1
	s_barrier_wait -1
.LBB10_266:                             ;   in Loop: Header=BB10_201 Depth=2
	s_or_b32 exec_lo, exec_lo, s18
	v_and_b32_e32 v2, 16, v30
.LBB10_267:                             ;   in Loop: Header=BB10_201 Depth=2
	s_or_b32 exec_lo, exec_lo, s13
	s_delay_alu instid0(SALU_CYCLE_1) | instskip(NEXT) | instid1(VALU_DEP_1)
	s_mov_b32 s13, exec_lo
	v_cmpx_ne_u32_e32 0, v2
	s_cbranch_execz .LBB10_200
; %bb.268:                              ;   in Loop: Header=BB10_201 Depth=2
	s_and_saveexec_b32 s18, s5
	s_cbranch_execz .LBB10_199
; %bb.269:                              ;   in Loop: Header=BB10_201 Depth=2
	global_wb scope:SCOPE_SYS
	s_wait_storecnt 0x0
	s_wait_loadcnt_dscnt 0x0
	flat_store_b32 v[70:71], v121 scope:SCOPE_SYS
	s_branch .LBB10_199
.LBB10_270:                             ;   in Loop: Header=BB10_47 Depth=1
	s_or_b32 exec_lo, exec_lo, s15
.LBB10_271:                             ;   in Loop: Header=BB10_47 Depth=1
	s_delay_alu instid0(SALU_CYCLE_1) | instskip(NEXT) | instid1(SALU_CYCLE_1)
	s_or_b32 exec_lo, exec_lo, s14
	s_and_not1_b32 vcc_lo, exec_lo, s46
	s_cbranch_vccnz .LBB10_724
; %bb.272:                              ;   in Loop: Header=BB10_47 Depth=1
	s_mov_b32 s14, 2
	s_branch .LBB10_275
.LBB10_273:                             ;   in Loop: Header=BB10_275 Depth=2
	s_or_b32 exec_lo, exec_lo, s18
.LBB10_274:                             ;   in Loop: Header=BB10_275 Depth=2
	s_delay_alu instid0(SALU_CYCLE_1) | instskip(SKIP_1) | instid1(SALU_CYCLE_1)
	s_or_b32 exec_lo, exec_lo, s15
	s_add_co_i32 s14, s14, 1
	s_cmp_eq_u32 s14, s16
	s_cbranch_scc1 .LBB10_724
.LBB10_275:                             ;   Parent Loop BB10_47 Depth=1
                                        ; =>  This Loop Header: Depth=2
                                        ;       Child Loop BB10_278 Depth 3
                                        ;         Child Loop BB10_286 Depth 4
                                        ;         Child Loop BB10_314 Depth 4
                                        ;         Child Loop BB10_333 Depth 4
                                        ;         Child Loop BB10_360 Depth 4
                                        ;         Child Loop BB10_493 Depth 4
                                        ;         Child Loop BB10_533 Depth 4
                                        ;         Child Loop BB10_602 Depth 4
                                        ;         Child Loop BB10_614 Depth 4
                                        ;         Child Loop BB10_633 Depth 4
                                        ;       Child Loop BB10_652 Depth 3
                                        ;         Child Loop BB10_658 Depth 4
                                        ;         Child Loop BB10_686 Depth 4
	;; [unrolled: 1-line block ×3, first 2 shown]
	s_sub_co_i32 s13, s44, s14
	s_mov_b32 s18, 0
	s_cmp_ge_i32 s13, s16
	v_mov_b32_e32 v76, 0
	s_cselect_b32 s15, s16, 0
	s_delay_alu instid0(SALU_CYCLE_1) | instskip(NEXT) | instid1(SALU_CYCLE_1)
	s_sub_co_i32 s40, s13, s15
	s_ashr_i32 s41, s40, 31
	s_delay_alu instid0(SALU_CYCLE_1) | instskip(NEXT) | instid1(VALU_DEP_1)
	v_mul_u64_e32 v[78:79], s[40:41], v[58:59]
	v_sub_nc_u64_e32 v[8:9], v[62:63], v[78:79]
	s_delay_alu instid0(VALU_DEP_1) | instskip(NEXT) | instid1(VALU_DEP_1)
	v_min_i64 v[8:9], v[58:59], v[8:9]
	v_max_i32_e32 v108, 0, v8
	v_cmp_lt_i32_e32 vcc_lo, 0, v8
	s_delay_alu instid0(VALU_DEP_2) | instskip(SKIP_1) | instid1(VALU_DEP_1)
	v_add_nc_u32_e32 v2, 31, v108
	s_and_b32 s13, s57, vcc_lo
	v_lshrrev_b32_e32 v2, 1, v2
	s_delay_alu instid0(VALU_DEP_1) | instskip(NEXT) | instid1(VALU_DEP_1)
	v_and_b32_e32 v9, 0x3ffffff0, v2
	v_dual_mov_b32 v2, 0 :: v_dual_max_i32 v74, s45, v9
	s_and_saveexec_b32 s15, s13
	s_cbranch_execz .LBB10_649
; %bb.276:                              ;   in Loop: Header=BB10_275 Depth=2
	v_mov_b32_e32 v76, 0
	s_mov_b32 s40, 1
	s_mov_b32 s27, -1
	s_branch .LBB10_278
.LBB10_277:                             ;   in Loop: Header=BB10_278 Depth=3
	s_wait_xcnt 0x0
	s_or_b32 exec_lo, exec_lo, s13
	v_dual_add_nc_u32 v76, v74, v76 :: v_dual_mov_b32 v2, s40
	s_xor_b32 s13, s27, -1
	s_mov_b32 s27, 0
	s_mov_b32 s40, 2
	s_delay_alu instid0(VALU_DEP_1) | instskip(SKIP_1) | instid1(SALU_CYCLE_1)
	v_cmp_ge_i32_e32 vcc_lo, v76, v108
	s_or_b32 s13, s13, vcc_lo
	s_and_b32 s13, exec_lo, s13
	s_delay_alu instid0(SALU_CYCLE_1) | instskip(NEXT) | instid1(SALU_CYCLE_1)
	s_or_b32 s18, s13, s18
	s_and_not1_b32 exec_lo, exec_lo, s18
	s_cbranch_execz .LBB10_648
.LBB10_278:                             ;   Parent Loop BB10_47 Depth=1
                                        ;     Parent Loop BB10_275 Depth=2
                                        ; =>    This Loop Header: Depth=3
                                        ;         Child Loop BB10_286 Depth 4
                                        ;         Child Loop BB10_314 Depth 4
	;; [unrolled: 1-line block ×9, first 2 shown]
	s_and_saveexec_b32 s13, s0
	s_cbranch_execz .LBB10_280
; %bb.279:                              ;   in Loop: Header=BB10_278 Depth=3
	s_trap 2
	ds_load_b64 v[8:9], v0
	v_ashrrev_i32_e32 v77, 31, v76
	s_wait_dscnt 0x0
	v_lshl_add_u64 v[8:9], v[72:73], 1, v[8:9]
	s_delay_alu instid0(VALU_DEP_1) | instskip(NEXT) | instid1(VALU_DEP_1)
	v_lshl_add_u64 v[8:9], v[78:79], 1, v[8:9]
	v_lshl_add_u64 v[8:9], v[76:77], 1, v[8:9]
	ds_store_b64 v0, v[8:9]
	ds_store_b64 v0, v[86:87]
.LBB10_280:                             ;   in Loop: Header=BB10_278 Depth=3
	s_or_b32 exec_lo, exec_lo, s13
	v_dual_sub_nc_u32 v2, v108, v76 :: v_dual_bitop2_b32 v8, 12, v30 bitop3:0x40
	s_mov_b32 s41, exec_lo
	s_delay_alu instid0(VALU_DEP_1) | instskip(NEXT) | instid1(VALU_DEP_2)
	v_min_i32_e32 v74, v74, v2
	v_cmpx_ne_u32_e32 0, v8
	s_cbranch_execz .LBB10_306
; %bb.281:                              ;   in Loop: Header=BB10_278 Depth=3
	v_and_b32_e32 v2, 8, v30
	v_add_nc_u64_e32 v[8:9], 2, v[60:61]
	s_mov_b32 s60, exec_lo
	s_wait_loadcnt_dscnt 0x1
	s_delay_alu instid0(VALU_DEP_2) | instskip(NEXT) | instid1(VALU_DEP_1)
	v_add_nc_u64_e32 v[10:11], v[82:83], v[2:3]
	v_cmpx_lt_u64_e64 v[10:11], v[8:9]
	s_cbranch_execz .LBB10_293
; %bb.282:                              ;   in Loop: Header=BB10_278 Depth=3
	v_and_b32_e32 v10, 64, v30
	s_mov_b32 s61, 0
	s_mov_b32 s73, 0
                                        ; implicit-def: $sgpr62
                                        ; implicit-def: $sgpr63
                                        ; implicit-def: $sgpr72
	s_delay_alu instid0(VALU_DEP_1)
	v_cmp_eq_u32_e32 vcc_lo, 0, v10
	s_branch .LBB10_286
.LBB10_283:                             ;   in Loop: Header=BB10_286 Depth=4
	s_wait_loadcnt_dscnt 0x0
	v_add_nc_u64_e32 v[12:13], v[82:83], v[2:3]
	s_or_b32 s76, s76, exec_lo
	s_delay_alu instid0(VALU_DEP_1)
	v_cmp_ge_u64_e64 s13, v[12:13], v[8:9]
	s_or_not1_b32 s75, s13, exec_lo
.LBB10_284:                             ;   in Loop: Header=BB10_286 Depth=4
	s_or_b32 exec_lo, exec_lo, s78
	s_delay_alu instid0(SALU_CYCLE_1)
	s_and_not1_b32 s13, s72, exec_lo
	s_and_b32 s72, s76, exec_lo
	s_and_not1_b32 s63, s63, exec_lo
	s_and_b32 s75, s75, exec_lo
	s_or_b32 s72, s13, s72
	s_or_b32 s63, s63, s75
.LBB10_285:                             ;   in Loop: Header=BB10_286 Depth=4
	s_or_b32 exec_lo, exec_lo, s74
	s_delay_alu instid0(SALU_CYCLE_1) | instskip(NEXT) | instid1(SALU_CYCLE_1)
	s_and_b32 s13, exec_lo, s63
	s_or_b32 s61, s13, s61
	s_and_not1_b32 s13, s62, exec_lo
	s_and_b32 s62, s72, exec_lo
	s_delay_alu instid0(SALU_CYCLE_1)
	s_or_b32 s62, s13, s62
	s_and_not1_b32 exec_lo, exec_lo, s61
	s_cbranch_execz .LBB10_290
.LBB10_286:                             ;   Parent Loop BB10_47 Depth=1
                                        ;     Parent Loop BB10_275 Depth=2
                                        ;       Parent Loop BB10_278 Depth=3
                                        ; =>      This Inner Loop Header: Depth=4
	s_sleep 1
	s_wait_loadcnt_dscnt 0x0
	flat_load_b64 v[82:83], v[64:65] scope:SCOPE_SYS
	s_or_b32 s72, s72, exec_lo
	s_or_b32 s63, s63, exec_lo
                                        ; implicit-def: $vgpr10
	s_wait_xcnt 0x0
	s_and_saveexec_b32 s74, vcc_lo
	s_cbranch_execz .LBB10_285
; %bb.287:                              ;   in Loop: Header=BB10_286 Depth=4
	s_cmp_lt_i32 s73, 0x270f
	s_mov_b32 s75, -1
	s_cselect_b32 s77, -1, 0
	s_cmp_gt_i32 s73, 0x270e
	s_cbranch_scc0 .LBB10_289
; %bb.288:                              ;   in Loop: Header=BB10_286 Depth=4
	s_trap 2
	ds_load_b64 v[10:11], v0
	s_and_not1_b32 s73, s77, exec_lo
	s_mov_b32 s76, 0
	s_wait_storecnt 0x0
	s_wait_loadcnt_dscnt 0x0
	flat_load_b32 v10, v[10:11] scope:SCOPE_SYS
	s_wait_loadcnt_dscnt 0x0
	global_inv scope:SCOPE_SYS
	v_cmp_eq_u32_e64 s13, 0, v10
	s_and_b32 s13, s13, exec_lo
	s_delay_alu instid0(SALU_CYCLE_1)
	s_or_b32 s77, s73, s13
	s_mov_b32 s73, 0
	s_and_saveexec_b32 s78, s77
	s_cbranch_execz .LBB10_284
	s_branch .LBB10_283
.LBB10_289:                             ;   in Loop: Header=BB10_286 Depth=4
	s_add_co_i32 s73, s73, 1
	s_mov_b32 s76, -1
                                        ; implicit-def: $vgpr10
	s_and_saveexec_b32 s78, s77
	s_cbranch_execz .LBB10_284
	s_branch .LBB10_283
.LBB10_290:                             ;   in Loop: Header=BB10_278 Depth=3
	s_or_b32 exec_lo, exec_lo, s61
	s_xor_b32 s13, s62, -1
	s_delay_alu instid0(SALU_CYCLE_1) | instskip(NEXT) | instid1(SALU_CYCLE_1)
	s_and_saveexec_b32 s61, s13
	s_xor_b32 s13, exec_lo, s61
	s_cbranch_execz .LBB10_292
; %bb.291:                              ;   in Loop: Header=BB10_278 Depth=3
	v_or_b32_e32 v30, 64, v30
	s_wait_storecnt 0x0
	s_wait_loadcnt_dscnt 0x0
	ds_store_b32 v0, v10
	s_trap 2
.LBB10_292:                             ;   in Loop: Header=BB10_278 Depth=3
	s_or_b32 exec_lo, exec_lo, s13
.LBB10_293:                             ;   in Loop: Header=BB10_278 Depth=3
	s_delay_alu instid0(SALU_CYCLE_1) | instskip(SKIP_2) | instid1(VALU_DEP_1)
	s_or_b32 exec_lo, exec_lo, s60
	v_and_b32_e32 v10, 0x108, v30
	;;#ASMSTART
	s_wakeup
	;;#ASMEND
	v_cmp_ne_u32_e32 vcc_lo, 0x108, v10
                                        ; implicit-def: $vgpr10_vgpr11
	s_and_saveexec_b32 s13, vcc_lo
	s_delay_alu instid0(SALU_CYCLE_1)
	s_xor_b32 s13, exec_lo, s13
; %bb.294:                              ;   in Loop: Header=BB10_278 Depth=3
	v_dual_mov_b32 v11, v3 :: v_dual_bitop2_b32 v10, 7, v60 bitop3:0x40
                                        ; implicit-def: $vgpr60_vgpr61
; %bb.295:                              ;   in Loop: Header=BB10_278 Depth=3
	s_and_not1_saveexec_b32 s13, s13
	s_cbranch_execz .LBB10_297
; %bb.296:                              ;   in Loop: Header=BB10_278 Depth=3
	v_dual_ashrrev_i32 v75, 31, v74 :: v_dual_bitop2_b32 v10, 7, v60 bitop3:0x40
	v_mov_b32_e32 v11, v3
	s_delay_alu instid0(VALU_DEP_2) | instskip(NEXT) | instid1(VALU_DEP_3)
	v_mad_nc_u64_u32 v[12:13], v10, 24, v[6:7]
	v_lshlrev_b64_e32 v[14:15], 1, v[74:75]
	flat_store_b64 v[12:13], v[14:15] offset:8
.LBB10_297:                             ;   in Loop: Header=BB10_278 Depth=3
	s_wait_xcnt 0x0
	s_or_b32 exec_lo, exec_lo, s13
	v_and_b32_e32 v12, 0x100, v30
	s_mov_b32 s13, -1
	s_delay_alu instid0(VALU_DEP_1)
	v_cmp_ne_u32_e32 vcc_lo, 0, v12
                                        ; implicit-def: $vgpr12_vgpr13
	s_and_saveexec_b32 s60, vcc_lo
	s_cbranch_execz .LBB10_301
; %bb.298:                              ;   in Loop: Header=BB10_278 Depth=3
	v_mad_nc_u64_u32 v[14:15], v10, 24, v[6:7]
	s_delay_alu instid0(VALU_DEP_1)
	v_mad_u32 v15, v11, 24, v15
	flat_load_b32 v12, v[14:15]
	s_wait_loadcnt_dscnt 0x0
	v_cmp_eq_u32_e64 s13, 1, v12
	v_cmp_ne_u32_e32 vcc_lo, 1, v12
                                        ; implicit-def: $vgpr12_vgpr13
	s_wait_xcnt 0x0
	s_and_saveexec_b32 s61, s13
	s_cbranch_execz .LBB10_300
; %bb.299:                              ;   in Loop: Header=BB10_278 Depth=3
	flat_load_b32 v12, v[14:15] offset:4 scope:SCOPE_SYS
	s_wait_loadcnt_dscnt 0x0
	v_ashrrev_i32_e32 v13, 31, v12
	s_delay_alu instid0(VALU_DEP_1)
	v_lshrrev_b64 v[12:13], 1, v[12:13]
.LBB10_300:                             ;   in Loop: Header=BB10_278 Depth=3
	s_wait_xcnt 0x0
	s_or_b32 exec_lo, exec_lo, s61
	s_delay_alu instid0(SALU_CYCLE_1)
	s_or_not1_b32 s13, vcc_lo, exec_lo
.LBB10_301:                             ;   in Loop: Header=BB10_278 Depth=3
	s_or_b32 exec_lo, exec_lo, s60
	s_and_saveexec_b32 s60, s13
; %bb.302:                              ;   in Loop: Header=BB10_278 Depth=3
	v_mul_u64_e32 v[12:13], v[10:11], v[66:67]
; %bb.303:                              ;   in Loop: Header=BB10_278 Depth=3
	s_or_b32 exec_lo, exec_lo, s60
	v_cmp_eq_u32_e32 vcc_lo, 0, v2
	v_and_b32_e32 v14, 0x2000, v30
	s_delay_alu instid0(VALU_DEP_3) | instskip(SKIP_2) | instid1(VALU_DEP_1)
	v_lshl_add_u64 v[10:11], v[12:13], 1, v[68:69]
	s_mov_b32 s13, exec_lo
	v_cndmask_b32_e32 v2, 0xc8, v122, vcc_lo
	v_add_nc_u32_e32 v2, v0, v2
	ds_store_b64 v2, v[10:11] offset:584
	v_cmpx_ne_u32_e32 0, v14
	s_cbranch_execz .LBB10_305
; %bb.304:                              ;   in Loop: Header=BB10_278 Depth=3
	ds_load_b64 v[10:11], v0 offset:872
	s_wait_dscnt 0x0
	v_add_nc_u64_e32 v[10:11], 1, v[10:11]
	ds_store_b64 v0, v[10:11] offset:872
.LBB10_305:                             ;   in Loop: Header=BB10_278 Depth=3
	s_or_b32 exec_lo, exec_lo, s13
	v_mov_b64_e32 v[60:61], v[8:9]
.LBB10_306:                             ;   in Loop: Header=BB10_278 Depth=3
	s_or_b32 exec_lo, exec_lo, s41
	s_and_saveexec_b32 s13, s2
	s_cbranch_execz .LBB10_325
; %bb.307:                              ;   in Loop: Header=BB10_278 Depth=3
	s_and_saveexec_b32 s41, s3
	s_delay_alu instid0(SALU_CYCLE_1)
	s_xor_b32 s41, exec_lo, s41
	s_cbranch_execz .LBB10_322
; %bb.308:                              ;   in Loop: Header=BB10_278 Depth=3
	s_and_saveexec_b32 s60, s6
	s_cbranch_execz .LBB10_321
; %bb.309:                              ;   in Loop: Header=BB10_278 Depth=3
	s_mov_b32 s62, exec_lo
	s_mov_b32 s61, exec_lo
	v_mbcnt_lo_u32_b32 v2, s62, 0
	global_wb scope:SCOPE_DEV
	s_wait_storecnt 0x0
	s_wait_loadcnt_dscnt 0x0
	global_inv scope:SCOPE_DEV
	v_cmpx_eq_u32_e32 0, v2
	s_cbranch_execz .LBB10_311
; %bb.310:                              ;   in Loop: Header=BB10_278 Depth=3
	s_bcnt1_i32_b32 s62, s62
	s_delay_alu instid0(SALU_CYCLE_1)
	v_mov_b32_e32 v2, s62
	s_wait_loadcnt 0x0
	ds_add_u64 v0, v[2:3]
	s_trap 2
.LBB10_311:                             ;   in Loop: Header=BB10_278 Depth=3
	s_or_b32 exec_lo, exec_lo, s61
	s_trap 2
	ds_load_b64 v[8:9], v0
	s_wait_dscnt 0x0
	v_add_nc_u64_e32 v[80:81], v[80:81], v[84:85]
	s_mov_b32 s61, exec_lo
	s_delay_alu instid0(VALU_DEP_1)
	v_cmpx_lt_u64_e64 v[8:9], v[80:81]
	s_cbranch_execz .LBB10_320
; %bb.312:                              ;   in Loop: Header=BB10_278 Depth=3
	s_mov_b32 s62, 0
	s_mov_b32 s73, 0
                                        ; implicit-def: $sgpr63
                                        ; implicit-def: $sgpr72
	s_branch .LBB10_314
.LBB10_313:                             ;   in Loop: Header=BB10_314 Depth=4
	s_or_b32 exec_lo, exec_lo, s75
	s_delay_alu instid0(SALU_CYCLE_1) | instskip(NEXT) | instid1(SALU_CYCLE_1)
	s_and_b32 s74, exec_lo, s76
	s_or_b32 s62, s74, s62
	s_and_not1_b32 s63, s63, exec_lo
	s_and_b32 s74, s72, exec_lo
	s_delay_alu instid0(SALU_CYCLE_1)
	s_or_b32 s63, s63, s74
	s_and_not1_b32 exec_lo, exec_lo, s62
	s_cbranch_execz .LBB10_318
.LBB10_314:                             ;   Parent Loop BB10_47 Depth=1
                                        ;     Parent Loop BB10_275 Depth=2
                                        ;       Parent Loop BB10_278 Depth=3
                                        ; =>      This Inner Loop Header: Depth=4
	s_add_co_i32 s73, s73, 1
	s_delay_alu instid0(SALU_CYCLE_1) | instskip(SKIP_1) | instid1(SALU_CYCLE_1)
	s_cmp_lg_u32 s73, 0x2710
	s_cselect_b32 s74, -1, 0
	s_and_b32 vcc_lo, exec_lo, s74
	s_cbranch_vccz .LBB10_316
; %bb.315:                              ;   in Loop: Header=BB10_314 Depth=4
	s_mov_b32 s76, -1
	s_or_b32 s72, s72, exec_lo
	s_and_saveexec_b32 s75, s74
	s_cbranch_execz .LBB10_313
	s_branch .LBB10_317
.LBB10_316:                             ;   in Loop: Header=BB10_314 Depth=4
	s_trap 2
	ds_load_b64 v[8:9], v0
	s_and_not1_b32 s74, s74, exec_lo
	s_mov_b32 s73, 0
	s_wait_loadcnt_dscnt 0x0
	flat_load_b32 v2, v[8:9] scope:SCOPE_SYS
	s_wait_loadcnt_dscnt 0x0
	global_inv scope:SCOPE_SYS
	v_cmp_eq_u32_e32 vcc_lo, 0, v2
	s_and_b32 s75, vcc_lo, exec_lo
	s_delay_alu instid0(SALU_CYCLE_1)
	s_or_b32 s74, s74, s75
	s_mov_b32 s76, -1
	s_or_b32 s72, s72, exec_lo
	s_and_saveexec_b32 s75, s74
	s_cbranch_execz .LBB10_313
.LBB10_317:                             ;   in Loop: Header=BB10_314 Depth=4
	s_sleep 1
	s_trap 2
	ds_load_b64 v[8:9], v0
	s_wait_dscnt 0x0
	s_and_not1_b32 s72, s72, exec_lo
	v_cmp_ge_u64_e32 vcc_lo, v[8:9], v[80:81]
	s_or_not1_b32 s76, vcc_lo, exec_lo
	s_branch .LBB10_313
.LBB10_318:                             ;   in Loop: Header=BB10_278 Depth=3
	s_or_b32 exec_lo, exec_lo, s62
	s_and_saveexec_b32 s62, s63
	s_delay_alu instid0(SALU_CYCLE_1)
	s_xor_b32 s62, exec_lo, s62
	s_cbranch_execz .LBB10_320
; %bb.319:                              ;   in Loop: Header=BB10_278 Depth=3
	ds_store_b32 v0, v121
	s_trap 2
.LBB10_320:                             ;   in Loop: Header=BB10_278 Depth=3
	s_or_b32 exec_lo, exec_lo, s61
	;;#ASMSTART
	s_wakeup
	;;#ASMEND
.LBB10_321:                             ;   in Loop: Header=BB10_278 Depth=3
	s_or_b32 exec_lo, exec_lo, s60
.LBB10_322:                             ;   in Loop: Header=BB10_278 Depth=3
	s_and_not1_saveexec_b32 s41, s41
	s_cbranch_execz .LBB10_324
; %bb.323:                              ;   in Loop: Header=BB10_278 Depth=3
	global_wb scope:SCOPE_DEV
	s_wait_storecnt 0x0
	s_wait_loadcnt_dscnt 0x0
	global_inv scope:SCOPE_DEV
	s_barrier_signal -1
	s_barrier_wait -1
.LBB10_324:                             ;   in Loop: Header=BB10_278 Depth=3
	s_or_b32 exec_lo, exec_lo, s41
.LBB10_325:                             ;   in Loop: Header=BB10_278 Depth=3
	s_delay_alu instid0(SALU_CYCLE_1) | instskip(SKIP_4) | instid1(VALU_DEP_1)
	s_or_b32 exec_lo, exec_lo, s13
	s_trap 2
	ds_load_b32 v8, v0
	v_and_b32_e32 v2, 0x4000, v30
	s_xor_b32 s13, s1, -1
	v_cmp_ne_u32_e32 vcc_lo, 0, v2
	s_and_b32 s41, s13, vcc_lo
	s_delay_alu instid0(SALU_CYCLE_1)
	s_and_saveexec_b32 s13, s41
	s_cbranch_execz .LBB10_344
; %bb.326:                              ;   in Loop: Header=BB10_278 Depth=3
	s_and_saveexec_b32 s41, s3
	s_delay_alu instid0(SALU_CYCLE_1)
	s_xor_b32 s41, exec_lo, s41
	s_cbranch_execz .LBB10_341
; %bb.327:                              ;   in Loop: Header=BB10_278 Depth=3
	s_and_saveexec_b32 s60, s6
	s_cbranch_execz .LBB10_340
; %bb.328:                              ;   in Loop: Header=BB10_278 Depth=3
	s_mov_b32 s62, exec_lo
	s_mov_b32 s61, exec_lo
	v_mbcnt_lo_u32_b32 v2, s62, 0
	global_wb scope:SCOPE_DEV
	s_wait_storecnt 0x0
	s_wait_loadcnt_dscnt 0x0
	global_inv scope:SCOPE_DEV
	v_cmpx_eq_u32_e32 0, v2
	s_cbranch_execz .LBB10_330
; %bb.329:                              ;   in Loop: Header=BB10_278 Depth=3
	s_bcnt1_i32_b32 s62, s62
	s_delay_alu instid0(SALU_CYCLE_1)
	v_mov_b32_e32 v2, s62
	s_wait_loadcnt 0x0
	ds_add_u64 v0, v[2:3]
	s_trap 2
.LBB10_330:                             ;   in Loop: Header=BB10_278 Depth=3
	s_or_b32 exec_lo, exec_lo, s61
	s_trap 2
	ds_load_b64 v[10:11], v0
	s_wait_dscnt 0x0
	v_add_nc_u64_e32 v[80:81], v[80:81], v[84:85]
	s_mov_b32 s61, exec_lo
	s_delay_alu instid0(VALU_DEP_1)
	v_cmpx_lt_u64_e64 v[10:11], v[80:81]
	s_cbranch_execz .LBB10_339
; %bb.331:                              ;   in Loop: Header=BB10_278 Depth=3
	s_mov_b32 s62, 0
	s_mov_b32 s73, 0
                                        ; implicit-def: $sgpr63
                                        ; implicit-def: $sgpr72
	s_branch .LBB10_333
.LBB10_332:                             ;   in Loop: Header=BB10_333 Depth=4
	s_or_b32 exec_lo, exec_lo, s75
	s_delay_alu instid0(SALU_CYCLE_1) | instskip(NEXT) | instid1(SALU_CYCLE_1)
	s_and_b32 s74, exec_lo, s76
	s_or_b32 s62, s74, s62
	s_and_not1_b32 s63, s63, exec_lo
	s_and_b32 s74, s72, exec_lo
	s_delay_alu instid0(SALU_CYCLE_1)
	s_or_b32 s63, s63, s74
	s_and_not1_b32 exec_lo, exec_lo, s62
	s_cbranch_execz .LBB10_337
.LBB10_333:                             ;   Parent Loop BB10_47 Depth=1
                                        ;     Parent Loop BB10_275 Depth=2
                                        ;       Parent Loop BB10_278 Depth=3
                                        ; =>      This Inner Loop Header: Depth=4
	s_add_co_i32 s73, s73, 1
	s_delay_alu instid0(SALU_CYCLE_1) | instskip(SKIP_1) | instid1(SALU_CYCLE_1)
	s_cmp_lg_u32 s73, 0x2710
	s_cselect_b32 s74, -1, 0
	s_and_b32 vcc_lo, exec_lo, s74
	s_cbranch_vccz .LBB10_335
; %bb.334:                              ;   in Loop: Header=BB10_333 Depth=4
	s_mov_b32 s76, -1
	s_or_b32 s72, s72, exec_lo
	s_and_saveexec_b32 s75, s74
	s_cbranch_execz .LBB10_332
	s_branch .LBB10_336
.LBB10_335:                             ;   in Loop: Header=BB10_333 Depth=4
	s_trap 2
	ds_load_b64 v[10:11], v0
	s_and_not1_b32 s74, s74, exec_lo
	s_mov_b32 s73, 0
	s_wait_loadcnt_dscnt 0x0
	flat_load_b32 v2, v[10:11] scope:SCOPE_SYS
	s_wait_loadcnt_dscnt 0x0
	global_inv scope:SCOPE_SYS
	v_cmp_eq_u32_e32 vcc_lo, 0, v2
	s_and_b32 s75, vcc_lo, exec_lo
	s_delay_alu instid0(SALU_CYCLE_1)
	s_or_b32 s74, s74, s75
	s_mov_b32 s76, -1
	s_or_b32 s72, s72, exec_lo
	s_and_saveexec_b32 s75, s74
	s_cbranch_execz .LBB10_332
.LBB10_336:                             ;   in Loop: Header=BB10_333 Depth=4
	s_sleep 1
	s_trap 2
	ds_load_b64 v[10:11], v0
	s_wait_dscnt 0x0
	s_and_not1_b32 s72, s72, exec_lo
	v_cmp_ge_u64_e32 vcc_lo, v[10:11], v[80:81]
	s_or_not1_b32 s76, vcc_lo, exec_lo
	s_branch .LBB10_332
.LBB10_337:                             ;   in Loop: Header=BB10_278 Depth=3
	s_or_b32 exec_lo, exec_lo, s62
	s_and_saveexec_b32 s62, s63
	s_delay_alu instid0(SALU_CYCLE_1)
	s_xor_b32 s62, exec_lo, s62
	s_cbranch_execz .LBB10_339
; %bb.338:                              ;   in Loop: Header=BB10_278 Depth=3
	ds_store_b32 v0, v121
	s_trap 2
.LBB10_339:                             ;   in Loop: Header=BB10_278 Depth=3
	s_or_b32 exec_lo, exec_lo, s61
	;;#ASMSTART
	s_wakeup
	;;#ASMEND
.LBB10_340:                             ;   in Loop: Header=BB10_278 Depth=3
	s_or_b32 exec_lo, exec_lo, s60
.LBB10_341:                             ;   in Loop: Header=BB10_278 Depth=3
	s_and_not1_saveexec_b32 s41, s41
	s_cbranch_execz .LBB10_343
; %bb.342:                              ;   in Loop: Header=BB10_278 Depth=3
	global_wb scope:SCOPE_DEV
	s_wait_storecnt 0x0
	s_wait_loadcnt_dscnt 0x0
	global_inv scope:SCOPE_DEV
	s_barrier_signal -1
	s_barrier_wait -1
.LBB10_343:                             ;   in Loop: Header=BB10_278 Depth=3
	s_or_b32 exec_lo, exec_lo, s41
.LBB10_344:                             ;   in Loop: Header=BB10_278 Depth=3
	s_delay_alu instid0(SALU_CYCLE_1)
	s_or_b32 exec_lo, exec_lo, s13
	s_trap 2
	ds_load_b64 v[88:89], v0
	s_wait_dscnt 0x0
	v_cmp_eq_u64_e32 vcc_lo, 0, v[88:89]
	s_cbranch_vccnz .LBB10_352
; %bb.345:                              ;   in Loop: Header=BB10_278 Depth=3
	s_trap 2
	ds_load_b64 v[90:91], v0
	s_wait_dscnt 0x0
	v_cmp_eq_u64_e32 vcc_lo, 0, v[90:91]
	s_cbranch_vccnz .LBB10_352
; %bb.346:                              ;   in Loop: Header=BB10_278 Depth=3
	s_mov_b32 s13, -1
	s_and_saveexec_b32 s41, s12
	s_cbranch_execz .LBB10_348
; %bb.347:                              ;   in Loop: Header=BB10_278 Depth=3
	ds_load_b32 v2, v0 offset:720
	s_wait_dscnt 0x0
	v_and_b32_e32 v2, 15, v2
	s_delay_alu instid0(VALU_DEP_1)
	v_cmp_eq_u32_e32 vcc_lo, 0, v2
	s_or_not1_b32 s13, vcc_lo, exec_lo
.LBB10_348:                             ;   in Loop: Header=BB10_278 Depth=3
	s_or_b32 exec_lo, exec_lo, s41
	s_and_saveexec_b32 s41, s11
	s_cbranch_execz .LBB10_350
; %bb.349:                              ;   in Loop: Header=BB10_278 Depth=3
	ds_load_b32 v2, v0 offset:784
	s_wait_dscnt 0x0
	v_and_b32_e32 v2, 15, v2
	s_delay_alu instid0(VALU_DEP_1) | instskip(SKIP_3) | instid1(SALU_CYCLE_1)
	v_cmp_eq_u32_e32 vcc_lo, 0, v2
	s_and_b32 s60, s13, vcc_lo
	s_and_not1_b32 s13, s13, exec_lo
	s_and_b32 s60, s60, exec_lo
	s_or_b32 s13, s13, s60
.LBB10_350:                             ;   in Loop: Header=BB10_278 Depth=3
	s_or_b32 exec_lo, exec_lo, s41
	v_cmp_eq_u32_e32 vcc_lo, 0, v8
	s_xor_b32 s13, s13, -1
	s_mov_b32 s60, -1
	v_cndmask_b32_e64 v9, 0, 1, s13
	v_dual_mov_b32 v14, 0 :: v_dual_cndmask_b32 v2, 0, v74, vcc_lo
	s_delay_alu instid0(VALU_DEP_2) | instskip(NEXT) | instid1(VALU_DEP_2)
	v_cmp_ne_u32_e32 vcc_lo, 0, v9
	v_lshlrev_b32_e32 v75, 1, v2
	s_cbranch_vccz .LBB10_357
; %bb.351:                              ;   in Loop: Header=BB10_278 Depth=3
	v_dual_mov_b32 v15, v0 :: v_dual_mov_b32 v8, v124
	s_and_saveexec_b32 s13, s60
	s_cbranch_execnz .LBB10_530
	s_branch .LBB10_606
.LBB10_352:                             ;   in Loop: Header=BB10_278 Depth=3
	s_mov_b32 s13, 0
	s_and_saveexec_b32 s41, s2
	s_cbranch_execnz .LBB10_607
.LBB10_353:                             ;   in Loop: Header=BB10_278 Depth=3
	s_or_b32 exec_lo, exec_lo, s41
                                        ; implicit-def: $vgpr2
	s_and_saveexec_b32 s41, s10
	s_delay_alu instid0(SALU_CYCLE_1)
	s_xor_b32 s41, exec_lo, s41
	s_cbranch_execz .LBB10_625
.LBB10_354:                             ;   in Loop: Header=BB10_278 Depth=3
	v_and_b32_e32 v2, 16, v30
	s_delay_alu instid0(VALU_DEP_1) | instskip(SKIP_2) | instid1(SALU_CYCLE_1)
	v_cmp_ne_u32_e32 vcc_lo, 0, v2
	v_and_b32_e32 v2, 16, v30
	s_and_b32 s60, vcc_lo, s13
	s_and_saveexec_b32 s13, s60
	s_cbranch_execz .LBB10_356
; %bb.355:                              ;   in Loop: Header=BB10_278 Depth=3
	v_mov_b32_e32 v2, 1
	global_wb scope:SCOPE_SYS
	s_wait_storecnt 0x0
	s_wait_loadcnt_dscnt 0x0
	global_inv scope:SCOPE_SYS
.LBB10_356:                             ;   in Loop: Header=BB10_278 Depth=3
	s_or_b32 exec_lo, exec_lo, s13
	s_and_not1_saveexec_b32 s13, s41
	s_cbranch_execz .LBB10_644
	s_branch .LBB10_626
.LBB10_357:                             ;   in Loop: Header=BB10_278 Depth=3
	s_delay_alu instid0(VALU_DEP_1) | instskip(SKIP_1) | instid1(VALU_DEP_1)
	v_ashrrev_i32_e32 v8, 31, v75
	s_mov_b32 s13, exec_lo
	v_lshrrev_b32_e32 v8, 21, v8
	s_delay_alu instid0(VALU_DEP_1) | instskip(NEXT) | instid1(VALU_DEP_1)
	v_add_nc_u32_e32 v8, v75, v8
	v_ashrrev_i32_e32 v52, 11, v8
	s_delay_alu instid0(VALU_DEP_1) | instskip(NEXT) | instid1(VALU_DEP_1)
	v_sub_nc_u32_e32 v77, v52, v124
	v_cmpx_lt_i32_e32 0, v77
	s_cbranch_execz .LBB10_489
; %bb.358:                              ;   in Loop: Header=BB10_278 Depth=3
	s_trap 2
	ds_load_b64 v[8:9], v0
	v_add_nc_u64_e32 v[92:93], v[88:89], v[56:57]
	v_add_nc_u64_e32 v[104:105], v[90:91], v[56:57]
	s_mov_b32 s41, 0
	s_wait_dscnt 0x0
	v_add_nc_u64_e32 v[94:95], v[8:9], v[56:57]
	s_branch .LBB10_360
.LBB10_359:                             ;   in Loop: Header=BB10_360 Depth=4
	s_or_b32 exec_lo, exec_lo, s60
	v_dual_lshrrev_b32 v8, 16, v24 :: v_dual_lshrrev_b32 v9, 16, v35
	v_dual_lshrrev_b32 v15, 16, v25 :: v_dual_lshrrev_b32 v22, 16, v22
	v_lshrrev_b32_e32 v24, 16, v36
	s_delay_alu instid0(VALU_DEP_3) | instskip(SKIP_1) | instid1(VALU_DEP_4)
	v_and_or_b32 v97, 0xffff0000, v21, v8
	v_lshrrev_b32_e32 v8, 16, v51
	v_and_or_b32 v98, 0xffff0000, v18, v15
	v_and_or_b32 v96, 0xffff0000, v20, v9
	v_lshrrev_b32_e32 v15, 16, v106
	v_lshrrev_b32_e32 v9, 16, v34
	v_and_or_b32 v18, 0xffff0000, v32, v8
	v_lshrrev_b32_e32 v8, 16, v37
	v_and_or_b32 v99, 0xffff0000, v19, v22
	v_dual_lshrrev_b32 v22, 16, v53 :: v_dual_lshrrev_b32 v32, 16, v107
	v_and_or_b32 v21, 0xffff0000, v27, v9
	s_delay_alu instid0(VALU_DEP_4)
	v_and_or_b32 v20, 0xffff0000, v26, v8
	v_lshrrev_b32_e32 v8, 16, v50
	v_and_or_b32 v25, 0xffff0000, v49, v15
	v_dual_lshrrev_b32 v9, 16, v16 :: v_dual_lshrrev_b32 v15, 16, v23
	v_dual_lshrrev_b32 v16, 16, v17 :: v_dual_lshrrev_b32 v14, 16, v14
	v_and_or_b32 v19, 0xffff0000, v33, v24
	v_and_or_b32 v24, 0xffff0000, v48, v22
	;; [unrolled: 1-line block ×4, first 2 shown]
	v_sub_nc_u32_e32 v77, v77, v84
	v_and_or_b32 v9, 0xffff0000, v13, v9
	v_and_or_b32 v8, 0xffff0000, v12, v15
	;; [unrolled: 1-line block ×4, first 2 shown]
	s_clause 0x3
	global_store_b128 v[104:105], v[24:27], off th:TH_STORE_NT
	global_store_b128 v[104:105], v[18:21], off offset:512 th:TH_STORE_NT
	global_store_b128 v[104:105], v[96:99], off offset:1024 th:TH_STORE_NT
	;; [unrolled: 1-line block ×3, first 2 shown]
	v_add_nc_u64_e32 v[92:93], v[92:93], v[116:117]
	v_add_nc_u64_e32 v[94:95], v[94:95], v[116:117]
	v_cmp_gt_i32_e32 vcc_lo, 1, v77
	s_wait_xcnt 0x0
	v_add_nc_u64_e32 v[104:105], v[104:105], v[116:117]
	s_or_b32 s41, vcc_lo, s41
	s_delay_alu instid0(SALU_CYCLE_1)
	s_and_not1_b32 exec_lo, exec_lo, s41
	s_cbranch_execz .LBB10_488
.LBB10_360:                             ;   Parent Loop BB10_47 Depth=1
                                        ;     Parent Loop BB10_275 Depth=2
                                        ;       Parent Loop BB10_278 Depth=3
                                        ; =>      This Inner Loop Header: Depth=4
	global_load_b128 v[36:39], v[92:93], off th:TH_LOAD_NT
	global_load_b128 v[48:51], v[94:95], off th:TH_LOAD_NT
	s_clause 0x2
	global_load_b128 v[24:27], v[92:93], off offset:512 th:TH_LOAD_NT
	global_load_b128 v[16:19], v[92:93], off offset:1024 th:TH_LOAD_NT
	;; [unrolled: 1-line block ×3, first 2 shown]
	s_clause 0x2
	global_load_b128 v[32:35], v[94:95], off offset:512 th:TH_LOAD_NT
	global_load_b128 v[20:23], v[94:95], off offset:1024 th:TH_LOAD_NT
	;; [unrolled: 1-line block ×3, first 2 shown]
	s_wait_loadcnt 0x7
	v_lshlrev_b32_e32 v53, 16, v36
	s_wait_loadcnt 0x6
	v_lshlrev_b32_e32 v96, 16, v48
	s_delay_alu instid0(VALU_DEP_1) | instskip(NEXT) | instid1(VALU_DEP_1)
	v_mul_f32_e32 v106, v53, v96
	v_and_b32_e32 v53, 0x7f800000, v106
	s_delay_alu instid0(VALU_DEP_1) | instskip(SKIP_2) | instid1(SALU_CYCLE_1)
	v_cmp_ne_u32_e32 vcc_lo, 0x7f800000, v53
                                        ; implicit-def: $vgpr53
	s_wait_xcnt 0x0
	s_and_saveexec_b32 s60, vcc_lo
	s_xor_b32 s60, exec_lo, s60
; %bb.361:                              ;   in Loop: Header=BB10_360 Depth=4
	v_bfe_u32 v53, v106, 16, 1
	s_delay_alu instid0(VALU_DEP_1)
	v_add3_u32 v53, v106, v53, 0x7fff
                                        ; implicit-def: $vgpr106
; %bb.362:                              ;   in Loop: Header=BB10_360 Depth=4
	s_and_not1_saveexec_b32 s60, s60
; %bb.363:                              ;   in Loop: Header=BB10_360 Depth=4
	v_and_b32_e32 v53, 0xffff, v106
	v_or_b32_e32 v96, 0x10000, v106
	s_delay_alu instid0(VALU_DEP_2) | instskip(NEXT) | instid1(VALU_DEP_2)
	v_cmp_eq_u32_e32 vcc_lo, 0, v53
	v_cndmask_b32_e32 v53, v96, v106, vcc_lo
; %bb.364:                              ;   in Loop: Header=BB10_360 Depth=4
	s_or_b32 exec_lo, exec_lo, s60
	v_and_b32_e32 v97, 0xffff0000, v48
	v_and_b32_e32 v96, 0xffff0000, v36
	s_mov_b32 s60, exec_lo
                                        ; implicit-def: $vgpr48
	s_delay_alu instid0(VALU_DEP_2) | instskip(NEXT) | instid1(VALU_DEP_1)
	v_mov_b32_e32 v36, v97
	v_pk_mul_f32 v[106:107], v[36:37], v[96:97]
	s_delay_alu instid0(VALU_DEP_1) | instskip(NEXT) | instid1(VALU_DEP_1)
	v_and_b32_e32 v36, 0x7f800000, v106
	v_cmpx_ne_u32_e32 0x7f800000, v36
	s_xor_b32 s60, exec_lo, s60
; %bb.365:                              ;   in Loop: Header=BB10_360 Depth=4
	v_bfe_u32 v36, v106, 16, 1
	s_delay_alu instid0(VALU_DEP_1)
	v_add3_u32 v48, v106, v36, 0x7fff
                                        ; implicit-def: $vgpr106_vgpr107
; %bb.366:                              ;   in Loop: Header=BB10_360 Depth=4
	s_and_not1_saveexec_b32 s60, s60
; %bb.367:                              ;   in Loop: Header=BB10_360 Depth=4
	v_and_b32_e32 v36, 0xffff, v106
	v_or_b32_e32 v48, 0x10000, v106
	s_delay_alu instid0(VALU_DEP_2) | instskip(NEXT) | instid1(VALU_DEP_2)
	v_cmp_eq_u32_e32 vcc_lo, 0, v36
	v_cndmask_b32_e32 v48, v48, v106, vcc_lo
; %bb.368:                              ;   in Loop: Header=BB10_360 Depth=4
	s_or_b32 exec_lo, exec_lo, s60
	v_lshlrev_b32_e32 v36, 16, v37
	v_lshlrev_b32_e32 v96, 16, v49
	s_mov_b32 s60, exec_lo
                                        ; implicit-def: $vgpr106
	s_delay_alu instid0(VALU_DEP_1) | instskip(NEXT) | instid1(VALU_DEP_1)
	v_mul_f32_e32 v36, v96, v36
	v_and_b32_e32 v96, 0x7f800000, v36
	s_delay_alu instid0(VALU_DEP_1)
	v_cmpx_ne_u32_e32 0x7f800000, v96
	s_xor_b32 s60, exec_lo, s60
; %bb.369:                              ;   in Loop: Header=BB10_360 Depth=4
	v_bfe_u32 v96, v36, 16, 1
	s_delay_alu instid0(VALU_DEP_1)
	v_add3_u32 v106, v36, v96, 0x7fff
                                        ; implicit-def: $vgpr36
; %bb.370:                              ;   in Loop: Header=BB10_360 Depth=4
	s_and_not1_saveexec_b32 s60, s60
; %bb.371:                              ;   in Loop: Header=BB10_360 Depth=4
	v_and_b32_e32 v96, 0xffff, v36
	v_or_b32_e32 v97, 0x10000, v36
	s_delay_alu instid0(VALU_DEP_2) | instskip(NEXT) | instid1(VALU_DEP_2)
	v_cmp_eq_u32_e32 vcc_lo, 0, v96
	v_cndmask_b32_e32 v106, v97, v36, vcc_lo
; %bb.372:                              ;   in Loop: Header=BB10_360 Depth=4
	s_or_b32 exec_lo, exec_lo, s60
	v_and_b32_e32 v97, 0xffff0000, v49
	v_and_b32_e32 v96, 0xffff0000, v37
	s_mov_b32 s60, exec_lo
                                        ; implicit-def: $vgpr49
	s_delay_alu instid0(VALU_DEP_2) | instskip(NEXT) | instid1(VALU_DEP_1)
	v_mov_b32_e32 v36, v97
	v_pk_mul_f32 v[36:37], v[36:37], v[96:97]
	s_delay_alu instid0(VALU_DEP_1) | instskip(NEXT) | instid1(VALU_DEP_1)
	v_and_b32_e32 v37, 0x7f800000, v36
	v_cmpx_ne_u32_e32 0x7f800000, v37
	s_xor_b32 s60, exec_lo, s60
; %bb.373:                              ;   in Loop: Header=BB10_360 Depth=4
	v_bfe_u32 v37, v36, 16, 1
	s_delay_alu instid0(VALU_DEP_1)
	v_add3_u32 v49, v36, v37, 0x7fff
                                        ; implicit-def: $vgpr36_vgpr37
; %bb.374:                              ;   in Loop: Header=BB10_360 Depth=4
	s_and_not1_saveexec_b32 s60, s60
; %bb.375:                              ;   in Loop: Header=BB10_360 Depth=4
	v_and_b32_e32 v37, 0xffff, v36
	v_or_b32_e32 v49, 0x10000, v36
	s_delay_alu instid0(VALU_DEP_2) | instskip(NEXT) | instid1(VALU_DEP_2)
	v_cmp_eq_u32_e32 vcc_lo, 0, v37
	v_cndmask_b32_e32 v49, v49, v36, vcc_lo
; %bb.376:                              ;   in Loop: Header=BB10_360 Depth=4
	s_or_b32 exec_lo, exec_lo, s60
	v_lshlrev_b32_e32 v36, 16, v38
	v_lshlrev_b32_e32 v37, 16, v50
	s_mov_b32 s60, exec_lo
                                        ; implicit-def: $vgpr107
	s_delay_alu instid0(VALU_DEP_1) | instskip(NEXT) | instid1(VALU_DEP_1)
	v_mul_f32_e32 v36, v37, v36
	v_and_b32_e32 v37, 0x7f800000, v36
	s_delay_alu instid0(VALU_DEP_1)
	v_cmpx_ne_u32_e32 0x7f800000, v37
	s_xor_b32 s60, exec_lo, s60
; %bb.377:                              ;   in Loop: Header=BB10_360 Depth=4
	v_bfe_u32 v37, v36, 16, 1
	s_delay_alu instid0(VALU_DEP_1)
	v_add3_u32 v107, v36, v37, 0x7fff
                                        ; implicit-def: $vgpr36
; %bb.378:                              ;   in Loop: Header=BB10_360 Depth=4
	s_and_not1_saveexec_b32 s60, s60
; %bb.379:                              ;   in Loop: Header=BB10_360 Depth=4
	v_and_b32_e32 v37, 0xffff, v36
	v_or_b32_e32 v96, 0x10000, v36
	s_delay_alu instid0(VALU_DEP_2) | instskip(NEXT) | instid1(VALU_DEP_2)
	v_cmp_eq_u32_e32 vcc_lo, 0, v37
	v_cndmask_b32_e32 v107, v96, v36, vcc_lo
; %bb.380:                              ;   in Loop: Header=BB10_360 Depth=4
	s_or_b32 exec_lo, exec_lo, s60
	v_and_b32_e32 v37, 0xffff0000, v50
	v_and_b32_e32 v36, 0xffff0000, v38
	s_mov_b32 s60, exec_lo
	s_delay_alu instid0(VALU_DEP_2) | instskip(NEXT) | instid1(VALU_DEP_1)
	v_mov_b32_e32 v38, v37
	v_pk_mul_f32 v[36:37], v[38:39], v[36:37]
                                        ; implicit-def: $vgpr38
	s_delay_alu instid0(VALU_DEP_1) | instskip(NEXT) | instid1(VALU_DEP_1)
	v_and_b32_e32 v37, 0x7f800000, v36
	v_cmpx_ne_u32_e32 0x7f800000, v37
	s_xor_b32 s60, exec_lo, s60
; %bb.381:                              ;   in Loop: Header=BB10_360 Depth=4
	v_bfe_u32 v37, v36, 16, 1
	s_delay_alu instid0(VALU_DEP_1)
	v_add3_u32 v38, v36, v37, 0x7fff
                                        ; implicit-def: $vgpr36_vgpr37
; %bb.382:                              ;   in Loop: Header=BB10_360 Depth=4
	s_and_not1_saveexec_b32 s60, s60
; %bb.383:                              ;   in Loop: Header=BB10_360 Depth=4
	v_and_b32_e32 v37, 0xffff, v36
	v_or_b32_e32 v38, 0x10000, v36
	s_delay_alu instid0(VALU_DEP_2) | instskip(NEXT) | instid1(VALU_DEP_2)
	v_cmp_eq_u32_e32 vcc_lo, 0, v37
	v_cndmask_b32_e32 v38, v38, v36, vcc_lo
; %bb.384:                              ;   in Loop: Header=BB10_360 Depth=4
	s_or_b32 exec_lo, exec_lo, s60
	v_lshlrev_b32_e32 v36, 16, v39
	v_lshlrev_b32_e32 v37, 16, v51
	s_mov_b32 s60, exec_lo
                                        ; implicit-def: $vgpr50
	s_delay_alu instid0(VALU_DEP_1) | instskip(NEXT) | instid1(VALU_DEP_1)
	v_mul_f32_e32 v36, v37, v36
	v_and_b32_e32 v37, 0x7f800000, v36
	s_delay_alu instid0(VALU_DEP_1)
	v_cmpx_ne_u32_e32 0x7f800000, v37
	s_xor_b32 s60, exec_lo, s60
; %bb.385:                              ;   in Loop: Header=BB10_360 Depth=4
	v_bfe_u32 v37, v36, 16, 1
	s_delay_alu instid0(VALU_DEP_1)
	v_add3_u32 v50, v36, v37, 0x7fff
                                        ; implicit-def: $vgpr36
; %bb.386:                              ;   in Loop: Header=BB10_360 Depth=4
	s_and_not1_saveexec_b32 s60, s60
; %bb.387:                              ;   in Loop: Header=BB10_360 Depth=4
	v_and_b32_e32 v37, 0xffff, v36
	v_or_b32_e32 v50, 0x10000, v36
	s_delay_alu instid0(VALU_DEP_2) | instskip(NEXT) | instid1(VALU_DEP_2)
	v_cmp_eq_u32_e32 vcc_lo, 0, v37
	v_cndmask_b32_e32 v50, v50, v36, vcc_lo
; %bb.388:                              ;   in Loop: Header=BB10_360 Depth=4
	s_or_b32 exec_lo, exec_lo, s60
	v_and_b32_e32 v37, 0xffff0000, v51
	v_and_b32_e32 v36, 0xffff0000, v39
	s_mov_b32 s60, exec_lo
                                        ; implicit-def: $vgpr39
	s_delay_alu instid0(VALU_DEP_2) | instskip(NEXT) | instid1(VALU_DEP_1)
	v_mov_b32_e32 v96, v37
	v_pk_mul_f32 v[36:37], v[96:97], v[36:37]
	s_delay_alu instid0(VALU_DEP_1) | instskip(NEXT) | instid1(VALU_DEP_1)
	v_and_b32_e32 v37, 0x7f800000, v36
	v_cmpx_ne_u32_e32 0x7f800000, v37
	s_xor_b32 s60, exec_lo, s60
; %bb.389:                              ;   in Loop: Header=BB10_360 Depth=4
	v_bfe_u32 v37, v36, 16, 1
	s_delay_alu instid0(VALU_DEP_1)
	v_add3_u32 v39, v36, v37, 0x7fff
                                        ; implicit-def: $vgpr36_vgpr37
; %bb.390:                              ;   in Loop: Header=BB10_360 Depth=4
	s_and_not1_saveexec_b32 s60, s60
; %bb.391:                              ;   in Loop: Header=BB10_360 Depth=4
	v_and_b32_e32 v37, 0xffff, v36
	v_or_b32_e32 v39, 0x10000, v36
	s_delay_alu instid0(VALU_DEP_2) | instskip(NEXT) | instid1(VALU_DEP_2)
	v_cmp_eq_u32_e32 vcc_lo, 0, v37
	v_cndmask_b32_e32 v39, v39, v36, vcc_lo
; %bb.392:                              ;   in Loop: Header=BB10_360 Depth=4
	s_or_b32 exec_lo, exec_lo, s60
	s_wait_loadcnt 0x5
	v_lshlrev_b32_e32 v36, 16, v24
	s_wait_loadcnt 0x2
	v_lshlrev_b32_e32 v37, 16, v32
	s_mov_b32 s60, exec_lo
                                        ; implicit-def: $vgpr51
	s_delay_alu instid0(VALU_DEP_1) | instskip(NEXT) | instid1(VALU_DEP_1)
	v_mul_f32_e32 v36, v37, v36
	v_and_b32_e32 v37, 0x7f800000, v36
	s_delay_alu instid0(VALU_DEP_1)
	v_cmpx_ne_u32_e32 0x7f800000, v37
	s_xor_b32 s60, exec_lo, s60
; %bb.393:                              ;   in Loop: Header=BB10_360 Depth=4
	v_bfe_u32 v37, v36, 16, 1
	s_delay_alu instid0(VALU_DEP_1)
	v_add3_u32 v51, v36, v37, 0x7fff
                                        ; implicit-def: $vgpr36
; %bb.394:                              ;   in Loop: Header=BB10_360 Depth=4
	s_and_not1_saveexec_b32 s60, s60
; %bb.395:                              ;   in Loop: Header=BB10_360 Depth=4
	v_and_b32_e32 v37, 0xffff, v36
	v_or_b32_e32 v51, 0x10000, v36
	s_delay_alu instid0(VALU_DEP_2) | instskip(NEXT) | instid1(VALU_DEP_2)
	v_cmp_eq_u32_e32 vcc_lo, 0, v37
	v_cndmask_b32_e32 v51, v51, v36, vcc_lo
; %bb.396:                              ;   in Loop: Header=BB10_360 Depth=4
	s_or_b32 exec_lo, exec_lo, s60
	v_and_b32_e32 v37, 0xffff0000, v32
	v_and_b32_e32 v36, 0xffff0000, v24
	s_mov_b32 s60, exec_lo
                                        ; implicit-def: $vgpr32
	s_delay_alu instid0(VALU_DEP_2) | instskip(NEXT) | instid1(VALU_DEP_1)
	v_mov_b32_e32 v24, v37
	v_pk_mul_f32 v[36:37], v[24:25], v[36:37]
	s_delay_alu instid0(VALU_DEP_1) | instskip(NEXT) | instid1(VALU_DEP_1)
	v_and_b32_e32 v24, 0x7f800000, v36
	v_cmpx_ne_u32_e32 0x7f800000, v24
	s_xor_b32 s60, exec_lo, s60
; %bb.397:                              ;   in Loop: Header=BB10_360 Depth=4
	v_bfe_u32 v24, v36, 16, 1
	s_delay_alu instid0(VALU_DEP_1)
	v_add3_u32 v32, v36, v24, 0x7fff
                                        ; implicit-def: $vgpr36_vgpr37
; %bb.398:                              ;   in Loop: Header=BB10_360 Depth=4
	s_and_not1_saveexec_b32 s60, s60
; %bb.399:                              ;   in Loop: Header=BB10_360 Depth=4
	v_and_b32_e32 v24, 0xffff, v36
	v_or_b32_e32 v32, 0x10000, v36
	s_delay_alu instid0(VALU_DEP_2) | instskip(NEXT) | instid1(VALU_DEP_2)
	v_cmp_eq_u32_e32 vcc_lo, 0, v24
	v_cndmask_b32_e32 v32, v32, v36, vcc_lo
; %bb.400:                              ;   in Loop: Header=BB10_360 Depth=4
	s_or_b32 exec_lo, exec_lo, s60
	v_lshlrev_b32_e32 v24, 16, v25
	v_lshlrev_b32_e32 v36, 16, v33
	s_delay_alu instid0(VALU_DEP_1) | instskip(NEXT) | instid1(VALU_DEP_1)
	v_mul_f32_e32 v24, v36, v24
	v_and_b32_e32 v36, 0x7f800000, v24
	s_delay_alu instid0(VALU_DEP_1) | instskip(SKIP_1) | instid1(SALU_CYCLE_1)
	v_cmp_ne_u32_e32 vcc_lo, 0x7f800000, v36
                                        ; implicit-def: $vgpr36
	s_and_saveexec_b32 s60, vcc_lo
	s_xor_b32 s60, exec_lo, s60
; %bb.401:                              ;   in Loop: Header=BB10_360 Depth=4
	v_bfe_u32 v36, v24, 16, 1
	s_delay_alu instid0(VALU_DEP_1)
	v_add3_u32 v36, v24, v36, 0x7fff
                                        ; implicit-def: $vgpr24
; %bb.402:                              ;   in Loop: Header=BB10_360 Depth=4
	s_and_not1_saveexec_b32 s60, s60
; %bb.403:                              ;   in Loop: Header=BB10_360 Depth=4
	v_and_b32_e32 v36, 0xffff, v24
	v_or_b32_e32 v37, 0x10000, v24
	s_delay_alu instid0(VALU_DEP_2) | instskip(NEXT) | instid1(VALU_DEP_2)
	v_cmp_eq_u32_e32 vcc_lo, 0, v36
	v_cndmask_b32_e32 v36, v37, v24, vcc_lo
; %bb.404:                              ;   in Loop: Header=BB10_360 Depth=4
	s_or_b32 exec_lo, exec_lo, s60
	v_and_b32_e32 v97, 0xffff0000, v33
	v_and_b32_e32 v96, 0xffff0000, v25
	s_mov_b32 s60, exec_lo
                                        ; implicit-def: $vgpr33
	s_delay_alu instid0(VALU_DEP_2) | instskip(NEXT) | instid1(VALU_DEP_1)
	v_mov_b32_e32 v24, v97
	v_pk_mul_f32 v[24:25], v[24:25], v[96:97]
	s_delay_alu instid0(VALU_DEP_1) | instskip(NEXT) | instid1(VALU_DEP_1)
	v_and_b32_e32 v25, 0x7f800000, v24
	v_cmpx_ne_u32_e32 0x7f800000, v25
	s_xor_b32 s60, exec_lo, s60
; %bb.405:                              ;   in Loop: Header=BB10_360 Depth=4
	v_bfe_u32 v25, v24, 16, 1
	s_delay_alu instid0(VALU_DEP_1)
	v_add3_u32 v33, v24, v25, 0x7fff
                                        ; implicit-def: $vgpr24_vgpr25
; %bb.406:                              ;   in Loop: Header=BB10_360 Depth=4
	s_and_not1_saveexec_b32 s60, s60
; %bb.407:                              ;   in Loop: Header=BB10_360 Depth=4
	v_and_b32_e32 v25, 0xffff, v24
	v_or_b32_e32 v33, 0x10000, v24
	s_delay_alu instid0(VALU_DEP_2) | instskip(NEXT) | instid1(VALU_DEP_2)
	v_cmp_eq_u32_e32 vcc_lo, 0, v25
	v_cndmask_b32_e32 v33, v33, v24, vcc_lo
; %bb.408:                              ;   in Loop: Header=BB10_360 Depth=4
	s_or_b32 exec_lo, exec_lo, s60
	v_lshlrev_b32_e32 v24, 16, v26
	v_lshlrev_b32_e32 v25, 16, v34
	s_mov_b32 s60, exec_lo
                                        ; implicit-def: $vgpr37
	s_delay_alu instid0(VALU_DEP_1) | instskip(NEXT) | instid1(VALU_DEP_1)
	v_mul_f32_e32 v24, v25, v24
	v_and_b32_e32 v25, 0x7f800000, v24
	s_delay_alu instid0(VALU_DEP_1)
	v_cmpx_ne_u32_e32 0x7f800000, v25
	s_xor_b32 s60, exec_lo, s60
; %bb.409:                              ;   in Loop: Header=BB10_360 Depth=4
	v_bfe_u32 v25, v24, 16, 1
	s_delay_alu instid0(VALU_DEP_1)
	v_add3_u32 v37, v24, v25, 0x7fff
                                        ; implicit-def: $vgpr24
; %bb.410:                              ;   in Loop: Header=BB10_360 Depth=4
	s_and_not1_saveexec_b32 s60, s60
; %bb.411:                              ;   in Loop: Header=BB10_360 Depth=4
	v_and_b32_e32 v25, 0xffff, v24
	v_or_b32_e32 v37, 0x10000, v24
	s_delay_alu instid0(VALU_DEP_2) | instskip(NEXT) | instid1(VALU_DEP_2)
	v_cmp_eq_u32_e32 vcc_lo, 0, v25
	v_cndmask_b32_e32 v37, v37, v24, vcc_lo
; %bb.412:                              ;   in Loop: Header=BB10_360 Depth=4
	s_or_b32 exec_lo, exec_lo, s60
	v_and_b32_e32 v25, 0xffff0000, v34
	v_and_b32_e32 v24, 0xffff0000, v26
	s_mov_b32 s60, exec_lo
	s_delay_alu instid0(VALU_DEP_2) | instskip(NEXT) | instid1(VALU_DEP_1)
	v_mov_b32_e32 v26, v25
	v_pk_mul_f32 v[24:25], v[26:27], v[24:25]
                                        ; implicit-def: $vgpr26
	s_delay_alu instid0(VALU_DEP_1) | instskip(NEXT) | instid1(VALU_DEP_1)
	v_and_b32_e32 v25, 0x7f800000, v24
	v_cmpx_ne_u32_e32 0x7f800000, v25
	s_xor_b32 s60, exec_lo, s60
; %bb.413:                              ;   in Loop: Header=BB10_360 Depth=4
	v_bfe_u32 v25, v24, 16, 1
	s_delay_alu instid0(VALU_DEP_1)
	v_add3_u32 v26, v24, v25, 0x7fff
                                        ; implicit-def: $vgpr24_vgpr25
; %bb.414:                              ;   in Loop: Header=BB10_360 Depth=4
	s_and_not1_saveexec_b32 s60, s60
; %bb.415:                              ;   in Loop: Header=BB10_360 Depth=4
	v_and_b32_e32 v25, 0xffff, v24
	v_or_b32_e32 v26, 0x10000, v24
	s_delay_alu instid0(VALU_DEP_2) | instskip(NEXT) | instid1(VALU_DEP_2)
	v_cmp_eq_u32_e32 vcc_lo, 0, v25
	v_cndmask_b32_e32 v26, v26, v24, vcc_lo
; %bb.416:                              ;   in Loop: Header=BB10_360 Depth=4
	s_or_b32 exec_lo, exec_lo, s60
	v_lshlrev_b32_e32 v24, 16, v27
	v_lshlrev_b32_e32 v25, 16, v35
	s_mov_b32 s60, exec_lo
                                        ; implicit-def: $vgpr34
	s_delay_alu instid0(VALU_DEP_1) | instskip(NEXT) | instid1(VALU_DEP_1)
	v_mul_f32_e32 v24, v25, v24
	v_and_b32_e32 v25, 0x7f800000, v24
	s_delay_alu instid0(VALU_DEP_1)
	v_cmpx_ne_u32_e32 0x7f800000, v25
	s_xor_b32 s60, exec_lo, s60
; %bb.417:                              ;   in Loop: Header=BB10_360 Depth=4
	v_bfe_u32 v25, v24, 16, 1
	s_delay_alu instid0(VALU_DEP_1)
	v_add3_u32 v34, v24, v25, 0x7fff
                                        ; implicit-def: $vgpr24
; %bb.418:                              ;   in Loop: Header=BB10_360 Depth=4
	s_and_not1_saveexec_b32 s60, s60
; %bb.419:                              ;   in Loop: Header=BB10_360 Depth=4
	v_and_b32_e32 v25, 0xffff, v24
	v_or_b32_e32 v34, 0x10000, v24
	s_delay_alu instid0(VALU_DEP_2) | instskip(NEXT) | instid1(VALU_DEP_2)
	v_cmp_eq_u32_e32 vcc_lo, 0, v25
	v_cndmask_b32_e32 v34, v34, v24, vcc_lo
; %bb.420:                              ;   in Loop: Header=BB10_360 Depth=4
	s_or_b32 exec_lo, exec_lo, s60
	v_and_b32_e32 v25, 0xffff0000, v35
	v_and_b32_e32 v24, 0xffff0000, v27
	s_mov_b32 s60, exec_lo
                                        ; implicit-def: $vgpr27
	s_delay_alu instid0(VALU_DEP_2) | instskip(NEXT) | instid1(VALU_DEP_1)
	v_mov_b32_e32 v96, v25
	v_pk_mul_f32 v[24:25], v[96:97], v[24:25]
	s_delay_alu instid0(VALU_DEP_1) | instskip(NEXT) | instid1(VALU_DEP_1)
	v_and_b32_e32 v25, 0x7f800000, v24
	v_cmpx_ne_u32_e32 0x7f800000, v25
	s_xor_b32 s60, exec_lo, s60
; %bb.421:                              ;   in Loop: Header=BB10_360 Depth=4
	v_bfe_u32 v25, v24, 16, 1
	s_delay_alu instid0(VALU_DEP_1)
	v_add3_u32 v27, v24, v25, 0x7fff
                                        ; implicit-def: $vgpr24_vgpr25
; %bb.422:                              ;   in Loop: Header=BB10_360 Depth=4
	s_and_not1_saveexec_b32 s60, s60
; %bb.423:                              ;   in Loop: Header=BB10_360 Depth=4
	v_and_b32_e32 v25, 0xffff, v24
	v_or_b32_e32 v27, 0x10000, v24
	s_delay_alu instid0(VALU_DEP_2) | instskip(NEXT) | instid1(VALU_DEP_2)
	v_cmp_eq_u32_e32 vcc_lo, 0, v25
	v_cndmask_b32_e32 v27, v27, v24, vcc_lo
; %bb.424:                              ;   in Loop: Header=BB10_360 Depth=4
	s_or_b32 exec_lo, exec_lo, s60
	v_lshlrev_b32_e32 v24, 16, v16
	s_wait_loadcnt 0x1
	v_lshlrev_b32_e32 v25, 16, v20
	s_mov_b32 s60, exec_lo
                                        ; implicit-def: $vgpr35
	s_delay_alu instid0(VALU_DEP_1) | instskip(NEXT) | instid1(VALU_DEP_1)
	v_mul_f32_e32 v24, v25, v24
	v_and_b32_e32 v25, 0x7f800000, v24
	s_delay_alu instid0(VALU_DEP_1)
	v_cmpx_ne_u32_e32 0x7f800000, v25
	s_xor_b32 s60, exec_lo, s60
; %bb.425:                              ;   in Loop: Header=BB10_360 Depth=4
	v_bfe_u32 v25, v24, 16, 1
	s_delay_alu instid0(VALU_DEP_1)
	v_add3_u32 v35, v24, v25, 0x7fff
                                        ; implicit-def: $vgpr24
; %bb.426:                              ;   in Loop: Header=BB10_360 Depth=4
	s_and_not1_saveexec_b32 s60, s60
; %bb.427:                              ;   in Loop: Header=BB10_360 Depth=4
	v_and_b32_e32 v25, 0xffff, v24
	v_or_b32_e32 v35, 0x10000, v24
	s_delay_alu instid0(VALU_DEP_2) | instskip(NEXT) | instid1(VALU_DEP_2)
	v_cmp_eq_u32_e32 vcc_lo, 0, v25
	v_cndmask_b32_e32 v35, v35, v24, vcc_lo
; %bb.428:                              ;   in Loop: Header=BB10_360 Depth=4
	s_or_b32 exec_lo, exec_lo, s60
	v_and_b32_e32 v25, 0xffff0000, v20
	v_and_b32_e32 v24, 0xffff0000, v16
	s_mov_b32 s60, exec_lo
                                        ; implicit-def: $vgpr20
	s_delay_alu instid0(VALU_DEP_2) | instskip(NEXT) | instid1(VALU_DEP_1)
	v_mov_b32_e32 v16, v25
	v_pk_mul_f32 v[24:25], v[16:17], v[24:25]
	s_delay_alu instid0(VALU_DEP_1) | instskip(NEXT) | instid1(VALU_DEP_1)
	v_and_b32_e32 v16, 0x7f800000, v24
	v_cmpx_ne_u32_e32 0x7f800000, v16
	s_xor_b32 s60, exec_lo, s60
; %bb.429:                              ;   in Loop: Header=BB10_360 Depth=4
	v_bfe_u32 v16, v24, 16, 1
	s_delay_alu instid0(VALU_DEP_1)
	v_add3_u32 v20, v24, v16, 0x7fff
                                        ; implicit-def: $vgpr24_vgpr25
; %bb.430:                              ;   in Loop: Header=BB10_360 Depth=4
	s_and_not1_saveexec_b32 s60, s60
; %bb.431:                              ;   in Loop: Header=BB10_360 Depth=4
	v_and_b32_e32 v16, 0xffff, v24
	v_or_b32_e32 v20, 0x10000, v24
	s_delay_alu instid0(VALU_DEP_2) | instskip(NEXT) | instid1(VALU_DEP_2)
	v_cmp_eq_u32_e32 vcc_lo, 0, v16
	v_cndmask_b32_e32 v20, v20, v24, vcc_lo
; %bb.432:                              ;   in Loop: Header=BB10_360 Depth=4
	s_or_b32 exec_lo, exec_lo, s60
	v_lshlrev_b32_e32 v16, 16, v17
	v_lshlrev_b32_e32 v24, 16, v21
	s_delay_alu instid0(VALU_DEP_1) | instskip(NEXT) | instid1(VALU_DEP_1)
	v_mul_f32_e32 v16, v24, v16
	v_and_b32_e32 v24, 0x7f800000, v16
	s_delay_alu instid0(VALU_DEP_1) | instskip(SKIP_1) | instid1(SALU_CYCLE_1)
	v_cmp_ne_u32_e32 vcc_lo, 0x7f800000, v24
                                        ; implicit-def: $vgpr24
	s_and_saveexec_b32 s60, vcc_lo
	s_xor_b32 s60, exec_lo, s60
; %bb.433:                              ;   in Loop: Header=BB10_360 Depth=4
	v_bfe_u32 v24, v16, 16, 1
	s_delay_alu instid0(VALU_DEP_1)
	v_add3_u32 v24, v16, v24, 0x7fff
                                        ; implicit-def: $vgpr16
; %bb.434:                              ;   in Loop: Header=BB10_360 Depth=4
	s_and_not1_saveexec_b32 s60, s60
; %bb.435:                              ;   in Loop: Header=BB10_360 Depth=4
	v_and_b32_e32 v24, 0xffff, v16
	v_or_b32_e32 v25, 0x10000, v16
	s_delay_alu instid0(VALU_DEP_2) | instskip(NEXT) | instid1(VALU_DEP_2)
	v_cmp_eq_u32_e32 vcc_lo, 0, v24
	v_cndmask_b32_e32 v24, v25, v16, vcc_lo
; %bb.436:                              ;   in Loop: Header=BB10_360 Depth=4
	s_or_b32 exec_lo, exec_lo, s60
	v_and_b32_e32 v97, 0xffff0000, v21
	v_and_b32_e32 v96, 0xffff0000, v17
	s_mov_b32 s60, exec_lo
                                        ; implicit-def: $vgpr21
	s_delay_alu instid0(VALU_DEP_2) | instskip(NEXT) | instid1(VALU_DEP_1)
	v_mov_b32_e32 v16, v97
	v_pk_mul_f32 v[16:17], v[16:17], v[96:97]
	s_delay_alu instid0(VALU_DEP_1) | instskip(NEXT) | instid1(VALU_DEP_1)
	v_and_b32_e32 v17, 0x7f800000, v16
	v_cmpx_ne_u32_e32 0x7f800000, v17
	s_xor_b32 s60, exec_lo, s60
; %bb.437:                              ;   in Loop: Header=BB10_360 Depth=4
	v_bfe_u32 v17, v16, 16, 1
	s_delay_alu instid0(VALU_DEP_1)
	v_add3_u32 v21, v16, v17, 0x7fff
                                        ; implicit-def: $vgpr16_vgpr17
; %bb.438:                              ;   in Loop: Header=BB10_360 Depth=4
	s_and_not1_saveexec_b32 s60, s60
; %bb.439:                              ;   in Loop: Header=BB10_360 Depth=4
	v_and_b32_e32 v17, 0xffff, v16
	v_or_b32_e32 v21, 0x10000, v16
	s_delay_alu instid0(VALU_DEP_2) | instskip(NEXT) | instid1(VALU_DEP_2)
	v_cmp_eq_u32_e32 vcc_lo, 0, v17
	v_cndmask_b32_e32 v21, v21, v16, vcc_lo
; %bb.440:                              ;   in Loop: Header=BB10_360 Depth=4
	s_or_b32 exec_lo, exec_lo, s60
	v_lshlrev_b32_e32 v16, 16, v18
	v_lshlrev_b32_e32 v17, 16, v22
	s_mov_b32 s60, exec_lo
                                        ; implicit-def: $vgpr25
	s_delay_alu instid0(VALU_DEP_1) | instskip(NEXT) | instid1(VALU_DEP_1)
	v_mul_f32_e32 v16, v17, v16
	v_and_b32_e32 v17, 0x7f800000, v16
	s_delay_alu instid0(VALU_DEP_1)
	v_cmpx_ne_u32_e32 0x7f800000, v17
	s_xor_b32 s60, exec_lo, s60
; %bb.441:                              ;   in Loop: Header=BB10_360 Depth=4
	v_bfe_u32 v17, v16, 16, 1
	s_delay_alu instid0(VALU_DEP_1)
	v_add3_u32 v25, v16, v17, 0x7fff
                                        ; implicit-def: $vgpr16
; %bb.442:                              ;   in Loop: Header=BB10_360 Depth=4
	s_and_not1_saveexec_b32 s60, s60
; %bb.443:                              ;   in Loop: Header=BB10_360 Depth=4
	v_and_b32_e32 v17, 0xffff, v16
	v_or_b32_e32 v25, 0x10000, v16
	s_delay_alu instid0(VALU_DEP_2) | instskip(NEXT) | instid1(VALU_DEP_2)
	v_cmp_eq_u32_e32 vcc_lo, 0, v17
	v_cndmask_b32_e32 v25, v25, v16, vcc_lo
; %bb.444:                              ;   in Loop: Header=BB10_360 Depth=4
	s_or_b32 exec_lo, exec_lo, s60
	v_and_b32_e32 v17, 0xffff0000, v22
	v_and_b32_e32 v16, 0xffff0000, v18
	s_mov_b32 s60, exec_lo
	s_delay_alu instid0(VALU_DEP_2) | instskip(NEXT) | instid1(VALU_DEP_1)
	v_mov_b32_e32 v18, v17
	v_pk_mul_f32 v[16:17], v[18:19], v[16:17]
                                        ; implicit-def: $vgpr18
	s_delay_alu instid0(VALU_DEP_1) | instskip(NEXT) | instid1(VALU_DEP_1)
	v_and_b32_e32 v17, 0x7f800000, v16
	v_cmpx_ne_u32_e32 0x7f800000, v17
	s_xor_b32 s60, exec_lo, s60
; %bb.445:                              ;   in Loop: Header=BB10_360 Depth=4
	v_bfe_u32 v17, v16, 16, 1
	s_delay_alu instid0(VALU_DEP_1)
	v_add3_u32 v18, v16, v17, 0x7fff
                                        ; implicit-def: $vgpr16_vgpr17
; %bb.446:                              ;   in Loop: Header=BB10_360 Depth=4
	s_and_not1_saveexec_b32 s60, s60
; %bb.447:                              ;   in Loop: Header=BB10_360 Depth=4
	v_and_b32_e32 v17, 0xffff, v16
	v_or_b32_e32 v18, 0x10000, v16
	s_delay_alu instid0(VALU_DEP_2) | instskip(NEXT) | instid1(VALU_DEP_2)
	v_cmp_eq_u32_e32 vcc_lo, 0, v17
	v_cndmask_b32_e32 v18, v18, v16, vcc_lo
; %bb.448:                              ;   in Loop: Header=BB10_360 Depth=4
	s_or_b32 exec_lo, exec_lo, s60
	v_lshlrev_b32_e32 v16, 16, v19
	v_lshlrev_b32_e32 v17, 16, v23
	s_mov_b32 s60, exec_lo
                                        ; implicit-def: $vgpr22
	s_delay_alu instid0(VALU_DEP_1) | instskip(NEXT) | instid1(VALU_DEP_1)
	v_mul_f32_e32 v16, v17, v16
	v_and_b32_e32 v17, 0x7f800000, v16
	s_delay_alu instid0(VALU_DEP_1)
	v_cmpx_ne_u32_e32 0x7f800000, v17
	s_xor_b32 s60, exec_lo, s60
; %bb.449:                              ;   in Loop: Header=BB10_360 Depth=4
	v_bfe_u32 v17, v16, 16, 1
	s_delay_alu instid0(VALU_DEP_1)
	v_add3_u32 v22, v16, v17, 0x7fff
                                        ; implicit-def: $vgpr16
; %bb.450:                              ;   in Loop: Header=BB10_360 Depth=4
	s_and_not1_saveexec_b32 s60, s60
; %bb.451:                              ;   in Loop: Header=BB10_360 Depth=4
	v_and_b32_e32 v17, 0xffff, v16
	v_or_b32_e32 v22, 0x10000, v16
	s_delay_alu instid0(VALU_DEP_2) | instskip(NEXT) | instid1(VALU_DEP_2)
	v_cmp_eq_u32_e32 vcc_lo, 0, v17
	v_cndmask_b32_e32 v22, v22, v16, vcc_lo
; %bb.452:                              ;   in Loop: Header=BB10_360 Depth=4
	s_or_b32 exec_lo, exec_lo, s60
	v_and_b32_e32 v17, 0xffff0000, v23
	v_and_b32_e32 v16, 0xffff0000, v19
	s_mov_b32 s60, exec_lo
                                        ; implicit-def: $vgpr19
	s_delay_alu instid0(VALU_DEP_2) | instskip(NEXT) | instid1(VALU_DEP_1)
	v_mov_b32_e32 v96, v17
	v_pk_mul_f32 v[16:17], v[96:97], v[16:17]
	s_delay_alu instid0(VALU_DEP_1) | instskip(NEXT) | instid1(VALU_DEP_1)
	v_and_b32_e32 v17, 0x7f800000, v16
	v_cmpx_ne_u32_e32 0x7f800000, v17
	s_xor_b32 s60, exec_lo, s60
; %bb.453:                              ;   in Loop: Header=BB10_360 Depth=4
	v_bfe_u32 v17, v16, 16, 1
	s_delay_alu instid0(VALU_DEP_1)
	v_add3_u32 v19, v16, v17, 0x7fff
                                        ; implicit-def: $vgpr16_vgpr17
; %bb.454:                              ;   in Loop: Header=BB10_360 Depth=4
	s_and_not1_saveexec_b32 s60, s60
; %bb.455:                              ;   in Loop: Header=BB10_360 Depth=4
	v_and_b32_e32 v17, 0xffff, v16
	v_or_b32_e32 v19, 0x10000, v16
	s_delay_alu instid0(VALU_DEP_2) | instskip(NEXT) | instid1(VALU_DEP_2)
	v_cmp_eq_u32_e32 vcc_lo, 0, v17
	v_cndmask_b32_e32 v19, v19, v16, vcc_lo
; %bb.456:                              ;   in Loop: Header=BB10_360 Depth=4
	s_or_b32 exec_lo, exec_lo, s60
	v_lshlrev_b32_e32 v16, 16, v8
	s_wait_loadcnt 0x0
	v_lshlrev_b32_e32 v17, 16, v12
	s_mov_b32 s60, exec_lo
                                        ; implicit-def: $vgpr23
	s_delay_alu instid0(VALU_DEP_1) | instskip(NEXT) | instid1(VALU_DEP_1)
	v_mul_f32_e32 v16, v17, v16
	v_and_b32_e32 v17, 0x7f800000, v16
	s_delay_alu instid0(VALU_DEP_1)
	v_cmpx_ne_u32_e32 0x7f800000, v17
	s_xor_b32 s60, exec_lo, s60
; %bb.457:                              ;   in Loop: Header=BB10_360 Depth=4
	v_bfe_u32 v17, v16, 16, 1
	s_delay_alu instid0(VALU_DEP_1)
	v_add3_u32 v23, v16, v17, 0x7fff
                                        ; implicit-def: $vgpr16
; %bb.458:                              ;   in Loop: Header=BB10_360 Depth=4
	s_and_not1_saveexec_b32 s60, s60
; %bb.459:                              ;   in Loop: Header=BB10_360 Depth=4
	v_and_b32_e32 v17, 0xffff, v16
	v_or_b32_e32 v23, 0x10000, v16
	s_delay_alu instid0(VALU_DEP_2) | instskip(NEXT) | instid1(VALU_DEP_2)
	v_cmp_eq_u32_e32 vcc_lo, 0, v17
	v_cndmask_b32_e32 v23, v23, v16, vcc_lo
; %bb.460:                              ;   in Loop: Header=BB10_360 Depth=4
	s_or_b32 exec_lo, exec_lo, s60
	v_and_b32_e32 v17, 0xffff0000, v12
	v_and_b32_e32 v16, 0xffff0000, v8
	s_mov_b32 s60, exec_lo
                                        ; implicit-def: $vgpr12
	s_delay_alu instid0(VALU_DEP_2) | instskip(NEXT) | instid1(VALU_DEP_1)
	v_mov_b32_e32 v8, v17
	v_pk_mul_f32 v[16:17], v[8:9], v[16:17]
	s_delay_alu instid0(VALU_DEP_1) | instskip(NEXT) | instid1(VALU_DEP_1)
	v_and_b32_e32 v8, 0x7f800000, v16
	v_cmpx_ne_u32_e32 0x7f800000, v8
	s_xor_b32 s60, exec_lo, s60
; %bb.461:                              ;   in Loop: Header=BB10_360 Depth=4
	v_bfe_u32 v8, v16, 16, 1
	s_delay_alu instid0(VALU_DEP_1)
	v_add3_u32 v12, v16, v8, 0x7fff
                                        ; implicit-def: $vgpr16_vgpr17
; %bb.462:                              ;   in Loop: Header=BB10_360 Depth=4
	s_and_not1_saveexec_b32 s60, s60
; %bb.463:                              ;   in Loop: Header=BB10_360 Depth=4
	v_and_b32_e32 v8, 0xffff, v16
	v_or_b32_e32 v12, 0x10000, v16
	s_delay_alu instid0(VALU_DEP_2) | instskip(NEXT) | instid1(VALU_DEP_2)
	v_cmp_eq_u32_e32 vcc_lo, 0, v8
	v_cndmask_b32_e32 v12, v12, v16, vcc_lo
; %bb.464:                              ;   in Loop: Header=BB10_360 Depth=4
	s_or_b32 exec_lo, exec_lo, s60
	v_lshlrev_b32_e32 v8, 16, v9
	v_lshlrev_b32_e32 v16, 16, v13
	s_delay_alu instid0(VALU_DEP_1) | instskip(NEXT) | instid1(VALU_DEP_1)
	v_mul_f32_e32 v8, v16, v8
	v_and_b32_e32 v16, 0x7f800000, v8
	s_delay_alu instid0(VALU_DEP_1) | instskip(SKIP_1) | instid1(SALU_CYCLE_1)
	v_cmp_ne_u32_e32 vcc_lo, 0x7f800000, v16
                                        ; implicit-def: $vgpr16
	s_and_saveexec_b32 s60, vcc_lo
	s_xor_b32 s60, exec_lo, s60
; %bb.465:                              ;   in Loop: Header=BB10_360 Depth=4
	v_bfe_u32 v16, v8, 16, 1
	s_delay_alu instid0(VALU_DEP_1)
	v_add3_u32 v16, v8, v16, 0x7fff
                                        ; implicit-def: $vgpr8
; %bb.466:                              ;   in Loop: Header=BB10_360 Depth=4
	s_and_not1_saveexec_b32 s60, s60
; %bb.467:                              ;   in Loop: Header=BB10_360 Depth=4
	v_and_b32_e32 v16, 0xffff, v8
	v_or_b32_e32 v17, 0x10000, v8
	s_delay_alu instid0(VALU_DEP_2) | instskip(NEXT) | instid1(VALU_DEP_2)
	v_cmp_eq_u32_e32 vcc_lo, 0, v16
	v_cndmask_b32_e32 v16, v17, v8, vcc_lo
; %bb.468:                              ;   in Loop: Header=BB10_360 Depth=4
	s_or_b32 exec_lo, exec_lo, s60
	v_and_b32_e32 v97, 0xffff0000, v13
	v_and_b32_e32 v96, 0xffff0000, v9
	s_mov_b32 s60, exec_lo
                                        ; implicit-def: $vgpr13
	s_delay_alu instid0(VALU_DEP_2) | instskip(NEXT) | instid1(VALU_DEP_1)
	v_mov_b32_e32 v8, v97
	v_pk_mul_f32 v[8:9], v[8:9], v[96:97]
	s_delay_alu instid0(VALU_DEP_1) | instskip(NEXT) | instid1(VALU_DEP_1)
	v_and_b32_e32 v9, 0x7f800000, v8
	v_cmpx_ne_u32_e32 0x7f800000, v9
	s_xor_b32 s60, exec_lo, s60
; %bb.469:                              ;   in Loop: Header=BB10_360 Depth=4
	v_bfe_u32 v9, v8, 16, 1
	s_delay_alu instid0(VALU_DEP_1)
	v_add3_u32 v13, v8, v9, 0x7fff
                                        ; implicit-def: $vgpr8_vgpr9
; %bb.470:                              ;   in Loop: Header=BB10_360 Depth=4
	s_and_not1_saveexec_b32 s60, s60
; %bb.471:                              ;   in Loop: Header=BB10_360 Depth=4
	v_and_b32_e32 v9, 0xffff, v8
	v_or_b32_e32 v13, 0x10000, v8
	s_delay_alu instid0(VALU_DEP_2) | instskip(NEXT) | instid1(VALU_DEP_2)
	v_cmp_eq_u32_e32 vcc_lo, 0, v9
	v_cndmask_b32_e32 v13, v13, v8, vcc_lo
; %bb.472:                              ;   in Loop: Header=BB10_360 Depth=4
	s_or_b32 exec_lo, exec_lo, s60
	v_lshlrev_b32_e32 v8, 16, v10
	v_lshlrev_b32_e32 v9, 16, v14
	s_mov_b32 s60, exec_lo
                                        ; implicit-def: $vgpr17
	s_delay_alu instid0(VALU_DEP_1) | instskip(NEXT) | instid1(VALU_DEP_1)
	v_mul_f32_e32 v8, v9, v8
	v_and_b32_e32 v9, 0x7f800000, v8
	s_delay_alu instid0(VALU_DEP_1)
	v_cmpx_ne_u32_e32 0x7f800000, v9
	s_xor_b32 s60, exec_lo, s60
; %bb.473:                              ;   in Loop: Header=BB10_360 Depth=4
	v_bfe_u32 v9, v8, 16, 1
	s_delay_alu instid0(VALU_DEP_1)
	v_add3_u32 v17, v8, v9, 0x7fff
                                        ; implicit-def: $vgpr8
; %bb.474:                              ;   in Loop: Header=BB10_360 Depth=4
	s_and_not1_saveexec_b32 s60, s60
; %bb.475:                              ;   in Loop: Header=BB10_360 Depth=4
	v_and_b32_e32 v9, 0xffff, v8
	v_or_b32_e32 v17, 0x10000, v8
	s_delay_alu instid0(VALU_DEP_2) | instskip(NEXT) | instid1(VALU_DEP_2)
	v_cmp_eq_u32_e32 vcc_lo, 0, v9
	v_cndmask_b32_e32 v17, v17, v8, vcc_lo
; %bb.476:                              ;   in Loop: Header=BB10_360 Depth=4
	s_or_b32 exec_lo, exec_lo, s60
	v_and_b32_e32 v9, 0xffff0000, v14
	v_and_b32_e32 v8, 0xffff0000, v10
	s_mov_b32 s60, exec_lo
	s_delay_alu instid0(VALU_DEP_2) | instskip(NEXT) | instid1(VALU_DEP_1)
	v_mov_b32_e32 v10, v9
	v_pk_mul_f32 v[8:9], v[10:11], v[8:9]
                                        ; implicit-def: $vgpr10
	s_delay_alu instid0(VALU_DEP_1) | instskip(NEXT) | instid1(VALU_DEP_1)
	v_and_b32_e32 v9, 0x7f800000, v8
	v_cmpx_ne_u32_e32 0x7f800000, v9
	s_xor_b32 s60, exec_lo, s60
; %bb.477:                              ;   in Loop: Header=BB10_360 Depth=4
	v_bfe_u32 v9, v8, 16, 1
	s_delay_alu instid0(VALU_DEP_1)
	v_add3_u32 v10, v8, v9, 0x7fff
                                        ; implicit-def: $vgpr8_vgpr9
; %bb.478:                              ;   in Loop: Header=BB10_360 Depth=4
	s_and_not1_saveexec_b32 s60, s60
; %bb.479:                              ;   in Loop: Header=BB10_360 Depth=4
	v_and_b32_e32 v9, 0xffff, v8
	v_or_b32_e32 v10, 0x10000, v8
	s_delay_alu instid0(VALU_DEP_2) | instskip(NEXT) | instid1(VALU_DEP_2)
	v_cmp_eq_u32_e32 vcc_lo, 0, v9
	v_cndmask_b32_e32 v10, v10, v8, vcc_lo
; %bb.480:                              ;   in Loop: Header=BB10_360 Depth=4
	s_or_b32 exec_lo, exec_lo, s60
	v_lshlrev_b32_e32 v8, 16, v11
	v_lshlrev_b32_e32 v9, 16, v15
	s_mov_b32 s60, exec_lo
                                        ; implicit-def: $vgpr14
	s_delay_alu instid0(VALU_DEP_1) | instskip(NEXT) | instid1(VALU_DEP_1)
	v_mul_f32_e32 v8, v9, v8
	v_and_b32_e32 v9, 0x7f800000, v8
	s_delay_alu instid0(VALU_DEP_1)
	v_cmpx_ne_u32_e32 0x7f800000, v9
	s_xor_b32 s60, exec_lo, s60
; %bb.481:                              ;   in Loop: Header=BB10_360 Depth=4
	v_bfe_u32 v9, v8, 16, 1
	s_delay_alu instid0(VALU_DEP_1)
	v_add3_u32 v14, v8, v9, 0x7fff
                                        ; implicit-def: $vgpr8
; %bb.482:                              ;   in Loop: Header=BB10_360 Depth=4
	s_and_not1_saveexec_b32 s60, s60
; %bb.483:                              ;   in Loop: Header=BB10_360 Depth=4
	v_and_b32_e32 v9, 0xffff, v8
	v_or_b32_e32 v14, 0x10000, v8
	s_delay_alu instid0(VALU_DEP_2) | instskip(NEXT) | instid1(VALU_DEP_2)
	v_cmp_eq_u32_e32 vcc_lo, 0, v9
	v_cndmask_b32_e32 v14, v14, v8, vcc_lo
; %bb.484:                              ;   in Loop: Header=BB10_360 Depth=4
	s_or_b32 exec_lo, exec_lo, s60
	v_and_b32_e32 v9, 0xffff0000, v15
	v_and_b32_e32 v8, 0xffff0000, v11
	s_mov_b32 s60, exec_lo
                                        ; implicit-def: $vgpr11
	s_delay_alu instid0(VALU_DEP_2) | instskip(NEXT) | instid1(VALU_DEP_1)
	v_mov_b32_e32 v96, v9
	v_pk_mul_f32 v[8:9], v[96:97], v[8:9]
	s_delay_alu instid0(VALU_DEP_1) | instskip(NEXT) | instid1(VALU_DEP_1)
	v_and_b32_e32 v9, 0x7f800000, v8
	v_cmpx_ne_u32_e32 0x7f800000, v9
	s_xor_b32 s60, exec_lo, s60
; %bb.485:                              ;   in Loop: Header=BB10_360 Depth=4
	v_bfe_u32 v9, v8, 16, 1
	s_delay_alu instid0(VALU_DEP_1)
	v_add3_u32 v11, v8, v9, 0x7fff
                                        ; implicit-def: $vgpr8_vgpr9
; %bb.486:                              ;   in Loop: Header=BB10_360 Depth=4
	s_and_not1_saveexec_b32 s60, s60
	s_cbranch_execz .LBB10_359
; %bb.487:                              ;   in Loop: Header=BB10_360 Depth=4
	v_and_b32_e32 v9, 0xffff, v8
	v_or_b32_e32 v11, 0x10000, v8
	s_delay_alu instid0(VALU_DEP_2) | instskip(NEXT) | instid1(VALU_DEP_2)
	v_cmp_eq_u32_e32 vcc_lo, 0, v9
	v_cndmask_b32_e32 v11, v11, v8, vcc_lo
	s_branch .LBB10_359
.LBB10_488:                             ;   in Loop: Header=BB10_278 Depth=3
	s_or_b32 exec_lo, exec_lo, s41
.LBB10_489:                             ;   in Loop: Header=BB10_278 Depth=3
	s_delay_alu instid0(SALU_CYCLE_1) | instskip(SKIP_3) | instid1(VALU_DEP_1)
	s_or_b32 exec_lo, exec_lo, s13
	v_dual_lshlrev_b32 v22, 11, v52 :: v_dual_mov_b32 v14, 0
	s_mov_b32 s60, 0
	s_mov_b32 s41, exec_lo
                                        ; implicit-def: $vgpr15
                                        ; implicit-def: $vgpr8
	v_cmpx_ne_u32_e64 v75, v22
	s_cbranch_execz .LBB10_529
; %bb.490:                              ;   in Loop: Header=BB10_278 Depth=3
	v_dual_lshlrev_b32 v8, 5, v77 :: v_dual_sub_nc_u32 v10, v75, v22
	s_mov_b32 s60, exec_lo
	s_delay_alu instid0(VALU_DEP_1) | instskip(NEXT) | instid1(VALU_DEP_1)
	v_dual_sub_nc_u32 v8, v125, v8 :: v_dual_ashrrev_i32 v11, 31, v10
	v_dual_ashrrev_i32 v9, 31, v8 :: v_dual_lshrrev_b32 v11, 23, v11
	s_delay_alu instid0(VALU_DEP_1) | instskip(NEXT) | instid1(VALU_DEP_1)
	v_lshrrev_b32_e32 v9, 27, v9
	v_add_nc_u32_e32 v9, v8, v9
	s_delay_alu instid0(VALU_DEP_1) | instskip(NEXT) | instid1(VALU_DEP_1)
	v_and_b32_e32 v12, 0xffffffe0, v9
	v_dual_add_nc_u32 v11, v10, v11 :: v_dual_sub_nc_u32 v24, v8, v12
	s_delay_alu instid0(VALU_DEP_1) | instskip(SKIP_1) | instid1(VALU_DEP_3)
	v_and_b32_e32 v23, 0xfffffe00, v11
	v_dual_ashrrev_i32 v9, 5, v9 :: v_dual_ashrrev_i32 v11, 9, v11
	v_lshlrev_b32_e32 v8, 4, v24
	s_delay_alu instid0(VALU_DEP_1) | instskip(NEXT) | instid1(VALU_DEP_1)
	v_lshl_add_u32 v8, v9, 9, v8
	v_dual_sub_nc_u32 v25, v10, v23 :: v_dual_sub_nc_u32 v27, v10, v8
	s_delay_alu instid0(VALU_DEP_1) | instskip(SKIP_1) | instid1(VALU_DEP_1)
	v_cmp_lt_i32_e32 vcc_lo, 15, v25
	v_add_co_ci_u32_e64 v11, null, 0, v11, vcc_lo
	v_sub_nc_u32_e32 v26, v11, v9
	s_delay_alu instid0(VALU_DEP_4)
	v_cmpx_lt_i32_e32 15, v27
	s_cbranch_execz .LBB10_526
; %bb.491:                              ;   in Loop: Header=BB10_278 Depth=3
	s_trap 2
	ds_load_b64 v[10:11], v0
	v_add_nc_u32_e32 v8, v8, v22
	s_mov_b32 s61, 0
	s_delay_alu instid0(VALU_DEP_1) | instskip(NEXT) | instid1(VALU_DEP_1)
	v_ashrrev_i32_e32 v9, 31, v8
	v_add_nc_u64_e32 v[16:17], v[8:9], v[88:89]
	v_add_nc_u64_e32 v[20:21], v[8:9], v[90:91]
	s_wait_dscnt 0x0
	v_add_nc_u64_e32 v[18:19], v[10:11], v[8:9]
	s_branch .LBB10_493
.LBB10_492:                             ;   in Loop: Header=BB10_493 Depth=4
	s_or_b32 exec_lo, exec_lo, s62
	v_dual_lshrrev_b32 v12, 16, v12 :: v_dual_lshrrev_b32 v13, 16, v13
	v_dual_lshrrev_b32 v15, 16, v32 :: v_dual_lshrrev_b32 v14, 16, v14
	v_dual_sub_nc_u32 v27, v27, v102 :: v_dual_sub_nc_u32 v26, v26, v84
	s_delay_alu instid0(VALU_DEP_3) | instskip(NEXT) | instid1(VALU_DEP_3)
	v_and_or_b32 v9, 0xffff0000, v9, v12
	v_and_or_b32 v8, 0xffff0000, v8, v15
	;; [unrolled: 1-line block ×4, first 2 shown]
	v_add_nc_u64_e32 v[16:17], v[16:17], v[102:103]
	v_add_nc_u64_e32 v[18:19], v[18:19], v[102:103]
	v_cmp_gt_i32_e64 s13, 16, v27
	global_store_b128 v[20:21], v[8:11], off th:TH_STORE_NT
	s_wait_xcnt 0x0
	v_add_nc_u64_e32 v[20:21], v[20:21], v[102:103]
	s_or_b32 s61, s13, s61
	s_delay_alu instid0(SALU_CYCLE_1)
	s_and_not1_b32 exec_lo, exec_lo, s61
	s_cbranch_execz .LBB10_525
.LBB10_493:                             ;   Parent Loop BB10_47 Depth=1
                                        ;     Parent Loop BB10_275 Depth=2
                                        ;       Parent Loop BB10_278 Depth=3
                                        ; =>      This Inner Loop Header: Depth=4
	global_load_b128 v[8:11], v[18:19], off th:TH_LOAD_NT
	global_load_b128 v[12:15], v[16:17], off th:TH_LOAD_NT
	s_wait_loadcnt 0x1
	v_lshlrev_b32_e32 v32, 16, v8
	s_wait_loadcnt 0x0
	v_lshlrev_b32_e32 v33, 16, v12
	s_delay_alu instid0(VALU_DEP_1) | instskip(NEXT) | instid1(VALU_DEP_1)
	v_mul_f32_e32 v33, v33, v32
	v_and_b32_e32 v32, 0x7f800000, v33
	s_delay_alu instid0(VALU_DEP_1) | instskip(SKIP_2) | instid1(SALU_CYCLE_1)
	v_cmp_ne_u32_e64 s13, 0x7f800000, v32
                                        ; implicit-def: $vgpr32
	s_wait_xcnt 0x0
	s_and_saveexec_b32 s62, s13
	s_xor_b32 s13, exec_lo, s62
; %bb.494:                              ;   in Loop: Header=BB10_493 Depth=4
	v_bfe_u32 v32, v33, 16, 1
	s_delay_alu instid0(VALU_DEP_1)
	v_add3_u32 v32, v33, v32, 0x7fff
                                        ; implicit-def: $vgpr33
; %bb.495:                              ;   in Loop: Header=BB10_493 Depth=4
	s_and_not1_saveexec_b32 s62, s13
; %bb.496:                              ;   in Loop: Header=BB10_493 Depth=4
	v_and_b32_e32 v32, 0xffff, v33
	v_or_b32_e32 v34, 0x10000, v33
	s_delay_alu instid0(VALU_DEP_2) | instskip(NEXT) | instid1(VALU_DEP_1)
	v_cmp_eq_u32_e64 s13, 0, v32
	v_cndmask_b32_e64 v32, v34, v33, s13
; %bb.497:                              ;   in Loop: Header=BB10_493 Depth=4
	s_or_b32 exec_lo, exec_lo, s62
	v_and_b32_e32 v8, 0xffff0000, v8
	v_and_b32_e32 v12, 0xffff0000, v12
	s_delay_alu instid0(VALU_DEP_1) | instskip(NEXT) | instid1(VALU_DEP_1)
	v_mul_f32_e32 v12, v12, v8
	v_and_b32_e32 v8, 0x7f800000, v12
	s_delay_alu instid0(VALU_DEP_1) | instskip(SKIP_1) | instid1(SALU_CYCLE_1)
	v_cmp_ne_u32_e64 s13, 0x7f800000, v8
                                        ; implicit-def: $vgpr8
	s_and_saveexec_b32 s62, s13
	s_xor_b32 s13, exec_lo, s62
; %bb.498:                              ;   in Loop: Header=BB10_493 Depth=4
	v_bfe_u32 v8, v12, 16, 1
	s_delay_alu instid0(VALU_DEP_1)
	v_add3_u32 v8, v12, v8, 0x7fff
                                        ; implicit-def: $vgpr12
; %bb.499:                              ;   in Loop: Header=BB10_493 Depth=4
	s_and_not1_saveexec_b32 s62, s13
; %bb.500:                              ;   in Loop: Header=BB10_493 Depth=4
	v_and_b32_e32 v8, 0xffff, v12
	v_or_b32_e32 v33, 0x10000, v12
	s_delay_alu instid0(VALU_DEP_2) | instskip(NEXT) | instid1(VALU_DEP_1)
	v_cmp_eq_u32_e64 s13, 0, v8
	v_cndmask_b32_e64 v8, v33, v12, s13
; %bb.501:                              ;   in Loop: Header=BB10_493 Depth=4
	s_or_b32 exec_lo, exec_lo, s62
	v_lshlrev_b32_e32 v12, 16, v9
	v_lshlrev_b32_e32 v33, 16, v13
	s_delay_alu instid0(VALU_DEP_1) | instskip(NEXT) | instid1(VALU_DEP_1)
	v_mul_f32_e32 v33, v33, v12
	v_and_b32_e32 v12, 0x7f800000, v33
	s_delay_alu instid0(VALU_DEP_1) | instskip(SKIP_1) | instid1(SALU_CYCLE_1)
	v_cmp_ne_u32_e64 s13, 0x7f800000, v12
                                        ; implicit-def: $vgpr12
	s_and_saveexec_b32 s62, s13
	s_xor_b32 s13, exec_lo, s62
; %bb.502:                              ;   in Loop: Header=BB10_493 Depth=4
	v_bfe_u32 v12, v33, 16, 1
	s_delay_alu instid0(VALU_DEP_1)
	v_add3_u32 v12, v33, v12, 0x7fff
                                        ; implicit-def: $vgpr33
; %bb.503:                              ;   in Loop: Header=BB10_493 Depth=4
	s_and_not1_saveexec_b32 s62, s13
; %bb.504:                              ;   in Loop: Header=BB10_493 Depth=4
	v_and_b32_e32 v12, 0xffff, v33
	v_or_b32_e32 v34, 0x10000, v33
	s_delay_alu instid0(VALU_DEP_2) | instskip(NEXT) | instid1(VALU_DEP_1)
	v_cmp_eq_u32_e64 s13, 0, v12
	v_cndmask_b32_e64 v12, v34, v33, s13
; %bb.505:                              ;   in Loop: Header=BB10_493 Depth=4
	s_or_b32 exec_lo, exec_lo, s62
	v_and_b32_e32 v13, 0xffff0000, v13
	v_and_b32_e32 v9, 0xffff0000, v9
	s_delay_alu instid0(VALU_DEP_1) | instskip(NEXT) | instid1(VALU_DEP_1)
	v_mul_f32_e32 v13, v13, v9
	v_and_b32_e32 v9, 0x7f800000, v13
	s_delay_alu instid0(VALU_DEP_1) | instskip(SKIP_1) | instid1(SALU_CYCLE_1)
	v_cmp_ne_u32_e64 s13, 0x7f800000, v9
                                        ; implicit-def: $vgpr9
	s_and_saveexec_b32 s62, s13
	s_xor_b32 s13, exec_lo, s62
; %bb.506:                              ;   in Loop: Header=BB10_493 Depth=4
	v_bfe_u32 v9, v13, 16, 1
	s_delay_alu instid0(VALU_DEP_1)
	v_add3_u32 v9, v13, v9, 0x7fff
                                        ; implicit-def: $vgpr13
; %bb.507:                              ;   in Loop: Header=BB10_493 Depth=4
	s_and_not1_saveexec_b32 s62, s13
; %bb.508:                              ;   in Loop: Header=BB10_493 Depth=4
	v_and_b32_e32 v9, 0xffff, v13
	v_or_b32_e32 v33, 0x10000, v13
	s_delay_alu instid0(VALU_DEP_2) | instskip(NEXT) | instid1(VALU_DEP_1)
	v_cmp_eq_u32_e64 s13, 0, v9
	v_cndmask_b32_e64 v9, v33, v13, s13
; %bb.509:                              ;   in Loop: Header=BB10_493 Depth=4
	s_or_b32 exec_lo, exec_lo, s62
	v_lshlrev_b32_e32 v13, 16, v10
	v_lshlrev_b32_e32 v33, 16, v14
	s_delay_alu instid0(VALU_DEP_1) | instskip(NEXT) | instid1(VALU_DEP_1)
	v_mul_f32_e32 v33, v33, v13
	v_and_b32_e32 v13, 0x7f800000, v33
	s_delay_alu instid0(VALU_DEP_1) | instskip(SKIP_1) | instid1(SALU_CYCLE_1)
	v_cmp_ne_u32_e64 s13, 0x7f800000, v13
                                        ; implicit-def: $vgpr13
	s_and_saveexec_b32 s62, s13
	s_xor_b32 s13, exec_lo, s62
; %bb.510:                              ;   in Loop: Header=BB10_493 Depth=4
	v_bfe_u32 v13, v33, 16, 1
	s_delay_alu instid0(VALU_DEP_1)
	v_add3_u32 v13, v33, v13, 0x7fff
                                        ; implicit-def: $vgpr33
; %bb.511:                              ;   in Loop: Header=BB10_493 Depth=4
	s_and_not1_saveexec_b32 s62, s13
; %bb.512:                              ;   in Loop: Header=BB10_493 Depth=4
	v_and_b32_e32 v13, 0xffff, v33
	v_or_b32_e32 v34, 0x10000, v33
	s_delay_alu instid0(VALU_DEP_2) | instskip(NEXT) | instid1(VALU_DEP_1)
	v_cmp_eq_u32_e64 s13, 0, v13
	v_cndmask_b32_e64 v13, v34, v33, s13
; %bb.513:                              ;   in Loop: Header=BB10_493 Depth=4
	s_or_b32 exec_lo, exec_lo, s62
	v_and_b32_e32 v14, 0xffff0000, v14
	v_and_b32_e32 v10, 0xffff0000, v10
	s_delay_alu instid0(VALU_DEP_1) | instskip(NEXT) | instid1(VALU_DEP_1)
	v_mul_f32_e32 v14, v14, v10
	v_and_b32_e32 v10, 0x7f800000, v14
	s_delay_alu instid0(VALU_DEP_1) | instskip(SKIP_1) | instid1(SALU_CYCLE_1)
	v_cmp_ne_u32_e64 s13, 0x7f800000, v10
                                        ; implicit-def: $vgpr10
	s_and_saveexec_b32 s62, s13
	s_xor_b32 s13, exec_lo, s62
; %bb.514:                              ;   in Loop: Header=BB10_493 Depth=4
	v_bfe_u32 v10, v14, 16, 1
	s_delay_alu instid0(VALU_DEP_1)
	v_add3_u32 v10, v14, v10, 0x7fff
                                        ; implicit-def: $vgpr14
; %bb.515:                              ;   in Loop: Header=BB10_493 Depth=4
	s_and_not1_saveexec_b32 s62, s13
; %bb.516:                              ;   in Loop: Header=BB10_493 Depth=4
	v_and_b32_e32 v10, 0xffff, v14
	v_or_b32_e32 v33, 0x10000, v14
	s_delay_alu instid0(VALU_DEP_2) | instskip(NEXT) | instid1(VALU_DEP_1)
	v_cmp_eq_u32_e64 s13, 0, v10
	v_cndmask_b32_e64 v10, v33, v14, s13
; %bb.517:                              ;   in Loop: Header=BB10_493 Depth=4
	s_or_b32 exec_lo, exec_lo, s62
	v_lshlrev_b32_e32 v14, 16, v11
	v_lshlrev_b32_e32 v33, 16, v15
	s_delay_alu instid0(VALU_DEP_1) | instskip(NEXT) | instid1(VALU_DEP_1)
	v_mul_f32_e32 v33, v33, v14
	v_and_b32_e32 v14, 0x7f800000, v33
	s_delay_alu instid0(VALU_DEP_1) | instskip(SKIP_1) | instid1(SALU_CYCLE_1)
	v_cmp_ne_u32_e64 s13, 0x7f800000, v14
                                        ; implicit-def: $vgpr14
	s_and_saveexec_b32 s62, s13
	s_xor_b32 s13, exec_lo, s62
; %bb.518:                              ;   in Loop: Header=BB10_493 Depth=4
	v_bfe_u32 v14, v33, 16, 1
	s_delay_alu instid0(VALU_DEP_1)
	v_add3_u32 v14, v33, v14, 0x7fff
                                        ; implicit-def: $vgpr33
; %bb.519:                              ;   in Loop: Header=BB10_493 Depth=4
	s_and_not1_saveexec_b32 s62, s13
; %bb.520:                              ;   in Loop: Header=BB10_493 Depth=4
	v_and_b32_e32 v14, 0xffff, v33
	v_or_b32_e32 v34, 0x10000, v33
	s_delay_alu instid0(VALU_DEP_2) | instskip(NEXT) | instid1(VALU_DEP_1)
	v_cmp_eq_u32_e64 s13, 0, v14
	v_cndmask_b32_e64 v14, v34, v33, s13
; %bb.521:                              ;   in Loop: Header=BB10_493 Depth=4
	s_or_b32 exec_lo, exec_lo, s62
	v_and_b32_e32 v15, 0xffff0000, v15
	v_and_b32_e32 v11, 0xffff0000, v11
	s_delay_alu instid0(VALU_DEP_1) | instskip(NEXT) | instid1(VALU_DEP_1)
	v_mul_f32_e32 v15, v15, v11
	v_and_b32_e32 v11, 0x7f800000, v15
	s_delay_alu instid0(VALU_DEP_1) | instskip(SKIP_1) | instid1(SALU_CYCLE_1)
	v_cmp_ne_u32_e64 s13, 0x7f800000, v11
                                        ; implicit-def: $vgpr11
	s_and_saveexec_b32 s62, s13
	s_xor_b32 s13, exec_lo, s62
; %bb.522:                              ;   in Loop: Header=BB10_493 Depth=4
	v_bfe_u32 v11, v15, 16, 1
	s_delay_alu instid0(VALU_DEP_1)
	v_add3_u32 v11, v15, v11, 0x7fff
                                        ; implicit-def: $vgpr15
; %bb.523:                              ;   in Loop: Header=BB10_493 Depth=4
	s_and_not1_saveexec_b32 s62, s13
	s_cbranch_execz .LBB10_492
; %bb.524:                              ;   in Loop: Header=BB10_493 Depth=4
	v_and_b32_e32 v11, 0xffff, v15
	v_or_b32_e32 v33, 0x10000, v15
	s_delay_alu instid0(VALU_DEP_2) | instskip(NEXT) | instid1(VALU_DEP_1)
	v_cmp_eq_u32_e64 s13, 0, v11
	v_cndmask_b32_e64 v11, v33, v15, s13
	s_branch .LBB10_492
.LBB10_525:                             ;   in Loop: Header=BB10_278 Depth=3
	s_or_b32 exec_lo, exec_lo, s61
.LBB10_526:                             ;   in Loop: Header=BB10_278 Depth=3
	s_delay_alu instid0(SALU_CYCLE_1) | instskip(SKIP_3) | instid1(VALU_DEP_1)
	s_or_b32 exec_lo, exec_lo, s60
	v_dual_mov_b32 v14, 0 :: v_dual_bitop2_b32 v9, 14, v75 bitop3:0x40
	s_mov_b32 s60, 0
	s_mov_b32 s61, exec_lo
                                        ; implicit-def: $vgpr15
                                        ; implicit-def: $vgpr8
	v_cndmask_b32_e32 v75, v25, v9, vcc_lo
	s_delay_alu instid0(VALU_DEP_1)
	v_cmpx_ne_u32_e32 0, v75
	s_cbranch_execz .LBB10_528
; %bb.527:                              ;   in Loop: Header=BB10_278 Depth=3
	v_cmp_lt_i32_e64 s13, 0, v26
	s_mov_b32 s60, exec_lo
	v_dual_sub_nc_u32 v9, v25, v9 :: v_dual_cndmask_b32 v8, 0, v84, s13
	s_delay_alu instid0(VALU_DEP_1) | instskip(NEXT) | instid1(VALU_DEP_1)
	v_dual_cndmask_b32 v9, 0, v9 :: v_dual_sub_nc_u32 v8, v8, v26
	v_add3_u32 v14, v23, v22, v9
	s_delay_alu instid0(VALU_DEP_2) | instskip(NEXT) | instid1(VALU_DEP_1)
	v_lshl_add_u32 v15, v8, 5, v24
	v_ashrrev_i32_e32 v8, 31, v15
	s_delay_alu instid0(VALU_DEP_1) | instskip(NEXT) | instid1(VALU_DEP_1)
	v_lshrrev_b32_e32 v8, 27, v8
	v_add_nc_u32_e32 v8, v15, v8
	s_delay_alu instid0(VALU_DEP_1)
	v_ashrrev_i32_e32 v8, 5, v8
.LBB10_528:                             ;   in Loop: Header=BB10_278 Depth=3
	s_or_b32 exec_lo, exec_lo, s61
	s_delay_alu instid0(SALU_CYCLE_1)
	s_and_b32 s60, s60, exec_lo
.LBB10_529:                             ;   in Loop: Header=BB10_278 Depth=3
	s_or_b32 exec_lo, exec_lo, s41
	s_and_saveexec_b32 s13, s60
	s_cbranch_execz .LBB10_606
.LBB10_530:                             ;   in Loop: Header=BB10_278 Depth=3
	v_ashrrev_i32_e32 v9, 31, v75
	s_mov_b32 s41, exec_lo
	s_delay_alu instid0(VALU_DEP_1) | instskip(NEXT) | instid1(VALU_DEP_1)
	v_lshrrev_b32_e32 v9, 22, v9
	v_add_nc_u32_e32 v9, v75, v9
	s_delay_alu instid0(VALU_DEP_1) | instskip(NEXT) | instid1(VALU_DEP_1)
	v_dual_ashrrev_i32 v18, 10, v9 :: v_dual_ashrrev_i32 v9, 31, v15
	v_dual_sub_nc_u32 v16, v18, v8 :: v_dual_lshrrev_b32 v17, 27, v9
	s_delay_alu instid0(VALU_DEP_1)
	v_cmpx_lt_i32_e32 0, v16
	s_cbranch_execz .LBB10_598
; %bb.531:                              ;   in Loop: Header=BB10_278 Depth=3
	s_delay_alu instid0(VALU_DEP_2)
	v_dual_add_nc_u32 v9, v15, v17 :: v_dual_lshlrev_b32 v8, 10, v8
	s_trap 2
	ds_load_b64 v[10:11], v0
	v_add_nc_u64_e32 v[20:21], 0x3c0, v[90:91]
	v_and_b32_e32 v9, 0x7fffffe0, v9
	s_mov_b32 s60, 0
	s_delay_alu instid0(VALU_DEP_1) | instskip(NEXT) | instid1(VALU_DEP_1)
	v_sub_nc_u32_e32 v9, v15, v9
	v_lshlrev_b32_e32 v9, 1, v9
	s_delay_alu instid0(VALU_DEP_1) | instskip(NEXT) | instid1(VALU_DEP_1)
	v_add3_u32 v12, v9, v14, v8
	v_ashrrev_i32_e32 v13, 31, v12
	s_delay_alu instid0(VALU_DEP_1)
	v_add_nc_u64_e32 v[8:9], v[12:13], v[88:89]
	s_wait_dscnt 0x0
	v_add_nc_u64_e32 v[10:11], v[10:11], v[12:13]
	v_add_nc_u64_e32 v[12:13], v[20:21], v[12:13]
	s_branch .LBB10_533
.LBB10_532:                             ;   in Loop: Header=BB10_533 Depth=4
	s_or_b32 exec_lo, exec_lo, s61
	v_sub_nc_u32_e32 v16, v16, v84
	s_clause 0xf
	flat_store_d16_hi_b16 v[12:13], v19 offset:-960 th:TH_STORE_NT
	flat_store_d16_hi_b16 v[12:13], v22 offset:-896 th:TH_STORE_NT
	;; [unrolled: 1-line block ×15, first 2 shown]
	flat_store_d16_hi_b16 v[12:13], v20 th:TH_STORE_NT
	v_add_nc_u64_e32 v[8:9], v[8:9], v[112:113]
	v_add_nc_u64_e32 v[10:11], v[10:11], v[112:113]
	v_cmp_gt_i32_e32 vcc_lo, 1, v16
	s_wait_xcnt 0x0
	v_add_nc_u64_e32 v[12:13], v[12:13], v[112:113]
	s_or_b32 s60, vcc_lo, s60
	s_delay_alu instid0(SALU_CYCLE_1)
	s_and_not1_b32 exec_lo, exec_lo, s60
	s_cbranch_execz .LBB10_597
.LBB10_533:                             ;   Parent Loop BB10_47 Depth=1
                                        ;     Parent Loop BB10_275 Depth=2
                                        ;       Parent Loop BB10_278 Depth=3
                                        ; =>      This Inner Loop Header: Depth=4
	s_clause 0x6
	flat_load_u16 v25, v[8:9] offset:128 th:TH_LOAD_NT
	flat_load_u16 v32, v[8:9] offset:192 th:TH_LOAD_NT
	;; [unrolled: 1-line block ×6, first 2 shown]
	flat_load_u16 v19, v[8:9] th:TH_LOAD_NT
	s_clause 0x6
	flat_load_u16 v105, v[10:11] offset:128 th:TH_LOAD_NT
	flat_load_u16 v104, v[10:11] offset:192 th:TH_LOAD_NT
	;; [unrolled: 1-line block ×6, first 2 shown]
	flat_load_u16 v96, v[10:11] th:TH_LOAD_NT
	flat_load_u16 v22, v[8:9] offset:64 th:TH_LOAD_NT
	flat_load_u16 v106, v[10:11] offset:64 th:TH_LOAD_NT
	s_clause 0x7
	flat_load_u16 v53, v[8:9] offset:512 th:TH_LOAD_NT
	flat_load_u16 v50, v[8:9] offset:576 th:TH_LOAD_NT
	;; [unrolled: 1-line block ×8, first 2 shown]
	s_clause 0x7
	flat_load_u16 v77, v[10:11] offset:512 th:TH_LOAD_NT
	flat_load_u16 v51, v[10:11] offset:576 th:TH_LOAD_NT
	;; [unrolled: 1-line block ×8, first 2 shown]
	s_wait_loadcnt_dscnt 0x1212
	v_dual_lshlrev_b32 v19, 16, v19 :: v_dual_lshlrev_b32 v96, 16, v96
	s_delay_alu instid0(VALU_DEP_1) | instskip(NEXT) | instid1(VALU_DEP_1)
	v_mul_f32_e32 v107, v96, v19
	v_and_b32_e32 v19, 0x7f800000, v107
	s_delay_alu instid0(VALU_DEP_1) | instskip(SKIP_2) | instid1(SALU_CYCLE_1)
	v_cmp_ne_u32_e32 vcc_lo, 0x7f800000, v19
                                        ; implicit-def: $vgpr19
	s_wait_xcnt 0x0
	s_and_saveexec_b32 s61, vcc_lo
	s_xor_b32 s61, exec_lo, s61
; %bb.534:                              ;   in Loop: Header=BB10_533 Depth=4
	v_bfe_u32 v19, v107, 16, 1
	s_delay_alu instid0(VALU_DEP_1)
	v_add3_u32 v19, v107, v19, 0x7fff
                                        ; implicit-def: $vgpr107
; %bb.535:                              ;   in Loop: Header=BB10_533 Depth=4
	s_and_not1_saveexec_b32 s61, s61
; %bb.536:                              ;   in Loop: Header=BB10_533 Depth=4
	v_and_b32_e32 v19, 0xffff, v107
	v_or_b32_e32 v96, 0x10000, v107
	s_delay_alu instid0(VALU_DEP_2) | instskip(NEXT) | instid1(VALU_DEP_2)
	v_cmp_eq_u32_e32 vcc_lo, 0, v19
	v_cndmask_b32_e32 v19, v96, v107, vcc_lo
; %bb.537:                              ;   in Loop: Header=BB10_533 Depth=4
	s_or_b32 exec_lo, exec_lo, s61
	s_wait_loadcnt_dscnt 0x1111
	v_lshlrev_b32_e32 v22, 16, v22
	s_wait_loadcnt_dscnt 0x1010
	v_lshlrev_b32_e32 v96, 16, v106
	s_delay_alu instid0(VALU_DEP_1) | instskip(NEXT) | instid1(VALU_DEP_1)
	v_mul_f32_e32 v106, v96, v22
	v_and_b32_e32 v22, 0x7f800000, v106
	s_delay_alu instid0(VALU_DEP_1) | instskip(SKIP_1) | instid1(SALU_CYCLE_1)
	v_cmp_ne_u32_e32 vcc_lo, 0x7f800000, v22
                                        ; implicit-def: $vgpr22
	s_and_saveexec_b32 s61, vcc_lo
	s_xor_b32 s61, exec_lo, s61
; %bb.538:                              ;   in Loop: Header=BB10_533 Depth=4
	v_bfe_u32 v22, v106, 16, 1
	s_delay_alu instid0(VALU_DEP_1)
	v_add3_u32 v22, v106, v22, 0x7fff
                                        ; implicit-def: $vgpr106
; %bb.539:                              ;   in Loop: Header=BB10_533 Depth=4
	s_and_not1_saveexec_b32 s61, s61
; %bb.540:                              ;   in Loop: Header=BB10_533 Depth=4
	v_and_b32_e32 v22, 0xffff, v106
	v_or_b32_e32 v96, 0x10000, v106
	s_delay_alu instid0(VALU_DEP_2) | instskip(NEXT) | instid1(VALU_DEP_2)
	v_cmp_eq_u32_e32 vcc_lo, 0, v22
	v_cndmask_b32_e32 v22, v96, v106, vcc_lo
; %bb.541:                              ;   in Loop: Header=BB10_533 Depth=4
	s_or_b32 exec_lo, exec_lo, s61
	v_lshlrev_b32_e32 v25, 16, v25
	v_lshlrev_b32_e32 v96, 16, v105
	s_delay_alu instid0(VALU_DEP_1) | instskip(NEXT) | instid1(VALU_DEP_1)
	v_mul_f32_e32 v105, v96, v25
	v_and_b32_e32 v25, 0x7f800000, v105
	s_delay_alu instid0(VALU_DEP_1) | instskip(SKIP_1) | instid1(SALU_CYCLE_1)
	v_cmp_ne_u32_e32 vcc_lo, 0x7f800000, v25
                                        ; implicit-def: $vgpr25
	s_and_saveexec_b32 s61, vcc_lo
	s_xor_b32 s61, exec_lo, s61
; %bb.542:                              ;   in Loop: Header=BB10_533 Depth=4
	v_bfe_u32 v25, v105, 16, 1
	s_delay_alu instid0(VALU_DEP_1)
	v_add3_u32 v25, v105, v25, 0x7fff
                                        ; implicit-def: $vgpr105
; %bb.543:                              ;   in Loop: Header=BB10_533 Depth=4
	s_and_not1_saveexec_b32 s61, s61
; %bb.544:                              ;   in Loop: Header=BB10_533 Depth=4
	v_and_b32_e32 v25, 0xffff, v105
	v_or_b32_e32 v96, 0x10000, v105
	s_delay_alu instid0(VALU_DEP_2) | instskip(NEXT) | instid1(VALU_DEP_2)
	v_cmp_eq_u32_e32 vcc_lo, 0, v25
	v_cndmask_b32_e32 v25, v96, v105, vcc_lo
; %bb.545:                              ;   in Loop: Header=BB10_533 Depth=4
	s_or_b32 exec_lo, exec_lo, s61
	v_lshlrev_b32_e32 v32, 16, v32
	v_lshlrev_b32_e32 v96, 16, v104
	s_delay_alu instid0(VALU_DEP_1) | instskip(NEXT) | instid1(VALU_DEP_1)
	v_mul_f32_e32 v104, v96, v32
	v_and_b32_e32 v32, 0x7f800000, v104
	s_delay_alu instid0(VALU_DEP_1) | instskip(SKIP_1) | instid1(SALU_CYCLE_1)
	v_cmp_ne_u32_e32 vcc_lo, 0x7f800000, v32
                                        ; implicit-def: $vgpr32
	s_and_saveexec_b32 s61, vcc_lo
	s_xor_b32 s61, exec_lo, s61
; %bb.546:                              ;   in Loop: Header=BB10_533 Depth=4
	v_bfe_u32 v32, v104, 16, 1
	s_delay_alu instid0(VALU_DEP_1)
	v_add3_u32 v32, v104, v32, 0x7fff
                                        ; implicit-def: $vgpr104
; %bb.547:                              ;   in Loop: Header=BB10_533 Depth=4
	s_and_not1_saveexec_b32 s61, s61
; %bb.548:                              ;   in Loop: Header=BB10_533 Depth=4
	v_and_b32_e32 v32, 0xffff, v104
	v_or_b32_e32 v96, 0x10000, v104
	s_delay_alu instid0(VALU_DEP_2) | instskip(NEXT) | instid1(VALU_DEP_2)
	v_cmp_eq_u32_e32 vcc_lo, 0, v32
	v_cndmask_b32_e32 v32, v96, v104, vcc_lo
; %bb.549:                              ;   in Loop: Header=BB10_533 Depth=4
	s_or_b32 exec_lo, exec_lo, s61
	v_lshlrev_b32_e32 v35, 16, v35
	v_lshlrev_b32_e32 v96, 16, v95
	s_delay_alu instid0(VALU_DEP_1) | instskip(NEXT) | instid1(VALU_DEP_1)
	v_mul_f32_e32 v95, v96, v35
	v_and_b32_e32 v35, 0x7f800000, v95
	s_delay_alu instid0(VALU_DEP_1) | instskip(SKIP_1) | instid1(SALU_CYCLE_1)
	v_cmp_ne_u32_e32 vcc_lo, 0x7f800000, v35
                                        ; implicit-def: $vgpr35
	s_and_saveexec_b32 s61, vcc_lo
	s_xor_b32 s61, exec_lo, s61
; %bb.550:                              ;   in Loop: Header=BB10_533 Depth=4
	v_bfe_u32 v35, v95, 16, 1
	s_delay_alu instid0(VALU_DEP_1)
	v_add3_u32 v35, v95, v35, 0x7fff
                                        ; implicit-def: $vgpr95
; %bb.551:                              ;   in Loop: Header=BB10_533 Depth=4
	s_and_not1_saveexec_b32 s61, s61
; %bb.552:                              ;   in Loop: Header=BB10_533 Depth=4
	v_and_b32_e32 v35, 0xffff, v95
	v_or_b32_e32 v96, 0x10000, v95
	s_delay_alu instid0(VALU_DEP_2) | instskip(NEXT) | instid1(VALU_DEP_2)
	v_cmp_eq_u32_e32 vcc_lo, 0, v35
	v_cndmask_b32_e32 v35, v96, v95, vcc_lo
; %bb.553:                              ;   in Loop: Header=BB10_533 Depth=4
	s_or_b32 exec_lo, exec_lo, s61
	v_lshlrev_b32_e32 v38, 16, v38
	v_lshlrev_b32_e32 v96, 16, v94
	s_delay_alu instid0(VALU_DEP_1) | instskip(NEXT) | instid1(VALU_DEP_1)
	v_mul_f32_e32 v94, v96, v38
	v_and_b32_e32 v38, 0x7f800000, v94
	s_delay_alu instid0(VALU_DEP_1) | instskip(SKIP_1) | instid1(SALU_CYCLE_1)
	v_cmp_ne_u32_e32 vcc_lo, 0x7f800000, v38
                                        ; implicit-def: $vgpr38
	s_and_saveexec_b32 s61, vcc_lo
	s_xor_b32 s61, exec_lo, s61
; %bb.554:                              ;   in Loop: Header=BB10_533 Depth=4
	v_bfe_u32 v38, v94, 16, 1
	s_delay_alu instid0(VALU_DEP_1)
	v_add3_u32 v38, v94, v38, 0x7fff
                                        ; implicit-def: $vgpr94
; %bb.555:                              ;   in Loop: Header=BB10_533 Depth=4
	s_and_not1_saveexec_b32 s61, s61
; %bb.556:                              ;   in Loop: Header=BB10_533 Depth=4
	v_and_b32_e32 v38, 0xffff, v94
	v_or_b32_e32 v96, 0x10000, v94
	s_delay_alu instid0(VALU_DEP_2) | instskip(NEXT) | instid1(VALU_DEP_2)
	v_cmp_eq_u32_e32 vcc_lo, 0, v38
	v_cndmask_b32_e32 v38, v96, v94, vcc_lo
; %bb.557:                              ;   in Loop: Header=BB10_533 Depth=4
	s_or_b32 exec_lo, exec_lo, s61
	v_lshlrev_b32_e32 v49, 16, v49
	v_lshlrev_b32_e32 v96, 16, v93
	s_delay_alu instid0(VALU_DEP_1) | instskip(NEXT) | instid1(VALU_DEP_1)
	v_mul_f32_e32 v93, v96, v49
	v_and_b32_e32 v49, 0x7f800000, v93
	s_delay_alu instid0(VALU_DEP_1) | instskip(SKIP_1) | instid1(SALU_CYCLE_1)
	v_cmp_ne_u32_e32 vcc_lo, 0x7f800000, v49
                                        ; implicit-def: $vgpr49
	s_and_saveexec_b32 s61, vcc_lo
	s_xor_b32 s61, exec_lo, s61
; %bb.558:                              ;   in Loop: Header=BB10_533 Depth=4
	v_bfe_u32 v49, v93, 16, 1
	s_delay_alu instid0(VALU_DEP_1)
	v_add3_u32 v49, v93, v49, 0x7fff
                                        ; implicit-def: $vgpr93
; %bb.559:                              ;   in Loop: Header=BB10_533 Depth=4
	s_and_not1_saveexec_b32 s61, s61
; %bb.560:                              ;   in Loop: Header=BB10_533 Depth=4
	v_and_b32_e32 v49, 0xffff, v93
	v_or_b32_e32 v96, 0x10000, v93
	s_delay_alu instid0(VALU_DEP_2) | instskip(NEXT) | instid1(VALU_DEP_2)
	v_cmp_eq_u32_e32 vcc_lo, 0, v49
	v_cndmask_b32_e32 v49, v96, v93, vcc_lo
; %bb.561:                              ;   in Loop: Header=BB10_533 Depth=4
	s_or_b32 exec_lo, exec_lo, s61
	v_lshlrev_b32_e32 v52, 16, v52
	v_lshlrev_b32_e32 v96, 16, v92
	s_delay_alu instid0(VALU_DEP_1) | instskip(NEXT) | instid1(VALU_DEP_1)
	v_mul_f32_e32 v92, v96, v52
	v_and_b32_e32 v52, 0x7f800000, v92
	s_delay_alu instid0(VALU_DEP_1) | instskip(SKIP_1) | instid1(SALU_CYCLE_1)
	v_cmp_ne_u32_e32 vcc_lo, 0x7f800000, v52
                                        ; implicit-def: $vgpr52
	s_and_saveexec_b32 s61, vcc_lo
	s_xor_b32 s61, exec_lo, s61
; %bb.562:                              ;   in Loop: Header=BB10_533 Depth=4
	v_bfe_u32 v52, v92, 16, 1
	s_delay_alu instid0(VALU_DEP_1)
	v_add3_u32 v52, v92, v52, 0x7fff
                                        ; implicit-def: $vgpr92
; %bb.563:                              ;   in Loop: Header=BB10_533 Depth=4
	s_and_not1_saveexec_b32 s61, s61
; %bb.564:                              ;   in Loop: Header=BB10_533 Depth=4
	v_and_b32_e32 v52, 0xffff, v92
	v_or_b32_e32 v96, 0x10000, v92
	s_delay_alu instid0(VALU_DEP_2) | instskip(NEXT) | instid1(VALU_DEP_2)
	v_cmp_eq_u32_e32 vcc_lo, 0, v52
	v_cndmask_b32_e32 v52, v96, v92, vcc_lo
; %bb.565:                              ;   in Loop: Header=BB10_533 Depth=4
	s_or_b32 exec_lo, exec_lo, s61
	s_wait_loadcnt_dscnt 0xf0f
	v_lshlrev_b32_e32 v53, 16, v53
	s_wait_loadcnt_dscnt 0x707
	v_lshlrev_b32_e32 v96, 16, v77
	s_delay_alu instid0(VALU_DEP_1) | instskip(NEXT) | instid1(VALU_DEP_1)
	v_mul_f32_e32 v77, v96, v53
	v_and_b32_e32 v53, 0x7f800000, v77
	s_delay_alu instid0(VALU_DEP_1) | instskip(SKIP_1) | instid1(SALU_CYCLE_1)
	v_cmp_ne_u32_e32 vcc_lo, 0x7f800000, v53
                                        ; implicit-def: $vgpr53
	s_and_saveexec_b32 s61, vcc_lo
	s_xor_b32 s61, exec_lo, s61
; %bb.566:                              ;   in Loop: Header=BB10_533 Depth=4
	v_bfe_u32 v53, v77, 16, 1
	s_delay_alu instid0(VALU_DEP_1)
	v_add3_u32 v53, v77, v53, 0x7fff
                                        ; implicit-def: $vgpr77
; %bb.567:                              ;   in Loop: Header=BB10_533 Depth=4
	s_and_not1_saveexec_b32 s61, s61
; %bb.568:                              ;   in Loop: Header=BB10_533 Depth=4
	v_and_b32_e32 v53, 0xffff, v77
	v_or_b32_e32 v96, 0x10000, v77
	s_delay_alu instid0(VALU_DEP_2) | instskip(NEXT) | instid1(VALU_DEP_2)
	v_cmp_eq_u32_e32 vcc_lo, 0, v53
	v_cndmask_b32_e32 v53, v96, v77, vcc_lo
; %bb.569:                              ;   in Loop: Header=BB10_533 Depth=4
	s_or_b32 exec_lo, exec_lo, s61
	s_wait_loadcnt_dscnt 0x606
	v_dual_lshlrev_b32 v50, 16, v50 :: v_dual_lshlrev_b32 v51, 16, v51
	s_delay_alu instid0(VALU_DEP_1) | instskip(NEXT) | instid1(VALU_DEP_1)
	v_mul_f32_e32 v51, v51, v50
	v_and_b32_e32 v50, 0x7f800000, v51
	s_delay_alu instid0(VALU_DEP_1) | instskip(SKIP_1) | instid1(SALU_CYCLE_1)
	v_cmp_ne_u32_e32 vcc_lo, 0x7f800000, v50
                                        ; implicit-def: $vgpr50
	s_and_saveexec_b32 s61, vcc_lo
	s_xor_b32 s61, exec_lo, s61
; %bb.570:                              ;   in Loop: Header=BB10_533 Depth=4
	v_bfe_u32 v50, v51, 16, 1
	s_delay_alu instid0(VALU_DEP_1)
	v_add3_u32 v50, v51, v50, 0x7fff
                                        ; implicit-def: $vgpr51
; %bb.571:                              ;   in Loop: Header=BB10_533 Depth=4
	s_and_not1_saveexec_b32 s61, s61
; %bb.572:                              ;   in Loop: Header=BB10_533 Depth=4
	v_and_b32_e32 v50, 0xffff, v51
	v_or_b32_e32 v96, 0x10000, v51
	s_delay_alu instid0(VALU_DEP_2) | instskip(NEXT) | instid1(VALU_DEP_2)
	v_cmp_eq_u32_e32 vcc_lo, 0, v50
	v_cndmask_b32_e32 v50, v96, v51, vcc_lo
; %bb.573:                              ;   in Loop: Header=BB10_533 Depth=4
	s_or_b32 exec_lo, exec_lo, s61
	s_wait_loadcnt_dscnt 0x505
	v_dual_lshlrev_b32 v39, 16, v39 :: v_dual_lshlrev_b32 v48, 16, v48
	s_delay_alu instid0(VALU_DEP_1) | instskip(NEXT) | instid1(VALU_DEP_1)
	v_mul_f32_e32 v48, v48, v39
	v_and_b32_e32 v39, 0x7f800000, v48
	s_delay_alu instid0(VALU_DEP_1) | instskip(SKIP_1) | instid1(SALU_CYCLE_1)
	v_cmp_ne_u32_e32 vcc_lo, 0x7f800000, v39
                                        ; implicit-def: $vgpr39
	s_and_saveexec_b32 s61, vcc_lo
	s_xor_b32 s61, exec_lo, s61
; %bb.574:                              ;   in Loop: Header=BB10_533 Depth=4
	v_bfe_u32 v39, v48, 16, 1
	s_delay_alu instid0(VALU_DEP_1)
	v_add3_u32 v39, v48, v39, 0x7fff
                                        ; implicit-def: $vgpr48
; %bb.575:                              ;   in Loop: Header=BB10_533 Depth=4
	s_and_not1_saveexec_b32 s61, s61
; %bb.576:                              ;   in Loop: Header=BB10_533 Depth=4
	v_and_b32_e32 v39, 0xffff, v48
	v_or_b32_e32 v51, 0x10000, v48
	s_delay_alu instid0(VALU_DEP_2) | instskip(NEXT) | instid1(VALU_DEP_2)
	v_cmp_eq_u32_e32 vcc_lo, 0, v39
	v_cndmask_b32_e32 v39, v51, v48, vcc_lo
; %bb.577:                              ;   in Loop: Header=BB10_533 Depth=4
	s_or_b32 exec_lo, exec_lo, s61
	s_wait_loadcnt_dscnt 0x404
	v_dual_lshlrev_b32 v36, 16, v36 :: v_dual_lshlrev_b32 v37, 16, v37
	s_delay_alu instid0(VALU_DEP_1) | instskip(NEXT) | instid1(VALU_DEP_1)
	v_mul_f32_e32 v37, v37, v36
	v_and_b32_e32 v36, 0x7f800000, v37
	s_delay_alu instid0(VALU_DEP_1) | instskip(SKIP_1) | instid1(SALU_CYCLE_1)
	v_cmp_ne_u32_e32 vcc_lo, 0x7f800000, v36
                                        ; implicit-def: $vgpr36
	s_and_saveexec_b32 s61, vcc_lo
	s_xor_b32 s61, exec_lo, s61
; %bb.578:                              ;   in Loop: Header=BB10_533 Depth=4
	v_bfe_u32 v36, v37, 16, 1
	s_delay_alu instid0(VALU_DEP_1)
	v_add3_u32 v36, v37, v36, 0x7fff
                                        ; implicit-def: $vgpr37
; %bb.579:                              ;   in Loop: Header=BB10_533 Depth=4
	s_and_not1_saveexec_b32 s61, s61
; %bb.580:                              ;   in Loop: Header=BB10_533 Depth=4
	v_and_b32_e32 v36, 0xffff, v37
	v_or_b32_e32 v48, 0x10000, v37
	s_delay_alu instid0(VALU_DEP_2) | instskip(NEXT) | instid1(VALU_DEP_2)
	v_cmp_eq_u32_e32 vcc_lo, 0, v36
	v_cndmask_b32_e32 v36, v48, v37, vcc_lo
; %bb.581:                              ;   in Loop: Header=BB10_533 Depth=4
	s_or_b32 exec_lo, exec_lo, s61
	s_wait_loadcnt_dscnt 0x303
	v_dual_lshlrev_b32 v33, 16, v33 :: v_dual_lshlrev_b32 v34, 16, v34
	s_delay_alu instid0(VALU_DEP_1) | instskip(NEXT) | instid1(VALU_DEP_1)
	v_mul_f32_e32 v34, v34, v33
	v_and_b32_e32 v33, 0x7f800000, v34
	s_delay_alu instid0(VALU_DEP_1) | instskip(SKIP_1) | instid1(SALU_CYCLE_1)
	v_cmp_ne_u32_e32 vcc_lo, 0x7f800000, v33
                                        ; implicit-def: $vgpr33
	s_and_saveexec_b32 s61, vcc_lo
	s_xor_b32 s61, exec_lo, s61
; %bb.582:                              ;   in Loop: Header=BB10_533 Depth=4
	v_bfe_u32 v33, v34, 16, 1
	s_delay_alu instid0(VALU_DEP_1)
	v_add3_u32 v33, v34, v33, 0x7fff
                                        ; implicit-def: $vgpr34
; %bb.583:                              ;   in Loop: Header=BB10_533 Depth=4
	s_and_not1_saveexec_b32 s61, s61
; %bb.584:                              ;   in Loop: Header=BB10_533 Depth=4
	v_and_b32_e32 v33, 0xffff, v34
	v_or_b32_e32 v37, 0x10000, v34
	s_delay_alu instid0(VALU_DEP_2) | instskip(NEXT) | instid1(VALU_DEP_2)
	v_cmp_eq_u32_e32 vcc_lo, 0, v33
	v_cndmask_b32_e32 v33, v37, v34, vcc_lo
; %bb.585:                              ;   in Loop: Header=BB10_533 Depth=4
	s_or_b32 exec_lo, exec_lo, s61
	s_wait_loadcnt_dscnt 0x202
	v_dual_lshlrev_b32 v26, 16, v26 :: v_dual_lshlrev_b32 v27, 16, v27
	s_delay_alu instid0(VALU_DEP_1) | instskip(NEXT) | instid1(VALU_DEP_1)
	v_mul_f32_e32 v27, v27, v26
	v_and_b32_e32 v26, 0x7f800000, v27
	s_delay_alu instid0(VALU_DEP_1) | instskip(SKIP_1) | instid1(SALU_CYCLE_1)
	v_cmp_ne_u32_e32 vcc_lo, 0x7f800000, v26
                                        ; implicit-def: $vgpr26
	s_and_saveexec_b32 s61, vcc_lo
	s_xor_b32 s61, exec_lo, s61
; %bb.586:                              ;   in Loop: Header=BB10_533 Depth=4
	v_bfe_u32 v26, v27, 16, 1
	s_delay_alu instid0(VALU_DEP_1)
	v_add3_u32 v26, v27, v26, 0x7fff
                                        ; implicit-def: $vgpr27
; %bb.587:                              ;   in Loop: Header=BB10_533 Depth=4
	s_and_not1_saveexec_b32 s61, s61
; %bb.588:                              ;   in Loop: Header=BB10_533 Depth=4
	v_and_b32_e32 v26, 0xffff, v27
	v_or_b32_e32 v34, 0x10000, v27
	s_delay_alu instid0(VALU_DEP_2) | instskip(NEXT) | instid1(VALU_DEP_2)
	v_cmp_eq_u32_e32 vcc_lo, 0, v26
	v_cndmask_b32_e32 v26, v34, v27, vcc_lo
; %bb.589:                              ;   in Loop: Header=BB10_533 Depth=4
	s_or_b32 exec_lo, exec_lo, s61
	s_wait_loadcnt_dscnt 0x101
	v_dual_lshlrev_b32 v23, 16, v23 :: v_dual_lshlrev_b32 v24, 16, v24
	s_delay_alu instid0(VALU_DEP_1) | instskip(NEXT) | instid1(VALU_DEP_1)
	v_mul_f32_e32 v24, v24, v23
	v_and_b32_e32 v23, 0x7f800000, v24
	s_delay_alu instid0(VALU_DEP_1) | instskip(SKIP_1) | instid1(SALU_CYCLE_1)
	v_cmp_ne_u32_e32 vcc_lo, 0x7f800000, v23
                                        ; implicit-def: $vgpr23
	s_and_saveexec_b32 s61, vcc_lo
	s_xor_b32 s61, exec_lo, s61
; %bb.590:                              ;   in Loop: Header=BB10_533 Depth=4
	v_bfe_u32 v23, v24, 16, 1
	s_delay_alu instid0(VALU_DEP_1)
	v_add3_u32 v23, v24, v23, 0x7fff
                                        ; implicit-def: $vgpr24
; %bb.591:                              ;   in Loop: Header=BB10_533 Depth=4
	s_and_not1_saveexec_b32 s61, s61
; %bb.592:                              ;   in Loop: Header=BB10_533 Depth=4
	v_and_b32_e32 v23, 0xffff, v24
	v_or_b32_e32 v27, 0x10000, v24
	s_delay_alu instid0(VALU_DEP_2) | instskip(NEXT) | instid1(VALU_DEP_2)
	v_cmp_eq_u32_e32 vcc_lo, 0, v23
	v_cndmask_b32_e32 v23, v27, v24, vcc_lo
; %bb.593:                              ;   in Loop: Header=BB10_533 Depth=4
	s_or_b32 exec_lo, exec_lo, s61
	s_wait_loadcnt_dscnt 0x0
	v_dual_lshlrev_b32 v20, 16, v20 :: v_dual_lshlrev_b32 v21, 16, v21
	s_delay_alu instid0(VALU_DEP_1) | instskip(NEXT) | instid1(VALU_DEP_1)
	v_mul_f32_e32 v21, v21, v20
	v_and_b32_e32 v20, 0x7f800000, v21
	s_delay_alu instid0(VALU_DEP_1) | instskip(SKIP_1) | instid1(SALU_CYCLE_1)
	v_cmp_ne_u32_e32 vcc_lo, 0x7f800000, v20
                                        ; implicit-def: $vgpr20
	s_and_saveexec_b32 s61, vcc_lo
	s_xor_b32 s61, exec_lo, s61
; %bb.594:                              ;   in Loop: Header=BB10_533 Depth=4
	v_bfe_u32 v20, v21, 16, 1
	s_delay_alu instid0(VALU_DEP_1)
	v_add3_u32 v20, v21, v20, 0x7fff
                                        ; implicit-def: $vgpr21
; %bb.595:                              ;   in Loop: Header=BB10_533 Depth=4
	s_and_not1_saveexec_b32 s61, s61
	s_cbranch_execz .LBB10_532
; %bb.596:                              ;   in Loop: Header=BB10_533 Depth=4
	v_and_b32_e32 v20, 0xffff, v21
	v_or_b32_e32 v24, 0x10000, v21
	s_delay_alu instid0(VALU_DEP_2) | instskip(NEXT) | instid1(VALU_DEP_2)
	v_cmp_eq_u32_e32 vcc_lo, 0, v20
	v_cndmask_b32_e32 v20, v24, v21, vcc_lo
	s_branch .LBB10_532
.LBB10_597:                             ;   in Loop: Header=BB10_278 Depth=3
	s_or_b32 exec_lo, exec_lo, s60
.LBB10_598:                             ;   in Loop: Header=BB10_278 Depth=3
	s_delay_alu instid0(SALU_CYCLE_1) | instskip(SKIP_1) | instid1(VALU_DEP_1)
	s_or_b32 exec_lo, exec_lo, s41
	v_lshlrev_b32_e32 v8, 10, v18
	v_cmp_ne_u32_e32 vcc_lo, v75, v8
	s_and_b32 exec_lo, exec_lo, vcc_lo
	s_cbranch_execz .LBB10_606
; %bb.599:                              ;   in Loop: Header=BB10_278 Depth=3
	v_dual_add_nc_u32 v9, v15, v17 :: v_dual_lshlrev_b32 v10, 5, v16
	s_delay_alu instid0(VALU_DEP_1) | instskip(NEXT) | instid1(VALU_DEP_1)
	v_and_b32_e32 v9, 0xffffffe0, v9
	v_sub_nc_u32_e32 v9, v15, v9
	s_delay_alu instid0(VALU_DEP_1) | instskip(NEXT) | instid1(VALU_DEP_1)
	v_sub_nc_u32_e32 v9, v9, v10
	v_ashrrev_i32_e32 v10, 31, v9
	s_delay_alu instid0(VALU_DEP_1) | instskip(NEXT) | instid1(VALU_DEP_1)
	v_lshrrev_b32_e32 v10, 27, v10
	v_add_nc_u32_e32 v10, v9, v10
	s_delay_alu instid0(VALU_DEP_1) | instskip(NEXT) | instid1(VALU_DEP_1)
	v_and_b32_e32 v11, 0x7fffffe0, v10
	v_dual_lshlrev_b32 v10, 1, v10 :: v_dual_sub_nc_u32 v9, v9, v11
	s_delay_alu instid0(VALU_DEP_1) | instskip(NEXT) | instid1(VALU_DEP_2)
	v_and_b32_e32 v10, 0xffffffc0, v10
	v_lshlrev_b32_e32 v9, 1, v9
	s_delay_alu instid0(VALU_DEP_1) | instskip(NEXT) | instid1(VALU_DEP_1)
	v_add3_u32 v8, v10, v9, v8
	v_sub_nc_u32_e32 v15, v75, v8
	s_delay_alu instid0(VALU_DEP_1)
	v_cmp_lt_i32_e32 vcc_lo, 1, v15
	s_and_b32 exec_lo, exec_lo, vcc_lo
	s_cbranch_execz .LBB10_606
; %bb.600:                              ;   in Loop: Header=BB10_278 Depth=3
	s_trap 2
	ds_load_b64 v[10:11], v0
	v_add_nc_u32_e32 v12, v8, v14
	s_mov_b32 s41, 0
	s_delay_alu instid0(VALU_DEP_1) | instskip(NEXT) | instid1(VALU_DEP_1)
	v_ashrrev_i32_e32 v13, 31, v12
	v_add_nc_u64_e32 v[8:9], v[12:13], v[88:89]
	s_wait_dscnt 0x0
	v_add_nc_u64_e32 v[10:11], v[10:11], v[12:13]
	v_add_nc_u64_e32 v[12:13], v[12:13], v[90:91]
	s_branch .LBB10_602
.LBB10_601:                             ;   in Loop: Header=BB10_602 Depth=4
	s_or_b32 exec_lo, exec_lo, s60
	v_sub_nc_u32_e32 v15, v15, v114
	flat_store_d16_hi_b16 v[12:13], v14 th:TH_STORE_NT
	v_add_nc_u64_e32 v[8:9], v[8:9], v[114:115]
	v_add_nc_u64_e32 v[10:11], v[10:11], v[114:115]
	s_wait_xcnt 0x0
	v_add_nc_u64_e32 v[12:13], v[12:13], v[114:115]
	v_cmp_gt_i32_e32 vcc_lo, 2, v15
	s_or_b32 s41, vcc_lo, s41
	s_delay_alu instid0(SALU_CYCLE_1)
	s_and_not1_b32 exec_lo, exec_lo, s41
	s_cbranch_execz .LBB10_606
.LBB10_602:                             ;   Parent Loop BB10_47 Depth=1
                                        ;     Parent Loop BB10_275 Depth=2
                                        ;       Parent Loop BB10_278 Depth=3
                                        ; =>      This Inner Loop Header: Depth=4
	flat_load_u16 v14, v[8:9] th:TH_LOAD_NT
	flat_load_u16 v16, v[10:11] th:TH_LOAD_NT
	s_wait_loadcnt_dscnt 0x0
	v_dual_lshlrev_b32 v14, 16, v14 :: v_dual_lshlrev_b32 v16, 16, v16
	s_delay_alu instid0(VALU_DEP_1) | instskip(NEXT) | instid1(VALU_DEP_1)
	v_mul_f32_e32 v16, v16, v14
	v_and_b32_e32 v14, 0x7f800000, v16
	s_delay_alu instid0(VALU_DEP_1) | instskip(SKIP_2) | instid1(SALU_CYCLE_1)
	v_cmp_ne_u32_e32 vcc_lo, 0x7f800000, v14
                                        ; implicit-def: $vgpr14
	s_wait_xcnt 0x0
	s_and_saveexec_b32 s60, vcc_lo
	s_xor_b32 s60, exec_lo, s60
; %bb.603:                              ;   in Loop: Header=BB10_602 Depth=4
	v_bfe_u32 v14, v16, 16, 1
	s_delay_alu instid0(VALU_DEP_1)
	v_add3_u32 v14, v16, v14, 0x7fff
                                        ; implicit-def: $vgpr16
; %bb.604:                              ;   in Loop: Header=BB10_602 Depth=4
	s_and_not1_saveexec_b32 s60, s60
	s_cbranch_execz .LBB10_601
; %bb.605:                              ;   in Loop: Header=BB10_602 Depth=4
	v_and_b32_e32 v14, 0xffff, v16
	v_or_b32_e32 v17, 0x10000, v16
	s_delay_alu instid0(VALU_DEP_2) | instskip(NEXT) | instid1(VALU_DEP_2)
	v_cmp_eq_u32_e32 vcc_lo, 0, v14
	v_cndmask_b32_e32 v14, v17, v16, vcc_lo
	s_branch .LBB10_601
.LBB10_606:                             ;   in Loop: Header=BB10_278 Depth=3
	s_or_b32 exec_lo, exec_lo, s13
	v_cmp_lt_i32_e64 s13, 0, v2
	s_and_saveexec_b32 s41, s2
	s_cbranch_execz .LBB10_353
.LBB10_607:                             ;   in Loop: Header=BB10_278 Depth=3
	s_and_saveexec_b32 s60, s3
	s_delay_alu instid0(SALU_CYCLE_1)
	s_xor_b32 s60, exec_lo, s60
	s_cbranch_execz .LBB10_622
; %bb.608:                              ;   in Loop: Header=BB10_278 Depth=3
	s_and_saveexec_b32 s61, s6
	s_cbranch_execz .LBB10_621
; %bb.609:                              ;   in Loop: Header=BB10_278 Depth=3
	s_mov_b32 s63, exec_lo
	s_mov_b32 s62, exec_lo
	v_mbcnt_lo_u32_b32 v2, s63, 0
	global_wb scope:SCOPE_DEV
	s_wait_storecnt 0x0
	s_wait_loadcnt_dscnt 0x0
	global_inv scope:SCOPE_DEV
	v_cmpx_eq_u32_e32 0, v2
	s_cbranch_execz .LBB10_611
; %bb.610:                              ;   in Loop: Header=BB10_278 Depth=3
	s_bcnt1_i32_b32 s63, s63
	s_delay_alu instid0(SALU_CYCLE_1)
	v_mov_b32_e32 v2, s63
	s_wait_loadcnt 0x0
	ds_add_u64 v0, v[2:3]
	s_trap 2
.LBB10_611:                             ;   in Loop: Header=BB10_278 Depth=3
	s_or_b32 exec_lo, exec_lo, s62
	s_trap 2
	ds_load_b64 v[8:9], v0
	s_wait_dscnt 0x0
	v_add_nc_u64_e32 v[80:81], v[80:81], v[84:85]
	s_mov_b32 s62, exec_lo
	s_delay_alu instid0(VALU_DEP_1)
	v_cmpx_lt_u64_e64 v[8:9], v[80:81]
	s_cbranch_execz .LBB10_620
; %bb.612:                              ;   in Loop: Header=BB10_278 Depth=3
	s_mov_b32 s63, 0
	s_mov_b32 s74, 0
                                        ; implicit-def: $sgpr72
                                        ; implicit-def: $sgpr73
	s_branch .LBB10_614
.LBB10_613:                             ;   in Loop: Header=BB10_614 Depth=4
	s_or_b32 exec_lo, exec_lo, s76
	s_delay_alu instid0(SALU_CYCLE_1) | instskip(NEXT) | instid1(SALU_CYCLE_1)
	s_and_b32 s75, exec_lo, s77
	s_or_b32 s63, s75, s63
	s_and_not1_b32 s72, s72, exec_lo
	s_and_b32 s75, s73, exec_lo
	s_delay_alu instid0(SALU_CYCLE_1)
	s_or_b32 s72, s72, s75
	s_and_not1_b32 exec_lo, exec_lo, s63
	s_cbranch_execz .LBB10_618
.LBB10_614:                             ;   Parent Loop BB10_47 Depth=1
                                        ;     Parent Loop BB10_275 Depth=2
                                        ;       Parent Loop BB10_278 Depth=3
                                        ; =>      This Inner Loop Header: Depth=4
	s_add_co_i32 s74, s74, 1
	s_delay_alu instid0(SALU_CYCLE_1) | instskip(SKIP_1) | instid1(SALU_CYCLE_1)
	s_cmp_lg_u32 s74, 0x2710
	s_cselect_b32 s75, -1, 0
	s_and_b32 vcc_lo, exec_lo, s75
	s_cbranch_vccz .LBB10_616
; %bb.615:                              ;   in Loop: Header=BB10_614 Depth=4
	s_mov_b32 s77, -1
	s_or_b32 s73, s73, exec_lo
	s_and_saveexec_b32 s76, s75
	s_cbranch_execz .LBB10_613
	s_branch .LBB10_617
.LBB10_616:                             ;   in Loop: Header=BB10_614 Depth=4
	s_trap 2
	ds_load_b64 v[8:9], v0
	s_and_not1_b32 s75, s75, exec_lo
	s_mov_b32 s74, 0
	s_wait_loadcnt_dscnt 0x0
	flat_load_b32 v2, v[8:9] scope:SCOPE_SYS
	s_wait_loadcnt_dscnt 0x0
	global_inv scope:SCOPE_SYS
	v_cmp_eq_u32_e32 vcc_lo, 0, v2
	s_and_b32 s76, vcc_lo, exec_lo
	s_delay_alu instid0(SALU_CYCLE_1)
	s_or_b32 s75, s75, s76
	s_mov_b32 s77, -1
	s_or_b32 s73, s73, exec_lo
	s_and_saveexec_b32 s76, s75
	s_cbranch_execz .LBB10_613
.LBB10_617:                             ;   in Loop: Header=BB10_614 Depth=4
	s_sleep 1
	s_trap 2
	ds_load_b64 v[8:9], v0
	s_wait_dscnt 0x0
	s_and_not1_b32 s73, s73, exec_lo
	v_cmp_ge_u64_e32 vcc_lo, v[8:9], v[80:81]
	s_or_not1_b32 s77, vcc_lo, exec_lo
	s_branch .LBB10_613
.LBB10_618:                             ;   in Loop: Header=BB10_278 Depth=3
	s_or_b32 exec_lo, exec_lo, s63
	s_and_saveexec_b32 s63, s72
	s_delay_alu instid0(SALU_CYCLE_1)
	s_xor_b32 s63, exec_lo, s63
	s_cbranch_execz .LBB10_620
; %bb.619:                              ;   in Loop: Header=BB10_278 Depth=3
	ds_store_b32 v0, v121
	s_trap 2
.LBB10_620:                             ;   in Loop: Header=BB10_278 Depth=3
	s_or_b32 exec_lo, exec_lo, s62
	;;#ASMSTART
	s_wakeup
	;;#ASMEND
.LBB10_621:                             ;   in Loop: Header=BB10_278 Depth=3
	s_or_b32 exec_lo, exec_lo, s61
.LBB10_622:                             ;   in Loop: Header=BB10_278 Depth=3
	s_and_not1_saveexec_b32 s60, s60
	s_cbranch_execz .LBB10_624
; %bb.623:                              ;   in Loop: Header=BB10_278 Depth=3
	global_wb scope:SCOPE_DEV
	s_wait_storecnt 0x0
	s_wait_loadcnt_dscnt 0x0
	global_inv scope:SCOPE_DEV
	s_barrier_signal -1
	s_barrier_wait -1
.LBB10_624:                             ;   in Loop: Header=BB10_278 Depth=3
	s_or_b32 exec_lo, exec_lo, s60
	s_delay_alu instid0(SALU_CYCLE_1) | instskip(SKIP_1) | instid1(SALU_CYCLE_1)
	s_or_b32 exec_lo, exec_lo, s41
                                        ; implicit-def: $vgpr2
	s_and_saveexec_b32 s41, s10
	s_xor_b32 s41, exec_lo, s41
	s_cbranch_execnz .LBB10_354
.LBB10_625:                             ;   in Loop: Header=BB10_278 Depth=3
	s_and_not1_saveexec_b32 s13, s41
	s_cbranch_execz .LBB10_644
.LBB10_626:                             ;   in Loop: Header=BB10_278 Depth=3
	s_and_saveexec_b32 s41, s3
	s_delay_alu instid0(SALU_CYCLE_1)
	s_xor_b32 s41, exec_lo, s41
	s_cbranch_execz .LBB10_641
; %bb.627:                              ;   in Loop: Header=BB10_278 Depth=3
	s_and_saveexec_b32 s60, s6
	s_cbranch_execz .LBB10_640
; %bb.628:                              ;   in Loop: Header=BB10_278 Depth=3
	s_mov_b32 s62, exec_lo
	s_mov_b32 s61, exec_lo
	v_mbcnt_lo_u32_b32 v2, s62, 0
	;;#ASMSTART
	s_waitcnt lgkmcnt(0) vmcnt(0)
	;;#ASMEND
	s_delay_alu instid0(VALU_DEP_1)
	v_cmpx_eq_u32_e32 0, v2
	s_cbranch_execz .LBB10_630
; %bb.629:                              ;   in Loop: Header=BB10_278 Depth=3
	s_bcnt1_i32_b32 s62, s62
	s_delay_alu instid0(SALU_CYCLE_1)
	v_mov_b32_e32 v2, s62
	s_wait_storecnt 0x0
	s_wait_loadcnt_dscnt 0x0
	ds_add_u64 v0, v[2:3]
	s_trap 2
.LBB10_630:                             ;   in Loop: Header=BB10_278 Depth=3
	s_or_b32 exec_lo, exec_lo, s61
	s_trap 2
	ds_load_b64 v[8:9], v0
	s_wait_dscnt 0x0
	v_add_nc_u64_e32 v[80:81], v[80:81], v[84:85]
	s_mov_b32 s61, exec_lo
	s_delay_alu instid0(VALU_DEP_1)
	v_cmpx_lt_u64_e64 v[8:9], v[80:81]
	s_cbranch_execz .LBB10_639
; %bb.631:                              ;   in Loop: Header=BB10_278 Depth=3
	s_mov_b32 s62, 0
	s_mov_b32 s73, 0
                                        ; implicit-def: $sgpr63
                                        ; implicit-def: $sgpr72
	s_branch .LBB10_633
.LBB10_632:                             ;   in Loop: Header=BB10_633 Depth=4
	s_or_b32 exec_lo, exec_lo, s75
	s_delay_alu instid0(SALU_CYCLE_1) | instskip(NEXT) | instid1(SALU_CYCLE_1)
	s_and_b32 s74, exec_lo, s76
	s_or_b32 s62, s74, s62
	s_and_not1_b32 s63, s63, exec_lo
	s_and_b32 s74, s72, exec_lo
	s_delay_alu instid0(SALU_CYCLE_1)
	s_or_b32 s63, s63, s74
	s_and_not1_b32 exec_lo, exec_lo, s62
	s_cbranch_execz .LBB10_637
.LBB10_633:                             ;   Parent Loop BB10_47 Depth=1
                                        ;     Parent Loop BB10_275 Depth=2
                                        ;       Parent Loop BB10_278 Depth=3
                                        ; =>      This Inner Loop Header: Depth=4
	s_add_co_i32 s73, s73, 1
	s_delay_alu instid0(SALU_CYCLE_1) | instskip(SKIP_1) | instid1(SALU_CYCLE_1)
	s_cmp_lg_u32 s73, 0x2710
	s_cselect_b32 s74, -1, 0
	s_and_b32 vcc_lo, exec_lo, s74
	s_cbranch_vccz .LBB10_635
; %bb.634:                              ;   in Loop: Header=BB10_633 Depth=4
	s_mov_b32 s76, -1
	s_or_b32 s72, s72, exec_lo
	s_and_saveexec_b32 s75, s74
	s_cbranch_execz .LBB10_632
	s_branch .LBB10_636
.LBB10_635:                             ;   in Loop: Header=BB10_633 Depth=4
	s_trap 2
	ds_load_b64 v[8:9], v0
	s_and_not1_b32 s74, s74, exec_lo
	s_mov_b32 s73, 0
	s_wait_storecnt 0x0
	s_wait_loadcnt_dscnt 0x0
	flat_load_b32 v2, v[8:9] scope:SCOPE_SYS
	s_wait_loadcnt_dscnt 0x0
	global_inv scope:SCOPE_SYS
	v_cmp_eq_u32_e32 vcc_lo, 0, v2
	s_and_b32 s75, vcc_lo, exec_lo
	s_delay_alu instid0(SALU_CYCLE_1)
	s_or_b32 s74, s74, s75
	s_mov_b32 s76, -1
	s_or_b32 s72, s72, exec_lo
	s_and_saveexec_b32 s75, s74
	s_cbranch_execz .LBB10_632
.LBB10_636:                             ;   in Loop: Header=BB10_633 Depth=4
	s_sleep 1
	s_trap 2
	ds_load_b64 v[8:9], v0
	s_wait_dscnt 0x0
	s_and_not1_b32 s72, s72, exec_lo
	v_cmp_ge_u64_e32 vcc_lo, v[8:9], v[80:81]
	s_or_not1_b32 s76, vcc_lo, exec_lo
	s_branch .LBB10_632
.LBB10_637:                             ;   in Loop: Header=BB10_278 Depth=3
	s_or_b32 exec_lo, exec_lo, s62
	s_and_saveexec_b32 s62, s63
	s_delay_alu instid0(SALU_CYCLE_1)
	s_xor_b32 s62, exec_lo, s62
	s_cbranch_execz .LBB10_639
; %bb.638:                              ;   in Loop: Header=BB10_278 Depth=3
	ds_store_b32 v0, v121
	s_trap 2
.LBB10_639:                             ;   in Loop: Header=BB10_278 Depth=3
	s_or_b32 exec_lo, exec_lo, s61
	;;#ASMSTART
	s_wakeup
	;;#ASMEND
.LBB10_640:                             ;   in Loop: Header=BB10_278 Depth=3
	s_or_b32 exec_lo, exec_lo, s60
.LBB10_641:                             ;   in Loop: Header=BB10_278 Depth=3
	s_and_not1_saveexec_b32 s41, s41
	s_cbranch_execz .LBB10_643
; %bb.642:                              ;   in Loop: Header=BB10_278 Depth=3
	;;#ASMSTART
	s_waitcnt lgkmcnt(0) vmcnt(0)
	;;#ASMEND
	s_barrier_signal -1
	s_barrier_wait -1
.LBB10_643:                             ;   in Loop: Header=BB10_278 Depth=3
	s_or_b32 exec_lo, exec_lo, s41
	v_and_b32_e32 v2, 16, v30
.LBB10_644:                             ;   in Loop: Header=BB10_278 Depth=3
	s_or_b32 exec_lo, exec_lo, s13
	s_delay_alu instid0(VALU_DEP_1) | instskip(SKIP_1) | instid1(SALU_CYCLE_1)
	v_cmp_ne_u32_e32 vcc_lo, 0, v2
	s_xor_b32 s13, s4, -1
	s_and_b32 s41, vcc_lo, s13
	s_delay_alu instid0(SALU_CYCLE_1)
	s_and_saveexec_b32 s13, s41
	s_cbranch_execz .LBB10_646
; %bb.645:                              ;   in Loop: Header=BB10_278 Depth=3
	global_wb scope:SCOPE_SYS
	s_wait_storecnt 0x0
	s_wait_loadcnt_dscnt 0x0
	flat_store_b32 v[70:71], v121 scope:SCOPE_SYS
.LBB10_646:                             ;   in Loop: Header=BB10_278 Depth=3
	s_wait_xcnt 0x0
	s_or_b32 exec_lo, exec_lo, s13
	v_and_b32_e32 v2, 48, v30
	s_mov_b32 s13, exec_lo
	s_delay_alu instid0(VALU_DEP_1)
	v_cmpx_ne_u32_e32 0, v2
	s_cbranch_execz .LBB10_277
; %bb.647:                              ;   in Loop: Header=BB10_278 Depth=3
	v_add_nc_u64_e32 v[60:61], 2, v[60:61]
	global_wb scope:SCOPE_SYS
	s_wait_storecnt 0x0
	s_wait_loadcnt_dscnt 0x0
	flat_store_b64 v[64:65], v[60:61] scope:SCOPE_SYS
	s_branch .LBB10_277
.LBB10_648:                             ;   in Loop: Header=BB10_275 Depth=2
	s_or_b32 exec_lo, exec_lo, s18
.LBB10_649:                             ;   in Loop: Header=BB10_275 Depth=2
	s_delay_alu instid0(SALU_CYCLE_1) | instskip(NEXT) | instid1(SALU_CYCLE_1)
	s_or_b32 exec_lo, exec_lo, s15
	s_mov_b32 s15, exec_lo
	v_cmpx_gt_i32_e32 2, v2
	s_cbranch_execz .LBB10_274
; %bb.650:                              ;   in Loop: Header=BB10_275 Depth=2
	v_cmp_eq_u32_e64 s27, 0, v2
	s_mov_b32 s18, 0
	s_branch .LBB10_652
.LBB10_651:                             ;   in Loop: Header=BB10_652 Depth=3
	s_wait_xcnt 0x0
	s_or_b32 exec_lo, exec_lo, s13
	v_add_nc_u32_e32 v76, v74, v76
	s_mov_b32 s27, 0
	s_and_not1_b32 exec_lo, exec_lo, s18
	s_cbranch_execz .LBB10_273
.LBB10_652:                             ;   Parent Loop BB10_47 Depth=1
                                        ;     Parent Loop BB10_275 Depth=2
                                        ; =>    This Loop Header: Depth=3
                                        ;         Child Loop BB10_658 Depth 4
                                        ;         Child Loop BB10_686 Depth 4
	;; [unrolled: 1-line block ×3, first 2 shown]
	s_delay_alu instid0(VALU_DEP_1) | instskip(SKIP_1) | instid1(VALU_DEP_1)
	v_dual_sub_nc_u32 v2, v108, v76 :: v_dual_bitop2_b32 v8, 12, v30 bitop3:0x40
	s_mov_b32 s40, exec_lo
	v_min_i32_e32 v74, v74, v2
	s_delay_alu instid0(VALU_DEP_2)
	v_cmpx_ne_u32_e32 0, v8
	s_cbranch_execz .LBB10_678
; %bb.653:                              ;   in Loop: Header=BB10_652 Depth=3
	v_and_b32_e32 v2, 8, v30
	v_add_nc_u64_e32 v[8:9], 2, v[60:61]
	s_mov_b32 s41, exec_lo
	s_wait_loadcnt_dscnt 0x1
	s_delay_alu instid0(VALU_DEP_2) | instskip(NEXT) | instid1(VALU_DEP_1)
	v_add_nc_u64_e32 v[10:11], v[82:83], v[2:3]
	v_cmpx_lt_u64_e64 v[10:11], v[8:9]
	s_cbranch_execz .LBB10_665
; %bb.654:                              ;   in Loop: Header=BB10_652 Depth=3
	v_and_b32_e32 v10, 64, v30
	s_mov_b32 s60, 0
	s_mov_b32 s72, 0
                                        ; implicit-def: $sgpr61
                                        ; implicit-def: $sgpr62
                                        ; implicit-def: $sgpr63
	s_delay_alu instid0(VALU_DEP_1)
	v_cmp_eq_u32_e32 vcc_lo, 0, v10
	s_branch .LBB10_658
.LBB10_655:                             ;   in Loop: Header=BB10_658 Depth=4
	s_wait_loadcnt_dscnt 0x0
	v_add_nc_u64_e32 v[12:13], v[82:83], v[2:3]
	s_or_b32 s75, s75, exec_lo
	s_delay_alu instid0(VALU_DEP_1)
	v_cmp_ge_u64_e64 s13, v[12:13], v[8:9]
	s_or_not1_b32 s74, s13, exec_lo
.LBB10_656:                             ;   in Loop: Header=BB10_658 Depth=4
	s_or_b32 exec_lo, exec_lo, s77
	s_delay_alu instid0(SALU_CYCLE_1)
	s_and_not1_b32 s13, s63, exec_lo
	s_and_b32 s63, s75, exec_lo
	s_and_not1_b32 s62, s62, exec_lo
	s_and_b32 s74, s74, exec_lo
	s_or_b32 s63, s13, s63
	s_or_b32 s62, s62, s74
.LBB10_657:                             ;   in Loop: Header=BB10_658 Depth=4
	s_or_b32 exec_lo, exec_lo, s73
	s_delay_alu instid0(SALU_CYCLE_1) | instskip(NEXT) | instid1(SALU_CYCLE_1)
	s_and_b32 s13, exec_lo, s62
	s_or_b32 s60, s13, s60
	s_and_not1_b32 s13, s61, exec_lo
	s_and_b32 s61, s63, exec_lo
	s_delay_alu instid0(SALU_CYCLE_1)
	s_or_b32 s61, s13, s61
	s_and_not1_b32 exec_lo, exec_lo, s60
	s_cbranch_execz .LBB10_662
.LBB10_658:                             ;   Parent Loop BB10_47 Depth=1
                                        ;     Parent Loop BB10_275 Depth=2
                                        ;       Parent Loop BB10_652 Depth=3
                                        ; =>      This Inner Loop Header: Depth=4
	s_sleep 1
	s_wait_loadcnt_dscnt 0x0
	flat_load_b64 v[82:83], v[64:65] scope:SCOPE_SYS
	s_or_b32 s63, s63, exec_lo
	s_or_b32 s62, s62, exec_lo
                                        ; implicit-def: $vgpr10
	s_wait_xcnt 0x0
	s_and_saveexec_b32 s73, vcc_lo
	s_cbranch_execz .LBB10_657
; %bb.659:                              ;   in Loop: Header=BB10_658 Depth=4
	s_cmp_lt_i32 s72, 0x270f
	s_mov_b32 s74, -1
	s_cselect_b32 s76, -1, 0
	s_cmp_gt_i32 s72, 0x270e
	s_cbranch_scc0 .LBB10_661
; %bb.660:                              ;   in Loop: Header=BB10_658 Depth=4
	s_trap 2
	ds_load_b64 v[10:11], v0
	s_and_not1_b32 s72, s76, exec_lo
	s_mov_b32 s75, 0
	s_wait_storecnt 0x0
	s_wait_loadcnt_dscnt 0x0
	flat_load_b32 v10, v[10:11] scope:SCOPE_SYS
	s_wait_loadcnt_dscnt 0x0
	global_inv scope:SCOPE_SYS
	v_cmp_eq_u32_e64 s13, 0, v10
	s_and_b32 s13, s13, exec_lo
	s_delay_alu instid0(SALU_CYCLE_1)
	s_or_b32 s76, s72, s13
	s_mov_b32 s72, 0
	s_and_saveexec_b32 s77, s76
	s_cbranch_execz .LBB10_656
	s_branch .LBB10_655
.LBB10_661:                             ;   in Loop: Header=BB10_658 Depth=4
	s_add_co_i32 s72, s72, 1
	s_mov_b32 s75, -1
                                        ; implicit-def: $vgpr10
	s_and_saveexec_b32 s77, s76
	s_cbranch_execz .LBB10_656
	s_branch .LBB10_655
.LBB10_662:                             ;   in Loop: Header=BB10_652 Depth=3
	s_or_b32 exec_lo, exec_lo, s60
	s_xor_b32 s13, s61, -1
	s_delay_alu instid0(SALU_CYCLE_1) | instskip(NEXT) | instid1(SALU_CYCLE_1)
	s_and_saveexec_b32 s60, s13
	s_xor_b32 s13, exec_lo, s60
	s_cbranch_execz .LBB10_664
; %bb.663:                              ;   in Loop: Header=BB10_652 Depth=3
	v_or_b32_e32 v30, 64, v30
	s_wait_storecnt 0x0
	s_wait_loadcnt_dscnt 0x0
	ds_store_b32 v0, v10
	s_trap 2
.LBB10_664:                             ;   in Loop: Header=BB10_652 Depth=3
	s_or_b32 exec_lo, exec_lo, s13
.LBB10_665:                             ;   in Loop: Header=BB10_652 Depth=3
	s_delay_alu instid0(SALU_CYCLE_1) | instskip(SKIP_2) | instid1(VALU_DEP_1)
	s_or_b32 exec_lo, exec_lo, s41
	v_and_b32_e32 v10, 0x108, v30
	;;#ASMSTART
	s_wakeup
	;;#ASMEND
	v_cmp_ne_u32_e32 vcc_lo, 0x108, v10
                                        ; implicit-def: $vgpr10_vgpr11
	s_and_saveexec_b32 s13, vcc_lo
	s_delay_alu instid0(SALU_CYCLE_1)
	s_xor_b32 s13, exec_lo, s13
; %bb.666:                              ;   in Loop: Header=BB10_652 Depth=3
	v_dual_mov_b32 v11, v3 :: v_dual_bitop2_b32 v10, 7, v60 bitop3:0x40
                                        ; implicit-def: $vgpr60_vgpr61
; %bb.667:                              ;   in Loop: Header=BB10_652 Depth=3
	s_and_not1_saveexec_b32 s13, s13
	s_cbranch_execz .LBB10_669
; %bb.668:                              ;   in Loop: Header=BB10_652 Depth=3
	v_dual_ashrrev_i32 v75, 31, v74 :: v_dual_bitop2_b32 v10, 7, v60 bitop3:0x40
	v_mov_b32_e32 v11, v3
	s_delay_alu instid0(VALU_DEP_2) | instskip(NEXT) | instid1(VALU_DEP_3)
	v_mad_nc_u64_u32 v[12:13], v10, 24, v[6:7]
	v_lshlrev_b64_e32 v[14:15], 1, v[74:75]
	flat_store_b64 v[12:13], v[14:15] offset:8
.LBB10_669:                             ;   in Loop: Header=BB10_652 Depth=3
	s_wait_xcnt 0x0
	s_or_b32 exec_lo, exec_lo, s13
	v_and_b32_e32 v12, 0x100, v30
	s_mov_b32 s13, -1
	s_delay_alu instid0(VALU_DEP_1)
	v_cmp_ne_u32_e32 vcc_lo, 0, v12
                                        ; implicit-def: $vgpr12_vgpr13
	s_and_saveexec_b32 s41, vcc_lo
	s_cbranch_execz .LBB10_673
; %bb.670:                              ;   in Loop: Header=BB10_652 Depth=3
	v_mad_nc_u64_u32 v[14:15], v10, 24, v[6:7]
	s_delay_alu instid0(VALU_DEP_1)
	v_mad_u32 v15, v11, 24, v15
	flat_load_b32 v12, v[14:15]
	s_wait_loadcnt_dscnt 0x0
	v_cmp_eq_u32_e64 s13, 1, v12
	v_cmp_ne_u32_e32 vcc_lo, 1, v12
                                        ; implicit-def: $vgpr12_vgpr13
	s_wait_xcnt 0x0
	s_and_saveexec_b32 s60, s13
	s_cbranch_execz .LBB10_672
; %bb.671:                              ;   in Loop: Header=BB10_652 Depth=3
	flat_load_b32 v12, v[14:15] offset:4 scope:SCOPE_SYS
	s_wait_loadcnt_dscnt 0x0
	v_ashrrev_i32_e32 v13, 31, v12
	s_delay_alu instid0(VALU_DEP_1)
	v_lshrrev_b64 v[12:13], 1, v[12:13]
.LBB10_672:                             ;   in Loop: Header=BB10_652 Depth=3
	s_wait_xcnt 0x0
	s_or_b32 exec_lo, exec_lo, s60
	s_delay_alu instid0(SALU_CYCLE_1)
	s_or_not1_b32 s13, vcc_lo, exec_lo
.LBB10_673:                             ;   in Loop: Header=BB10_652 Depth=3
	s_or_b32 exec_lo, exec_lo, s41
	s_and_saveexec_b32 s41, s13
; %bb.674:                              ;   in Loop: Header=BB10_652 Depth=3
	v_mul_u64_e32 v[12:13], v[10:11], v[66:67]
; %bb.675:                              ;   in Loop: Header=BB10_652 Depth=3
	s_or_b32 exec_lo, exec_lo, s41
	v_cmp_eq_u32_e32 vcc_lo, 0, v2
	v_and_b32_e32 v14, 0x2000, v30
	s_delay_alu instid0(VALU_DEP_3) | instskip(SKIP_2) | instid1(VALU_DEP_1)
	v_lshl_add_u64 v[10:11], v[12:13], 1, v[68:69]
	s_mov_b32 s13, exec_lo
	v_cndmask_b32_e32 v2, 0xc8, v122, vcc_lo
	v_add_nc_u32_e32 v2, v0, v2
	ds_store_b64 v2, v[10:11] offset:584
	v_cmpx_ne_u32_e32 0, v14
	s_cbranch_execz .LBB10_677
; %bb.676:                              ;   in Loop: Header=BB10_652 Depth=3
	ds_load_b64 v[10:11], v0 offset:872
	s_wait_dscnt 0x0
	v_add_nc_u64_e32 v[10:11], 1, v[10:11]
	ds_store_b64 v0, v[10:11] offset:872
.LBB10_677:                             ;   in Loop: Header=BB10_652 Depth=3
	s_or_b32 exec_lo, exec_lo, s13
	v_mov_b64_e32 v[60:61], v[8:9]
.LBB10_678:                             ;   in Loop: Header=BB10_652 Depth=3
	s_or_b32 exec_lo, exec_lo, s40
	s_xor_b32 s13, s27, -1
	s_delay_alu instid0(SALU_CYCLE_1) | instskip(NEXT) | instid1(SALU_CYCLE_1)
	s_and_b32 s13, exec_lo, s13
	s_or_b32 s18, s13, s18
	s_and_saveexec_b32 s13, s2
	s_cbranch_execz .LBB10_697
; %bb.679:                              ;   in Loop: Header=BB10_652 Depth=3
	s_and_saveexec_b32 s27, s3
	s_delay_alu instid0(SALU_CYCLE_1)
	s_xor_b32 s27, exec_lo, s27
	s_cbranch_execz .LBB10_694
; %bb.680:                              ;   in Loop: Header=BB10_652 Depth=3
	s_and_saveexec_b32 s40, s6
	s_cbranch_execz .LBB10_693
; %bb.681:                              ;   in Loop: Header=BB10_652 Depth=3
	s_mov_b32 s60, exec_lo
	s_mov_b32 s41, exec_lo
	v_mbcnt_lo_u32_b32 v2, s60, 0
	global_wb scope:SCOPE_DEV
	s_wait_storecnt 0x0
	s_wait_loadcnt_dscnt 0x0
	global_inv scope:SCOPE_DEV
	v_cmpx_eq_u32_e32 0, v2
	s_cbranch_execz .LBB10_683
; %bb.682:                              ;   in Loop: Header=BB10_652 Depth=3
	s_bcnt1_i32_b32 s60, s60
	s_delay_alu instid0(SALU_CYCLE_1)
	v_mov_b32_e32 v2, s60
	s_wait_loadcnt 0x0
	ds_add_u64 v0, v[2:3]
	s_trap 2
.LBB10_683:                             ;   in Loop: Header=BB10_652 Depth=3
	s_or_b32 exec_lo, exec_lo, s41
	s_trap 2
	ds_load_b64 v[8:9], v0
	s_wait_dscnt 0x0
	v_add_nc_u64_e32 v[80:81], v[80:81], v[84:85]
	s_mov_b32 s41, exec_lo
	s_delay_alu instid0(VALU_DEP_1)
	v_cmpx_lt_u64_e64 v[8:9], v[80:81]
	s_cbranch_execz .LBB10_692
; %bb.684:                              ;   in Loop: Header=BB10_652 Depth=3
	s_mov_b32 s60, 0
	s_mov_b32 s63, 0
                                        ; implicit-def: $sgpr61
                                        ; implicit-def: $sgpr62
	s_branch .LBB10_686
.LBB10_685:                             ;   in Loop: Header=BB10_686 Depth=4
	s_or_b32 exec_lo, exec_lo, s73
	s_delay_alu instid0(SALU_CYCLE_1) | instskip(NEXT) | instid1(SALU_CYCLE_1)
	s_and_b32 s72, exec_lo, s74
	s_or_b32 s60, s72, s60
	s_and_not1_b32 s61, s61, exec_lo
	s_and_b32 s72, s62, exec_lo
	s_delay_alu instid0(SALU_CYCLE_1)
	s_or_b32 s61, s61, s72
	s_and_not1_b32 exec_lo, exec_lo, s60
	s_cbranch_execz .LBB10_690
.LBB10_686:                             ;   Parent Loop BB10_47 Depth=1
                                        ;     Parent Loop BB10_275 Depth=2
                                        ;       Parent Loop BB10_652 Depth=3
                                        ; =>      This Inner Loop Header: Depth=4
	s_add_co_i32 s63, s63, 1
	s_delay_alu instid0(SALU_CYCLE_1) | instskip(SKIP_1) | instid1(SALU_CYCLE_1)
	s_cmp_lg_u32 s63, 0x2710
	s_cselect_b32 s72, -1, 0
	s_and_b32 vcc_lo, exec_lo, s72
	s_cbranch_vccz .LBB10_688
; %bb.687:                              ;   in Loop: Header=BB10_686 Depth=4
	s_mov_b32 s74, -1
	s_or_b32 s62, s62, exec_lo
	s_and_saveexec_b32 s73, s72
	s_cbranch_execz .LBB10_685
	s_branch .LBB10_689
.LBB10_688:                             ;   in Loop: Header=BB10_686 Depth=4
	s_trap 2
	ds_load_b64 v[8:9], v0
	s_and_not1_b32 s72, s72, exec_lo
	s_mov_b32 s63, 0
	s_wait_loadcnt_dscnt 0x0
	flat_load_b32 v2, v[8:9] scope:SCOPE_SYS
	s_wait_loadcnt_dscnt 0x0
	global_inv scope:SCOPE_SYS
	v_cmp_eq_u32_e32 vcc_lo, 0, v2
	s_and_b32 s73, vcc_lo, exec_lo
	s_delay_alu instid0(SALU_CYCLE_1)
	s_or_b32 s72, s72, s73
	s_mov_b32 s74, -1
	s_or_b32 s62, s62, exec_lo
	s_and_saveexec_b32 s73, s72
	s_cbranch_execz .LBB10_685
.LBB10_689:                             ;   in Loop: Header=BB10_686 Depth=4
	s_sleep 1
	s_trap 2
	ds_load_b64 v[8:9], v0
	s_wait_dscnt 0x0
	s_and_not1_b32 s62, s62, exec_lo
	v_cmp_ge_u64_e32 vcc_lo, v[8:9], v[80:81]
	s_or_not1_b32 s74, vcc_lo, exec_lo
	s_branch .LBB10_685
.LBB10_690:                             ;   in Loop: Header=BB10_652 Depth=3
	s_or_b32 exec_lo, exec_lo, s60
	s_and_saveexec_b32 s60, s61
	s_delay_alu instid0(SALU_CYCLE_1)
	s_xor_b32 s60, exec_lo, s60
	s_cbranch_execz .LBB10_692
; %bb.691:                              ;   in Loop: Header=BB10_652 Depth=3
	ds_store_b32 v0, v121
	s_trap 2
.LBB10_692:                             ;   in Loop: Header=BB10_652 Depth=3
	s_or_b32 exec_lo, exec_lo, s41
	;;#ASMSTART
	s_wakeup
	;;#ASMEND
.LBB10_693:                             ;   in Loop: Header=BB10_652 Depth=3
	s_or_b32 exec_lo, exec_lo, s40
.LBB10_694:                             ;   in Loop: Header=BB10_652 Depth=3
	s_and_not1_saveexec_b32 s27, s27
	s_cbranch_execz .LBB10_696
; %bb.695:                              ;   in Loop: Header=BB10_652 Depth=3
	global_wb scope:SCOPE_DEV
	s_wait_storecnt 0x0
	s_wait_loadcnt_dscnt 0x0
	global_inv scope:SCOPE_DEV
	s_barrier_signal -1
	s_barrier_wait -1
.LBB10_696:                             ;   in Loop: Header=BB10_652 Depth=3
	s_or_b32 exec_lo, exec_lo, s27
.LBB10_697:                             ;   in Loop: Header=BB10_652 Depth=3
	s_delay_alu instid0(SALU_CYCLE_1) | instskip(SKIP_1) | instid1(SALU_CYCLE_1)
	s_or_b32 exec_lo, exec_lo, s13
                                        ; implicit-def: $vgpr2
	s_and_saveexec_b32 s13, s47
	s_xor_b32 s13, exec_lo, s13
	s_cbranch_execz .LBB10_709
; %bb.698:                              ;   in Loop: Header=BB10_652 Depth=3
	s_and_saveexec_b32 s27, s3
	s_delay_alu instid0(SALU_CYCLE_1)
	s_xor_b32 s27, exec_lo, s27
	s_cbranch_execz .LBB10_714
; %bb.699:                              ;   in Loop: Header=BB10_652 Depth=3
	s_and_saveexec_b32 s40, s6
	s_cbranch_execz .LBB10_713
; %bb.700:                              ;   in Loop: Header=BB10_652 Depth=3
	s_mov_b32 s60, exec_lo
	s_mov_b32 s41, exec_lo
	v_mbcnt_lo_u32_b32 v2, s60, 0
	;;#ASMSTART
	s_waitcnt lgkmcnt(0) vmcnt(0)
	;;#ASMEND
	s_delay_alu instid0(VALU_DEP_1)
	v_cmpx_eq_u32_e32 0, v2
	s_cbranch_execz .LBB10_702
; %bb.701:                              ;   in Loop: Header=BB10_652 Depth=3
	s_bcnt1_i32_b32 s60, s60
	s_delay_alu instid0(SALU_CYCLE_1)
	v_mov_b32_e32 v2, s60
	s_wait_storecnt 0x0
	s_wait_loadcnt_dscnt 0x0
	ds_add_u64 v0, v[2:3]
	s_trap 2
.LBB10_702:                             ;   in Loop: Header=BB10_652 Depth=3
	s_or_b32 exec_lo, exec_lo, s41
	s_trap 2
	ds_load_b64 v[8:9], v0
	s_wait_dscnt 0x0
	v_add_nc_u64_e32 v[80:81], v[80:81], v[84:85]
	s_mov_b32 s41, exec_lo
	s_delay_alu instid0(VALU_DEP_1)
	v_cmpx_lt_u64_e64 v[8:9], v[80:81]
	s_cbranch_execz .LBB10_712
; %bb.703:                              ;   in Loop: Header=BB10_652 Depth=3
	s_mov_b32 s60, 0
	s_mov_b32 s63, 0
                                        ; implicit-def: $sgpr61
                                        ; implicit-def: $sgpr62
	s_branch .LBB10_705
.LBB10_704:                             ;   in Loop: Header=BB10_705 Depth=4
	s_or_b32 exec_lo, exec_lo, s73
	s_delay_alu instid0(SALU_CYCLE_1) | instskip(NEXT) | instid1(SALU_CYCLE_1)
	s_and_b32 s72, exec_lo, s74
	s_or_b32 s60, s72, s60
	s_and_not1_b32 s61, s61, exec_lo
	s_and_b32 s72, s62, exec_lo
	s_delay_alu instid0(SALU_CYCLE_1)
	s_or_b32 s61, s61, s72
	s_and_not1_b32 exec_lo, exec_lo, s60
	s_cbranch_execz .LBB10_710
.LBB10_705:                             ;   Parent Loop BB10_47 Depth=1
                                        ;     Parent Loop BB10_275 Depth=2
                                        ;       Parent Loop BB10_652 Depth=3
                                        ; =>      This Inner Loop Header: Depth=4
	s_add_co_i32 s63, s63, 1
	s_delay_alu instid0(SALU_CYCLE_1) | instskip(SKIP_1) | instid1(SALU_CYCLE_1)
	s_cmp_lg_u32 s63, 0x2710
	s_cselect_b32 s72, -1, 0
	s_and_b32 vcc_lo, exec_lo, s72
	s_cbranch_vccz .LBB10_707
; %bb.706:                              ;   in Loop: Header=BB10_705 Depth=4
	s_mov_b32 s74, -1
	s_or_b32 s62, s62, exec_lo
	s_and_saveexec_b32 s73, s72
	s_cbranch_execz .LBB10_704
	s_branch .LBB10_708
.LBB10_707:                             ;   in Loop: Header=BB10_705 Depth=4
	s_trap 2
	ds_load_b64 v[8:9], v0
	s_and_not1_b32 s72, s72, exec_lo
	s_mov_b32 s63, 0
	s_wait_storecnt 0x0
	s_wait_loadcnt_dscnt 0x0
	flat_load_b32 v2, v[8:9] scope:SCOPE_SYS
	s_wait_loadcnt_dscnt 0x0
	global_inv scope:SCOPE_SYS
	v_cmp_eq_u32_e32 vcc_lo, 0, v2
	s_and_b32 s73, vcc_lo, exec_lo
	s_delay_alu instid0(SALU_CYCLE_1)
	s_or_b32 s72, s72, s73
	s_mov_b32 s74, -1
	s_or_b32 s62, s62, exec_lo
	s_and_saveexec_b32 s73, s72
	s_cbranch_execz .LBB10_704
.LBB10_708:                             ;   in Loop: Header=BB10_705 Depth=4
	s_sleep 1
	s_trap 2
	ds_load_b64 v[8:9], v0
	s_wait_dscnt 0x0
	s_and_not1_b32 s62, s62, exec_lo
	v_cmp_ge_u64_e32 vcc_lo, v[8:9], v[80:81]
	s_or_not1_b32 s74, vcc_lo, exec_lo
	s_branch .LBB10_704
.LBB10_709:                             ;   in Loop: Header=BB10_652 Depth=3
	s_and_not1_saveexec_b32 s27, s13
	s_cbranch_execnz .LBB10_717
	s_branch .LBB10_720
.LBB10_710:                             ;   in Loop: Header=BB10_652 Depth=3
	s_or_b32 exec_lo, exec_lo, s60
	s_and_saveexec_b32 s60, s61
	s_delay_alu instid0(SALU_CYCLE_1)
	s_xor_b32 s60, exec_lo, s60
	s_cbranch_execz .LBB10_712
; %bb.711:                              ;   in Loop: Header=BB10_652 Depth=3
	ds_store_b32 v0, v121
	s_trap 2
.LBB10_712:                             ;   in Loop: Header=BB10_652 Depth=3
	s_or_b32 exec_lo, exec_lo, s41
	;;#ASMSTART
	s_wakeup
	;;#ASMEND
.LBB10_713:                             ;   in Loop: Header=BB10_652 Depth=3
	s_or_b32 exec_lo, exec_lo, s40
.LBB10_714:                             ;   in Loop: Header=BB10_652 Depth=3
	s_and_not1_saveexec_b32 s27, s27
	s_cbranch_execz .LBB10_716
; %bb.715:                              ;   in Loop: Header=BB10_652 Depth=3
	;;#ASMSTART
	s_waitcnt lgkmcnt(0) vmcnt(0)
	;;#ASMEND
	s_barrier_signal -1
	s_barrier_wait -1
.LBB10_716:                             ;   in Loop: Header=BB10_652 Depth=3
	s_or_b32 exec_lo, exec_lo, s27
	v_and_b32_e32 v2, 16, v30
	s_and_not1_saveexec_b32 s27, s13
	s_cbranch_execz .LBB10_720
.LBB10_717:                             ;   in Loop: Header=BB10_652 Depth=3
	s_trap 2
	ds_load_b32 v2, v0
	v_cmp_lt_i32_e32 vcc_lo, 0, v74
	s_wait_dscnt 0x0
	v_readfirstlane_b32 s13, v2
	v_and_b32_e32 v2, 16, v30
	s_cmp_eq_u32 s13, 0
	s_delay_alu instid0(VALU_DEP_1) | instskip(SKIP_3) | instid1(SALU_CYCLE_1)
	v_cmp_ne_u32_e64 s13, 0, v2
	s_cselect_b32 s40, -1, 0
	v_and_b32_e32 v2, 16, v30
	s_and_b32 s40, vcc_lo, s40
	s_and_b32 s40, s13, s40
	s_delay_alu instid0(SALU_CYCLE_1)
	s_and_saveexec_b32 s13, s40
	s_cbranch_execz .LBB10_719
; %bb.718:                              ;   in Loop: Header=BB10_652 Depth=3
	v_mov_b32_e32 v2, 1
	global_wb scope:SCOPE_SYS
	s_wait_loadcnt 0x0
	s_wait_storecnt 0x0
	global_inv scope:SCOPE_SYS
.LBB10_719:                             ;   in Loop: Header=BB10_652 Depth=3
	s_or_b32 exec_lo, exec_lo, s13
.LBB10_720:                             ;   in Loop: Header=BB10_652 Depth=3
	s_delay_alu instid0(SALU_CYCLE_1) | instskip(NEXT) | instid1(VALU_DEP_1)
	s_or_b32 exec_lo, exec_lo, s27
	v_cmp_ne_u32_e32 vcc_lo, 0, v2
	s_xor_b32 s13, s4, -1
	s_delay_alu instid0(SALU_CYCLE_1) | instskip(NEXT) | instid1(SALU_CYCLE_1)
	s_and_b32 s27, vcc_lo, s13
	s_and_saveexec_b32 s13, s27
	s_cbranch_execz .LBB10_722
; %bb.721:                              ;   in Loop: Header=BB10_652 Depth=3
	global_wb scope:SCOPE_SYS
	s_wait_storecnt 0x0
	s_wait_loadcnt_dscnt 0x0
	flat_store_b32 v[70:71], v121 scope:SCOPE_SYS
.LBB10_722:                             ;   in Loop: Header=BB10_652 Depth=3
	s_wait_xcnt 0x0
	s_or_b32 exec_lo, exec_lo, s13
	v_and_b32_e32 v2, 48, v30
	s_mov_b32 s13, exec_lo
	s_delay_alu instid0(VALU_DEP_1)
	v_cmpx_ne_u32_e32 0, v2
	s_cbranch_execz .LBB10_651
; %bb.723:                              ;   in Loop: Header=BB10_652 Depth=3
	v_add_nc_u64_e32 v[60:61], 2, v[60:61]
	global_wb scope:SCOPE_SYS
	s_wait_storecnt 0x0
	s_wait_loadcnt_dscnt 0x0
	flat_store_b64 v[64:65], v[60:61] scope:SCOPE_SYS
	s_branch .LBB10_651
.LBB10_724:                             ;   in Loop: Header=BB10_47 Depth=1
	v_mul_u64_e32 v[8:9], s[16:17], v[58:59]
	v_mov_b32_e32 v76, 0
	s_delay_alu instid0(VALU_DEP_2) | instskip(NEXT) | instid1(VALU_DEP_1)
	v_sub_nc_u64_e32 v[10:11], v[62:63], v[8:9]
	v_min_i64 v[10:11], v[58:59], v[10:11]
	s_delay_alu instid0(VALU_DEP_1) | instskip(SKIP_1) | instid1(VALU_DEP_2)
	v_max_i32_e32 v126, 0, v10
	v_cmp_lt_i32_e32 vcc_lo, 0, v10
	v_add_nc_u32_e32 v2, 31, v126
	s_and_b32 s13, s57, vcc_lo
	s_delay_alu instid0(VALU_DEP_1) | instskip(NEXT) | instid1(VALU_DEP_1)
	v_lshrrev_b32_e32 v2, 1, v2
	v_and_b32_e32 v11, 0x3ffffff0, v2
	s_delay_alu instid0(VALU_DEP_1)
	v_dual_mov_b32 v2, 0 :: v_dual_max_i32 v74, s45, v11
	s_and_saveexec_b32 s18, s13
	s_cbranch_execz .LBB10_1361
; %bb.725:                              ;   in Loop: Header=BB10_47 Depth=1
	v_add_nc_u64_e32 v[8:9], v[8:9], v[72:73]
	v_mov_b32_e32 v76, 0
	s_mov_b32 s61, 1
	s_mov_b32 s60, -1
	s_mov_b32 s27, 0
	s_delay_alu instid0(VALU_DEP_2)
	v_lshlrev_b64_e32 v[78:79], 1, v[8:9]
	s_branch .LBB10_727
.LBB10_726:                             ;   in Loop: Header=BB10_727 Depth=2
	s_wait_xcnt 0x0
	s_or_b32 exec_lo, exec_lo, s13
	v_dual_add_nc_u32 v76, v74, v76 :: v_dual_mov_b32 v2, s61
	s_xor_b32 s13, s60, -1
	s_mov_b32 s60, 0
	s_mov_b32 s61, 2
	s_delay_alu instid0(VALU_DEP_1) | instskip(SKIP_1) | instid1(SALU_CYCLE_1)
	v_cmp_ge_i32_e32 vcc_lo, v76, v126
	s_or_b32 s13, s13, vcc_lo
	s_and_b32 s13, exec_lo, s13
	s_delay_alu instid0(SALU_CYCLE_1) | instskip(NEXT) | instid1(SALU_CYCLE_1)
	s_or_b32 s27, s13, s27
	s_and_not1_b32 exec_lo, exec_lo, s27
	s_cbranch_execz .LBB10_1360
.LBB10_727:                             ;   Parent Loop BB10_47 Depth=1
                                        ; =>  This Loop Header: Depth=2
                                        ;       Child Loop BB10_735 Depth 3
                                        ;       Child Loop BB10_763 Depth 3
                                        ;       Child Loop BB10_782 Depth 3
                                        ;       Child Loop BB10_810 Depth 3
                                        ;       Child Loop BB10_942 Depth 3
                                        ;         Child Loop BB10_975 Depth 4
                                        ;       Child Loop BB10_985 Depth 3
                                        ;       Child Loop BB10_1053 Depth 3
                                        ;         Child Loop BB10_1058 Depth 4
                                        ;       Child Loop BB10_1071 Depth 3
                                        ;       Child Loop BB10_1204 Depth 3
	;; [unrolled: 1-line block ×6, first 2 shown]
	s_and_saveexec_b32 s13, s0
	s_cbranch_execz .LBB10_729
; %bb.728:                              ;   in Loop: Header=BB10_727 Depth=2
	s_trap 2
	ds_load_b64 v[12:13], v0
	ds_load_2addr_b64 v[8:11], v0 offset1:1
	s_wait_dscnt 0x1
	v_cmp_ne_u64_e32 vcc_lo, 0, v[12:13]
	v_ashrrev_i32_e32 v77, 31, v76
	v_add_nc_u64_e32 v[16:17], v[12:13], v[78:79]
	s_wait_dscnt 0x0
	v_add_nc_u64_e32 v[8:9], v[8:9], v[78:79]
	v_add_nc_u64_e32 v[10:11], v[10:11], v[78:79]
	v_lshlrev_b64_e32 v[14:15], 1, v[76:77]
	s_delay_alu instid0(VALU_DEP_1) | instskip(NEXT) | instid1(VALU_DEP_4)
	v_add_nc_u64_e32 v[16:17], v[16:17], v[14:15]
	v_add_nc_u64_e32 v[8:9], v[8:9], v[14:15]
	s_delay_alu instid0(VALU_DEP_4) | instskip(NEXT) | instid1(VALU_DEP_3)
	v_add_nc_u64_e32 v[10:11], v[10:11], v[14:15]
	v_dual_cndmask_b32 v13, 0, v17 :: v_dual_cndmask_b32 v12, 0, v16
	ds_store_b64 v0, v[8:9]
	ds_store_b64 v0, v[10:11]
	;; [unrolled: 1-line block ×3, first 2 shown]
.LBB10_729:                             ;   in Loop: Header=BB10_727 Depth=2
	s_or_b32 exec_lo, exec_lo, s13
	v_dual_sub_nc_u32 v2, v126, v76 :: v_dual_bitop2_b32 v8, 12, v30 bitop3:0x40
	s_mov_b32 s14, exec_lo
	s_delay_alu instid0(VALU_DEP_1) | instskip(NEXT) | instid1(VALU_DEP_2)
	v_min_i32_e32 v74, v74, v2
	v_cmpx_ne_u32_e32 0, v8
	s_cbranch_execz .LBB10_755
; %bb.730:                              ;   in Loop: Header=BB10_727 Depth=2
	v_and_b32_e32 v2, 8, v30
	v_add_nc_u64_e32 v[8:9], 2, v[60:61]
	s_mov_b32 s15, exec_lo
	s_wait_loadcnt_dscnt 0x1
	s_delay_alu instid0(VALU_DEP_2) | instskip(NEXT) | instid1(VALU_DEP_1)
	v_add_nc_u64_e32 v[10:11], v[82:83], v[2:3]
	v_cmpx_lt_u64_e64 v[10:11], v[8:9]
	s_cbranch_execz .LBB10_742
; %bb.731:                              ;   in Loop: Header=BB10_727 Depth=2
	v_and_b32_e32 v10, 64, v30
	s_mov_b32 s40, 0
	s_mov_b32 s72, 0
                                        ; implicit-def: $sgpr41
                                        ; implicit-def: $sgpr62
                                        ; implicit-def: $sgpr63
	s_delay_alu instid0(VALU_DEP_1)
	v_cmp_eq_u32_e32 vcc_lo, 0, v10
	s_branch .LBB10_735
.LBB10_732:                             ;   in Loop: Header=BB10_735 Depth=3
	s_wait_loadcnt_dscnt 0x0
	v_add_nc_u64_e32 v[12:13], v[82:83], v[2:3]
	s_or_b32 s75, s75, exec_lo
	s_delay_alu instid0(VALU_DEP_1)
	v_cmp_ge_u64_e64 s13, v[12:13], v[8:9]
	s_or_not1_b32 s74, s13, exec_lo
.LBB10_733:                             ;   in Loop: Header=BB10_735 Depth=3
	s_or_b32 exec_lo, exec_lo, s77
	s_delay_alu instid0(SALU_CYCLE_1)
	s_and_not1_b32 s13, s63, exec_lo
	s_and_b32 s63, s75, exec_lo
	s_and_not1_b32 s62, s62, exec_lo
	s_and_b32 s74, s74, exec_lo
	s_or_b32 s63, s13, s63
	s_or_b32 s62, s62, s74
.LBB10_734:                             ;   in Loop: Header=BB10_735 Depth=3
	s_or_b32 exec_lo, exec_lo, s73
	s_delay_alu instid0(SALU_CYCLE_1) | instskip(NEXT) | instid1(SALU_CYCLE_1)
	s_and_b32 s13, exec_lo, s62
	s_or_b32 s40, s13, s40
	s_and_not1_b32 s13, s41, exec_lo
	s_and_b32 s41, s63, exec_lo
	s_delay_alu instid0(SALU_CYCLE_1)
	s_or_b32 s41, s13, s41
	s_and_not1_b32 exec_lo, exec_lo, s40
	s_cbranch_execz .LBB10_739
.LBB10_735:                             ;   Parent Loop BB10_47 Depth=1
                                        ;     Parent Loop BB10_727 Depth=2
                                        ; =>    This Inner Loop Header: Depth=3
	s_sleep 1
	s_wait_loadcnt_dscnt 0x0
	flat_load_b64 v[82:83], v[64:65] scope:SCOPE_SYS
	s_or_b32 s63, s63, exec_lo
	s_or_b32 s62, s62, exec_lo
                                        ; implicit-def: $vgpr10
	s_wait_xcnt 0x0
	s_and_saveexec_b32 s73, vcc_lo
	s_cbranch_execz .LBB10_734
; %bb.736:                              ;   in Loop: Header=BB10_735 Depth=3
	s_cmp_lt_i32 s72, 0x270f
	s_mov_b32 s74, -1
	s_cselect_b32 s76, -1, 0
	s_cmp_gt_i32 s72, 0x270e
	s_cbranch_scc0 .LBB10_738
; %bb.737:                              ;   in Loop: Header=BB10_735 Depth=3
	s_trap 2
	ds_load_b64 v[10:11], v0
	s_and_not1_b32 s72, s76, exec_lo
	s_mov_b32 s75, 0
	s_wait_storecnt 0x0
	s_wait_loadcnt_dscnt 0x0
	flat_load_b32 v10, v[10:11] scope:SCOPE_SYS
	s_wait_loadcnt_dscnt 0x0
	global_inv scope:SCOPE_SYS
	v_cmp_eq_u32_e64 s13, 0, v10
	s_and_b32 s13, s13, exec_lo
	s_delay_alu instid0(SALU_CYCLE_1)
	s_or_b32 s76, s72, s13
	s_mov_b32 s72, 0
	s_and_saveexec_b32 s77, s76
	s_cbranch_execz .LBB10_733
	s_branch .LBB10_732
.LBB10_738:                             ;   in Loop: Header=BB10_735 Depth=3
	s_add_co_i32 s72, s72, 1
	s_mov_b32 s75, -1
                                        ; implicit-def: $vgpr10
	s_and_saveexec_b32 s77, s76
	s_cbranch_execz .LBB10_733
	s_branch .LBB10_732
.LBB10_739:                             ;   in Loop: Header=BB10_727 Depth=2
	s_or_b32 exec_lo, exec_lo, s40
	s_xor_b32 s13, s41, -1
	s_delay_alu instid0(SALU_CYCLE_1) | instskip(NEXT) | instid1(SALU_CYCLE_1)
	s_and_saveexec_b32 s40, s13
	s_xor_b32 s13, exec_lo, s40
	s_cbranch_execz .LBB10_741
; %bb.740:                              ;   in Loop: Header=BB10_727 Depth=2
	v_or_b32_e32 v30, 64, v30
	s_wait_storecnt 0x0
	s_wait_loadcnt_dscnt 0x0
	ds_store_b32 v0, v10
	s_trap 2
.LBB10_741:                             ;   in Loop: Header=BB10_727 Depth=2
	s_or_b32 exec_lo, exec_lo, s13
.LBB10_742:                             ;   in Loop: Header=BB10_727 Depth=2
	s_delay_alu instid0(SALU_CYCLE_1) | instskip(SKIP_2) | instid1(VALU_DEP_1)
	s_or_b32 exec_lo, exec_lo, s15
	v_and_b32_e32 v10, 0x108, v30
	;;#ASMSTART
	s_wakeup
	;;#ASMEND
	v_cmp_ne_u32_e32 vcc_lo, 0x108, v10
                                        ; implicit-def: $vgpr10_vgpr11
	s_and_saveexec_b32 s13, vcc_lo
	s_delay_alu instid0(SALU_CYCLE_1)
	s_xor_b32 s13, exec_lo, s13
; %bb.743:                              ;   in Loop: Header=BB10_727 Depth=2
	v_dual_mov_b32 v11, v3 :: v_dual_bitop2_b32 v10, 7, v60 bitop3:0x40
                                        ; implicit-def: $vgpr60_vgpr61
; %bb.744:                              ;   in Loop: Header=BB10_727 Depth=2
	s_and_not1_saveexec_b32 s13, s13
	s_cbranch_execz .LBB10_746
; %bb.745:                              ;   in Loop: Header=BB10_727 Depth=2
	v_dual_ashrrev_i32 v75, 31, v74 :: v_dual_bitop2_b32 v10, 7, v60 bitop3:0x40
	v_mov_b32_e32 v11, v3
	s_delay_alu instid0(VALU_DEP_2) | instskip(NEXT) | instid1(VALU_DEP_3)
	v_mad_nc_u64_u32 v[12:13], v10, 24, v[6:7]
	v_lshlrev_b64_e32 v[14:15], 1, v[74:75]
	flat_store_b64 v[12:13], v[14:15] offset:8
.LBB10_746:                             ;   in Loop: Header=BB10_727 Depth=2
	s_wait_xcnt 0x0
	s_or_b32 exec_lo, exec_lo, s13
	v_and_b32_e32 v12, 0x100, v30
	s_mov_b32 s13, -1
	s_delay_alu instid0(VALU_DEP_1)
	v_cmp_ne_u32_e32 vcc_lo, 0, v12
                                        ; implicit-def: $vgpr12_vgpr13
	s_and_saveexec_b32 s15, vcc_lo
	s_cbranch_execz .LBB10_750
; %bb.747:                              ;   in Loop: Header=BB10_727 Depth=2
	v_mad_nc_u64_u32 v[14:15], v10, 24, v[6:7]
	s_delay_alu instid0(VALU_DEP_1)
	v_mad_u32 v15, v11, 24, v15
	flat_load_b32 v12, v[14:15]
	s_wait_loadcnt_dscnt 0x0
	v_cmp_eq_u32_e64 s13, 1, v12
	v_cmp_ne_u32_e32 vcc_lo, 1, v12
                                        ; implicit-def: $vgpr12_vgpr13
	s_wait_xcnt 0x0
	s_and_saveexec_b32 s40, s13
	s_cbranch_execz .LBB10_749
; %bb.748:                              ;   in Loop: Header=BB10_727 Depth=2
	flat_load_b32 v12, v[14:15] offset:4 scope:SCOPE_SYS
	s_wait_loadcnt_dscnt 0x0
	v_ashrrev_i32_e32 v13, 31, v12
	s_delay_alu instid0(VALU_DEP_1)
	v_lshrrev_b64 v[12:13], 1, v[12:13]
.LBB10_749:                             ;   in Loop: Header=BB10_727 Depth=2
	s_wait_xcnt 0x0
	s_or_b32 exec_lo, exec_lo, s40
	s_delay_alu instid0(SALU_CYCLE_1)
	s_or_not1_b32 s13, vcc_lo, exec_lo
.LBB10_750:                             ;   in Loop: Header=BB10_727 Depth=2
	s_or_b32 exec_lo, exec_lo, s15
	s_and_saveexec_b32 s15, s13
; %bb.751:                              ;   in Loop: Header=BB10_727 Depth=2
	v_mul_u64_e32 v[12:13], v[10:11], v[66:67]
; %bb.752:                              ;   in Loop: Header=BB10_727 Depth=2
	s_or_b32 exec_lo, exec_lo, s15
	v_cmp_eq_u32_e32 vcc_lo, 0, v2
	v_and_b32_e32 v14, 0x2000, v30
	s_delay_alu instid0(VALU_DEP_3) | instskip(SKIP_2) | instid1(VALU_DEP_1)
	v_lshl_add_u64 v[10:11], v[12:13], 1, v[68:69]
	s_mov_b32 s13, exec_lo
	v_cndmask_b32_e32 v2, 0xd0, v122, vcc_lo
	v_add_nc_u32_e32 v2, v0, v2
	ds_store_b64 v2, v[10:11] offset:584
	v_cmpx_ne_u32_e32 0, v14
	s_cbranch_execz .LBB10_754
; %bb.753:                              ;   in Loop: Header=BB10_727 Depth=2
	ds_load_b64 v[10:11], v0 offset:872
	s_wait_dscnt 0x0
	v_add_nc_u64_e32 v[10:11], 1, v[10:11]
	ds_store_b64 v0, v[10:11] offset:872
.LBB10_754:                             ;   in Loop: Header=BB10_727 Depth=2
	s_or_b32 exec_lo, exec_lo, s13
	v_mov_b64_e32 v[60:61], v[8:9]
.LBB10_755:                             ;   in Loop: Header=BB10_727 Depth=2
	s_or_b32 exec_lo, exec_lo, s14
	s_and_saveexec_b32 s13, s2
	s_cbranch_execz .LBB10_774
; %bb.756:                              ;   in Loop: Header=BB10_727 Depth=2
	s_and_saveexec_b32 s14, s3
	s_delay_alu instid0(SALU_CYCLE_1)
	s_xor_b32 s14, exec_lo, s14
	s_cbranch_execz .LBB10_771
; %bb.757:                              ;   in Loop: Header=BB10_727 Depth=2
	s_and_saveexec_b32 s15, s6
	s_cbranch_execz .LBB10_770
; %bb.758:                              ;   in Loop: Header=BB10_727 Depth=2
	s_mov_b32 s41, exec_lo
	s_mov_b32 s40, exec_lo
	v_mbcnt_lo_u32_b32 v2, s41, 0
	global_wb scope:SCOPE_DEV
	s_wait_storecnt 0x0
	s_wait_loadcnt_dscnt 0x0
	global_inv scope:SCOPE_DEV
	v_cmpx_eq_u32_e32 0, v2
	s_cbranch_execz .LBB10_760
; %bb.759:                              ;   in Loop: Header=BB10_727 Depth=2
	s_bcnt1_i32_b32 s41, s41
	s_delay_alu instid0(SALU_CYCLE_1)
	v_mov_b32_e32 v2, s41
	s_wait_loadcnt 0x0
	ds_add_u64 v0, v[2:3]
	s_trap 2
.LBB10_760:                             ;   in Loop: Header=BB10_727 Depth=2
	s_or_b32 exec_lo, exec_lo, s40
	s_trap 2
	ds_load_b64 v[8:9], v0
	s_wait_dscnt 0x0
	v_add_nc_u64_e32 v[80:81], v[80:81], v[84:85]
	s_mov_b32 s40, exec_lo
	s_delay_alu instid0(VALU_DEP_1)
	v_cmpx_lt_u64_e64 v[8:9], v[80:81]
	s_cbranch_execz .LBB10_769
; %bb.761:                              ;   in Loop: Header=BB10_727 Depth=2
	s_mov_b32 s41, 0
	s_mov_b32 s72, 0
                                        ; implicit-def: $sgpr62
                                        ; implicit-def: $sgpr63
	s_branch .LBB10_763
.LBB10_762:                             ;   in Loop: Header=BB10_763 Depth=3
	s_or_b32 exec_lo, exec_lo, s74
	s_delay_alu instid0(SALU_CYCLE_1) | instskip(NEXT) | instid1(SALU_CYCLE_1)
	s_and_b32 s73, exec_lo, s75
	s_or_b32 s41, s73, s41
	s_and_not1_b32 s62, s62, exec_lo
	s_and_b32 s73, s63, exec_lo
	s_delay_alu instid0(SALU_CYCLE_1)
	s_or_b32 s62, s62, s73
	s_and_not1_b32 exec_lo, exec_lo, s41
	s_cbranch_execz .LBB10_767
.LBB10_763:                             ;   Parent Loop BB10_47 Depth=1
                                        ;     Parent Loop BB10_727 Depth=2
                                        ; =>    This Inner Loop Header: Depth=3
	s_add_co_i32 s72, s72, 1
	s_delay_alu instid0(SALU_CYCLE_1) | instskip(SKIP_1) | instid1(SALU_CYCLE_1)
	s_cmp_lg_u32 s72, 0x2710
	s_cselect_b32 s73, -1, 0
	s_and_b32 vcc_lo, exec_lo, s73
	s_cbranch_vccz .LBB10_765
; %bb.764:                              ;   in Loop: Header=BB10_763 Depth=3
	s_mov_b32 s75, -1
	s_or_b32 s63, s63, exec_lo
	s_and_saveexec_b32 s74, s73
	s_cbranch_execz .LBB10_762
	s_branch .LBB10_766
.LBB10_765:                             ;   in Loop: Header=BB10_763 Depth=3
	s_trap 2
	ds_load_b64 v[8:9], v0
	s_and_not1_b32 s73, s73, exec_lo
	s_mov_b32 s72, 0
	s_wait_loadcnt_dscnt 0x0
	flat_load_b32 v2, v[8:9] scope:SCOPE_SYS
	s_wait_loadcnt_dscnt 0x0
	global_inv scope:SCOPE_SYS
	v_cmp_eq_u32_e32 vcc_lo, 0, v2
	s_and_b32 s74, vcc_lo, exec_lo
	s_delay_alu instid0(SALU_CYCLE_1)
	s_or_b32 s73, s73, s74
	s_mov_b32 s75, -1
	s_or_b32 s63, s63, exec_lo
	s_and_saveexec_b32 s74, s73
	s_cbranch_execz .LBB10_762
.LBB10_766:                             ;   in Loop: Header=BB10_763 Depth=3
	s_sleep 1
	s_trap 2
	ds_load_b64 v[8:9], v0
	s_wait_dscnt 0x0
	s_and_not1_b32 s63, s63, exec_lo
	v_cmp_ge_u64_e32 vcc_lo, v[8:9], v[80:81]
	s_or_not1_b32 s75, vcc_lo, exec_lo
	s_branch .LBB10_762
.LBB10_767:                             ;   in Loop: Header=BB10_727 Depth=2
	s_or_b32 exec_lo, exec_lo, s41
	s_and_saveexec_b32 s41, s62
	s_delay_alu instid0(SALU_CYCLE_1)
	s_xor_b32 s41, exec_lo, s41
	s_cbranch_execz .LBB10_769
; %bb.768:                              ;   in Loop: Header=BB10_727 Depth=2
	ds_store_b32 v0, v121
	s_trap 2
.LBB10_769:                             ;   in Loop: Header=BB10_727 Depth=2
	s_or_b32 exec_lo, exec_lo, s40
	;;#ASMSTART
	s_wakeup
	;;#ASMEND
.LBB10_770:                             ;   in Loop: Header=BB10_727 Depth=2
	s_or_b32 exec_lo, exec_lo, s15
.LBB10_771:                             ;   in Loop: Header=BB10_727 Depth=2
	s_and_not1_saveexec_b32 s14, s14
	s_cbranch_execz .LBB10_773
; %bb.772:                              ;   in Loop: Header=BB10_727 Depth=2
	global_wb scope:SCOPE_DEV
	s_wait_storecnt 0x0
	s_wait_loadcnt_dscnt 0x0
	global_inv scope:SCOPE_DEV
	s_barrier_signal -1
	s_barrier_wait -1
.LBB10_773:                             ;   in Loop: Header=BB10_727 Depth=2
	s_or_b32 exec_lo, exec_lo, s14
.LBB10_774:                             ;   in Loop: Header=BB10_727 Depth=2
	s_delay_alu instid0(SALU_CYCLE_1) | instskip(SKIP_4) | instid1(VALU_DEP_1)
	s_or_b32 exec_lo, exec_lo, s13
	s_trap 2
	ds_load_b32 v8, v0
	v_and_b32_e32 v2, 0x4000, v30
	s_xor_b32 s13, s1, -1
	v_cmp_ne_u32_e32 vcc_lo, 0, v2
	s_and_b32 s14, s13, vcc_lo
	s_delay_alu instid0(SALU_CYCLE_1)
	s_and_saveexec_b32 s13, s14
	s_cbranch_execz .LBB10_793
; %bb.775:                              ;   in Loop: Header=BB10_727 Depth=2
	s_and_saveexec_b32 s14, s3
	s_delay_alu instid0(SALU_CYCLE_1)
	s_xor_b32 s14, exec_lo, s14
	s_cbranch_execz .LBB10_790
; %bb.776:                              ;   in Loop: Header=BB10_727 Depth=2
	s_and_saveexec_b32 s15, s6
	s_cbranch_execz .LBB10_789
; %bb.777:                              ;   in Loop: Header=BB10_727 Depth=2
	s_mov_b32 s41, exec_lo
	s_mov_b32 s40, exec_lo
	v_mbcnt_lo_u32_b32 v2, s41, 0
	global_wb scope:SCOPE_DEV
	s_wait_storecnt 0x0
	s_wait_loadcnt_dscnt 0x0
	global_inv scope:SCOPE_DEV
	v_cmpx_eq_u32_e32 0, v2
	s_cbranch_execz .LBB10_779
; %bb.778:                              ;   in Loop: Header=BB10_727 Depth=2
	s_bcnt1_i32_b32 s41, s41
	s_delay_alu instid0(SALU_CYCLE_1)
	v_mov_b32_e32 v2, s41
	s_wait_loadcnt 0x0
	ds_add_u64 v0, v[2:3]
	s_trap 2
.LBB10_779:                             ;   in Loop: Header=BB10_727 Depth=2
	s_or_b32 exec_lo, exec_lo, s40
	s_trap 2
	ds_load_b64 v[10:11], v0
	s_wait_dscnt 0x0
	v_add_nc_u64_e32 v[80:81], v[80:81], v[84:85]
	s_mov_b32 s40, exec_lo
	s_delay_alu instid0(VALU_DEP_1)
	v_cmpx_lt_u64_e64 v[10:11], v[80:81]
	s_cbranch_execz .LBB10_788
; %bb.780:                              ;   in Loop: Header=BB10_727 Depth=2
	s_mov_b32 s41, 0
	s_mov_b32 s72, 0
                                        ; implicit-def: $sgpr62
                                        ; implicit-def: $sgpr63
	s_branch .LBB10_782
.LBB10_781:                             ;   in Loop: Header=BB10_782 Depth=3
	s_or_b32 exec_lo, exec_lo, s74
	s_delay_alu instid0(SALU_CYCLE_1) | instskip(NEXT) | instid1(SALU_CYCLE_1)
	s_and_b32 s73, exec_lo, s75
	s_or_b32 s41, s73, s41
	s_and_not1_b32 s62, s62, exec_lo
	s_and_b32 s73, s63, exec_lo
	s_delay_alu instid0(SALU_CYCLE_1)
	s_or_b32 s62, s62, s73
	s_and_not1_b32 exec_lo, exec_lo, s41
	s_cbranch_execz .LBB10_786
.LBB10_782:                             ;   Parent Loop BB10_47 Depth=1
                                        ;     Parent Loop BB10_727 Depth=2
                                        ; =>    This Inner Loop Header: Depth=3
	s_add_co_i32 s72, s72, 1
	s_delay_alu instid0(SALU_CYCLE_1) | instskip(SKIP_1) | instid1(SALU_CYCLE_1)
	s_cmp_lg_u32 s72, 0x2710
	s_cselect_b32 s73, -1, 0
	s_and_b32 vcc_lo, exec_lo, s73
	s_cbranch_vccz .LBB10_784
; %bb.783:                              ;   in Loop: Header=BB10_782 Depth=3
	s_mov_b32 s75, -1
	s_or_b32 s63, s63, exec_lo
	s_and_saveexec_b32 s74, s73
	s_cbranch_execz .LBB10_781
	s_branch .LBB10_785
.LBB10_784:                             ;   in Loop: Header=BB10_782 Depth=3
	s_trap 2
	ds_load_b64 v[10:11], v0
	s_and_not1_b32 s73, s73, exec_lo
	s_mov_b32 s72, 0
	s_wait_loadcnt_dscnt 0x0
	flat_load_b32 v2, v[10:11] scope:SCOPE_SYS
	s_wait_loadcnt_dscnt 0x0
	global_inv scope:SCOPE_SYS
	v_cmp_eq_u32_e32 vcc_lo, 0, v2
	s_and_b32 s74, vcc_lo, exec_lo
	s_delay_alu instid0(SALU_CYCLE_1)
	s_or_b32 s73, s73, s74
	s_mov_b32 s75, -1
	s_or_b32 s63, s63, exec_lo
	s_and_saveexec_b32 s74, s73
	s_cbranch_execz .LBB10_781
.LBB10_785:                             ;   in Loop: Header=BB10_782 Depth=3
	s_sleep 1
	s_trap 2
	ds_load_b64 v[10:11], v0
	s_wait_dscnt 0x0
	s_and_not1_b32 s63, s63, exec_lo
	v_cmp_ge_u64_e32 vcc_lo, v[10:11], v[80:81]
	s_or_not1_b32 s75, vcc_lo, exec_lo
	s_branch .LBB10_781
.LBB10_786:                             ;   in Loop: Header=BB10_727 Depth=2
	s_or_b32 exec_lo, exec_lo, s41
	s_and_saveexec_b32 s41, s62
	s_delay_alu instid0(SALU_CYCLE_1)
	s_xor_b32 s41, exec_lo, s41
	s_cbranch_execz .LBB10_788
; %bb.787:                              ;   in Loop: Header=BB10_727 Depth=2
	ds_store_b32 v0, v121
	s_trap 2
.LBB10_788:                             ;   in Loop: Header=BB10_727 Depth=2
	s_or_b32 exec_lo, exec_lo, s40
	;;#ASMSTART
	s_wakeup
	;;#ASMEND
.LBB10_789:                             ;   in Loop: Header=BB10_727 Depth=2
	s_or_b32 exec_lo, exec_lo, s15
.LBB10_790:                             ;   in Loop: Header=BB10_727 Depth=2
	s_and_not1_saveexec_b32 s14, s14
	s_cbranch_execz .LBB10_792
; %bb.791:                              ;   in Loop: Header=BB10_727 Depth=2
	global_wb scope:SCOPE_DEV
	s_wait_storecnt 0x0
	s_wait_loadcnt_dscnt 0x0
	global_inv scope:SCOPE_DEV
	s_barrier_signal -1
	s_barrier_wait -1
.LBB10_792:                             ;   in Loop: Header=BB10_727 Depth=2
	s_or_b32 exec_lo, exec_lo, s14
.LBB10_793:                             ;   in Loop: Header=BB10_727 Depth=2
	s_delay_alu instid0(SALU_CYCLE_1)
	s_or_b32 exec_lo, exec_lo, s13
	s_trap 2
	ds_load_b64 v[88:89], v0
	s_wait_dscnt 0x0
	v_cmp_eq_u64_e32 vcc_lo, 0, v[88:89]
	s_cbranch_vccnz .LBB10_802
; %bb.794:                              ;   in Loop: Header=BB10_727 Depth=2
	s_trap 2
	ds_load_b64 v[90:91], v0
	s_wait_dscnt 0x0
	v_cmp_eq_u64_e32 vcc_lo, 0, v[90:91]
	s_cbranch_vccnz .LBB10_802
; %bb.795:                              ;   in Loop: Header=BB10_727 Depth=2
	s_trap 2
	ds_load_b64 v[92:93], v0
	v_cmp_eq_u32_e32 vcc_lo, 0, v8
	s_mov_b32 s13, -1
	v_cndmask_b32_e32 v2, 0, v74, vcc_lo
	s_delay_alu instid0(VALU_DEP_1)
	v_lshlrev_b32_e32 v75, 1, v2
	s_wait_dscnt 0x0
	v_cmp_ne_u64_e32 vcc_lo, 0, v[92:93]
	s_cbranch_vccz .LBB10_1061
; %bb.796:                              ;   in Loop: Header=BB10_727 Depth=2
	s_and_saveexec_b32 s14, s12
	s_cbranch_execz .LBB10_798
; %bb.797:                              ;   in Loop: Header=BB10_727 Depth=2
	ds_load_b32 v8, v0 offset:720
	s_wait_dscnt 0x0
	v_and_b32_e32 v8, 15, v8
	s_delay_alu instid0(VALU_DEP_1)
	v_cmp_eq_u32_e32 vcc_lo, 0, v8
	s_or_not1_b32 s13, vcc_lo, exec_lo
.LBB10_798:                             ;   in Loop: Header=BB10_727 Depth=2
	s_or_b32 exec_lo, exec_lo, s14
	s_and_saveexec_b32 s14, s12
	s_cbranch_execz .LBB10_800
; %bb.799:                              ;   in Loop: Header=BB10_727 Depth=2
	ds_load_b32 v8, v0 offset:784
	s_wait_dscnt 0x0
	v_and_b32_e32 v8, 15, v8
	s_delay_alu instid0(VALU_DEP_1) | instskip(SKIP_3) | instid1(SALU_CYCLE_1)
	v_cmp_eq_u32_e32 vcc_lo, 0, v8
	s_and_b32 s15, s13, vcc_lo
	s_and_not1_b32 s13, s13, exec_lo
	s_and_b32 s15, s15, exec_lo
	s_or_b32 s13, s13, s15
.LBB10_800:                             ;   in Loop: Header=BB10_727 Depth=2
	s_or_b32 exec_lo, exec_lo, s14
	s_xor_b32 s13, s13, -1
	v_dual_mov_b32 v16, 0 :: v_dual_mov_b32 v17, v75
	v_cndmask_b32_e64 v8, 0, 1, s13
	v_mov_b32_e32 v18, v0
	s_mov_b32 s13, -1
	s_delay_alu instid0(VALU_DEP_2)
	v_cmp_ne_u32_e32 vcc_lo, 0, v8
	v_mov_b32_e32 v8, v124
	s_cbranch_vccz .LBB10_807
; %bb.801:                              ;   in Loop: Header=BB10_727 Depth=2
	s_and_saveexec_b32 s15, s13
	s_cbranch_execnz .LBB10_982
	s_branch .LBB10_1060
.LBB10_802:                             ;   in Loop: Header=BB10_727 Depth=2
	s_mov_b32 s13, 0
	s_and_saveexec_b32 s14, s2
	s_cbranch_execnz .LBB10_1319
.LBB10_803:                             ;   in Loop: Header=BB10_727 Depth=2
	s_or_b32 exec_lo, exec_lo, s14
                                        ; implicit-def: $vgpr2
	s_and_saveexec_b32 s14, s10
	s_delay_alu instid0(SALU_CYCLE_1)
	s_xor_b32 s14, exec_lo, s14
	s_cbranch_execz .LBB10_1337
.LBB10_804:                             ;   in Loop: Header=BB10_727 Depth=2
	v_and_b32_e32 v2, 16, v30
	s_delay_alu instid0(VALU_DEP_1) | instskip(SKIP_2) | instid1(SALU_CYCLE_1)
	v_cmp_ne_u32_e32 vcc_lo, 0, v2
	v_and_b32_e32 v2, 16, v30
	s_and_b32 s15, vcc_lo, s13
	s_and_saveexec_b32 s13, s15
	s_cbranch_execz .LBB10_806
; %bb.805:                              ;   in Loop: Header=BB10_727 Depth=2
	v_mov_b32_e32 v2, 1
	global_wb scope:SCOPE_SYS
	s_wait_storecnt 0x0
	s_wait_loadcnt_dscnt 0x0
	global_inv scope:SCOPE_SYS
.LBB10_806:                             ;   in Loop: Header=BB10_727 Depth=2
	s_or_b32 exec_lo, exec_lo, s13
	s_and_not1_saveexec_b32 s13, s14
	s_cbranch_execz .LBB10_1356
	s_branch .LBB10_1338
.LBB10_807:                             ;   in Loop: Header=BB10_727 Depth=2
	v_ashrrev_i32_e32 v8, 31, v75
	s_mov_b32 s13, exec_lo
	s_delay_alu instid0(VALU_DEP_1) | instskip(NEXT) | instid1(VALU_DEP_1)
	v_lshrrev_b32_e32 v8, 21, v8
	v_add_nc_u32_e32 v8, v75, v8
	s_delay_alu instid0(VALU_DEP_1) | instskip(NEXT) | instid1(VALU_DEP_1)
	v_ashrrev_i32_e32 v52, 11, v8
	v_sub_nc_u32_e32 v77, v52, v124
	s_delay_alu instid0(VALU_DEP_1)
	v_cmpx_lt_i32_e32 0, v77
	s_cbranch_execz .LBB10_939
; %bb.808:                              ;   in Loop: Header=BB10_727 Depth=2
	s_trap 2
	ds_load_b64 v[8:9], v0
	v_add_nc_u64_e32 v[94:95], v[90:91], v[56:57]
	v_add_nc_u64_e32 v[104:105], v[92:93], v[56:57]
	;; [unrolled: 1-line block ×3, first 2 shown]
	s_mov_b32 s14, 0
	s_wait_dscnt 0x0
	v_add_nc_u64_e32 v[108:109], v[8:9], v[56:57]
	s_branch .LBB10_810
.LBB10_809:                             ;   in Loop: Header=BB10_810 Depth=3
	s_or_b32 exec_lo, exec_lo, s15
	v_dual_lshrrev_b32 v8, 16, v24 :: v_dual_lshrrev_b32 v9, 16, v35
	v_dual_lshrrev_b32 v15, 16, v25 :: v_dual_lshrrev_b32 v22, 16, v22
	v_lshrrev_b32_e32 v24, 16, v36
	s_delay_alu instid0(VALU_DEP_3) | instskip(SKIP_1) | instid1(VALU_DEP_4)
	v_and_or_b32 v97, 0xffff0000, v21, v8
	v_lshrrev_b32_e32 v8, 16, v51
	v_and_or_b32 v98, 0xffff0000, v18, v15
	v_and_or_b32 v96, 0xffff0000, v20, v9
	v_lshrrev_b32_e32 v15, 16, v110
	v_lshrrev_b32_e32 v9, 16, v34
	v_and_or_b32 v18, 0xffff0000, v32, v8
	v_lshrrev_b32_e32 v8, 16, v37
	v_and_or_b32 v99, 0xffff0000, v19, v22
	v_dual_lshrrev_b32 v22, 16, v53 :: v_dual_lshrrev_b32 v32, 16, v111
	v_and_or_b32 v21, 0xffff0000, v27, v9
	s_delay_alu instid0(VALU_DEP_4)
	v_and_or_b32 v20, 0xffff0000, v26, v8
	v_lshrrev_b32_e32 v8, 16, v50
	v_and_or_b32 v25, 0xffff0000, v49, v15
	v_dual_lshrrev_b32 v9, 16, v16 :: v_dual_lshrrev_b32 v15, 16, v23
	v_dual_lshrrev_b32 v16, 16, v17 :: v_dual_lshrrev_b32 v14, 16, v14
	v_and_or_b32 v19, 0xffff0000, v33, v24
	v_and_or_b32 v24, 0xffff0000, v48, v22
	v_and_or_b32 v26, 0xffff0000, v38, v32
	v_and_or_b32 v27, 0xffff0000, v39, v8
	v_sub_nc_u32_e32 v77, v77, v84
	v_and_or_b32 v9, 0xffff0000, v13, v9
	v_and_or_b32 v8, 0xffff0000, v12, v15
	;; [unrolled: 1-line block ×4, first 2 shown]
	s_clause 0x3
	global_store_b128 v[94:95], v[24:27], off th:TH_STORE_NT
	global_store_b128 v[94:95], v[18:21], off offset:512 th:TH_STORE_NT
	global_store_b128 v[94:95], v[96:99], off offset:1024 th:TH_STORE_NT
	;; [unrolled: 1-line block ×3, first 2 shown]
	s_clause 0x3
	global_store_b128 v[104:105], v[24:27], off th:TH_STORE_NT
	global_store_b128 v[104:105], v[18:21], off offset:512 th:TH_STORE_NT
	global_store_b128 v[104:105], v[96:99], off offset:1024 th:TH_STORE_NT
	;; [unrolled: 1-line block ×3, first 2 shown]
	v_add_nc_u64_e32 v[106:107], v[106:107], v[116:117]
	v_add_nc_u64_e32 v[108:109], v[108:109], v[116:117]
	s_wait_xcnt 0x4
	v_add_nc_u64_e32 v[94:95], v[94:95], v[116:117]
	v_cmp_gt_i32_e32 vcc_lo, 1, v77
	s_wait_xcnt 0x0
	v_add_nc_u64_e32 v[104:105], v[104:105], v[116:117]
	s_or_b32 s14, vcc_lo, s14
	s_delay_alu instid0(SALU_CYCLE_1)
	s_and_not1_b32 exec_lo, exec_lo, s14
	s_cbranch_execz .LBB10_938
.LBB10_810:                             ;   Parent Loop BB10_47 Depth=1
                                        ;     Parent Loop BB10_727 Depth=2
                                        ; =>    This Inner Loop Header: Depth=3
	global_load_b128 v[36:39], v[106:107], off th:TH_LOAD_NT
	global_load_b128 v[48:51], v[108:109], off th:TH_LOAD_NT
	s_clause 0x2
	global_load_b128 v[24:27], v[106:107], off offset:512 th:TH_LOAD_NT
	global_load_b128 v[16:19], v[106:107], off offset:1024 th:TH_LOAD_NT
	;; [unrolled: 1-line block ×3, first 2 shown]
	s_clause 0x2
	global_load_b128 v[32:35], v[108:109], off offset:512 th:TH_LOAD_NT
	global_load_b128 v[20:23], v[108:109], off offset:1024 th:TH_LOAD_NT
	;; [unrolled: 1-line block ×3, first 2 shown]
	s_wait_loadcnt 0x7
	v_lshlrev_b32_e32 v53, 16, v36
	s_wait_loadcnt 0x6
	v_lshlrev_b32_e32 v96, 16, v48
	s_delay_alu instid0(VALU_DEP_1) | instskip(NEXT) | instid1(VALU_DEP_1)
	v_mul_f32_e32 v110, v53, v96
	v_and_b32_e32 v53, 0x7f800000, v110
	s_delay_alu instid0(VALU_DEP_1) | instskip(SKIP_2) | instid1(SALU_CYCLE_1)
	v_cmp_ne_u32_e32 vcc_lo, 0x7f800000, v53
                                        ; implicit-def: $vgpr53
	s_wait_xcnt 0x0
	s_and_saveexec_b32 s15, vcc_lo
	s_xor_b32 s15, exec_lo, s15
; %bb.811:                              ;   in Loop: Header=BB10_810 Depth=3
	v_bfe_u32 v53, v110, 16, 1
	s_delay_alu instid0(VALU_DEP_1)
	v_add3_u32 v53, v110, v53, 0x7fff
                                        ; implicit-def: $vgpr110
; %bb.812:                              ;   in Loop: Header=BB10_810 Depth=3
	s_and_not1_saveexec_b32 s15, s15
; %bb.813:                              ;   in Loop: Header=BB10_810 Depth=3
	v_and_b32_e32 v53, 0xffff, v110
	v_or_b32_e32 v96, 0x10000, v110
	s_delay_alu instid0(VALU_DEP_2) | instskip(NEXT) | instid1(VALU_DEP_2)
	v_cmp_eq_u32_e32 vcc_lo, 0, v53
	v_cndmask_b32_e32 v53, v96, v110, vcc_lo
; %bb.814:                              ;   in Loop: Header=BB10_810 Depth=3
	s_or_b32 exec_lo, exec_lo, s15
	v_and_b32_e32 v97, 0xffff0000, v48
	v_and_b32_e32 v96, 0xffff0000, v36
	s_mov_b32 s15, exec_lo
                                        ; implicit-def: $vgpr48
	s_delay_alu instid0(VALU_DEP_2) | instskip(NEXT) | instid1(VALU_DEP_1)
	v_mov_b32_e32 v36, v97
	v_pk_mul_f32 v[110:111], v[36:37], v[96:97]
	s_delay_alu instid0(VALU_DEP_1) | instskip(NEXT) | instid1(VALU_DEP_1)
	v_and_b32_e32 v36, 0x7f800000, v110
	v_cmpx_ne_u32_e32 0x7f800000, v36
	s_xor_b32 s15, exec_lo, s15
; %bb.815:                              ;   in Loop: Header=BB10_810 Depth=3
	v_bfe_u32 v36, v110, 16, 1
	s_delay_alu instid0(VALU_DEP_1)
	v_add3_u32 v48, v110, v36, 0x7fff
                                        ; implicit-def: $vgpr110_vgpr111
; %bb.816:                              ;   in Loop: Header=BB10_810 Depth=3
	s_and_not1_saveexec_b32 s15, s15
; %bb.817:                              ;   in Loop: Header=BB10_810 Depth=3
	v_and_b32_e32 v36, 0xffff, v110
	v_or_b32_e32 v48, 0x10000, v110
	s_delay_alu instid0(VALU_DEP_2) | instskip(NEXT) | instid1(VALU_DEP_2)
	v_cmp_eq_u32_e32 vcc_lo, 0, v36
	v_cndmask_b32_e32 v48, v48, v110, vcc_lo
; %bb.818:                              ;   in Loop: Header=BB10_810 Depth=3
	s_or_b32 exec_lo, exec_lo, s15
	v_lshlrev_b32_e32 v36, 16, v37
	v_lshlrev_b32_e32 v96, 16, v49
	s_mov_b32 s15, exec_lo
                                        ; implicit-def: $vgpr110
	s_delay_alu instid0(VALU_DEP_1) | instskip(NEXT) | instid1(VALU_DEP_1)
	v_mul_f32_e32 v36, v96, v36
	v_and_b32_e32 v96, 0x7f800000, v36
	s_delay_alu instid0(VALU_DEP_1)
	v_cmpx_ne_u32_e32 0x7f800000, v96
	s_xor_b32 s15, exec_lo, s15
; %bb.819:                              ;   in Loop: Header=BB10_810 Depth=3
	v_bfe_u32 v96, v36, 16, 1
	s_delay_alu instid0(VALU_DEP_1)
	v_add3_u32 v110, v36, v96, 0x7fff
                                        ; implicit-def: $vgpr36
; %bb.820:                              ;   in Loop: Header=BB10_810 Depth=3
	s_and_not1_saveexec_b32 s15, s15
; %bb.821:                              ;   in Loop: Header=BB10_810 Depth=3
	v_and_b32_e32 v96, 0xffff, v36
	v_or_b32_e32 v97, 0x10000, v36
	s_delay_alu instid0(VALU_DEP_2) | instskip(NEXT) | instid1(VALU_DEP_2)
	v_cmp_eq_u32_e32 vcc_lo, 0, v96
	v_cndmask_b32_e32 v110, v97, v36, vcc_lo
; %bb.822:                              ;   in Loop: Header=BB10_810 Depth=3
	s_or_b32 exec_lo, exec_lo, s15
	v_and_b32_e32 v97, 0xffff0000, v49
	v_and_b32_e32 v96, 0xffff0000, v37
	s_mov_b32 s15, exec_lo
                                        ; implicit-def: $vgpr49
	s_delay_alu instid0(VALU_DEP_2) | instskip(NEXT) | instid1(VALU_DEP_1)
	v_mov_b32_e32 v36, v97
	v_pk_mul_f32 v[36:37], v[36:37], v[96:97]
	s_delay_alu instid0(VALU_DEP_1) | instskip(NEXT) | instid1(VALU_DEP_1)
	v_and_b32_e32 v37, 0x7f800000, v36
	v_cmpx_ne_u32_e32 0x7f800000, v37
	s_xor_b32 s15, exec_lo, s15
; %bb.823:                              ;   in Loop: Header=BB10_810 Depth=3
	v_bfe_u32 v37, v36, 16, 1
	s_delay_alu instid0(VALU_DEP_1)
	v_add3_u32 v49, v36, v37, 0x7fff
                                        ; implicit-def: $vgpr36_vgpr37
; %bb.824:                              ;   in Loop: Header=BB10_810 Depth=3
	s_and_not1_saveexec_b32 s15, s15
; %bb.825:                              ;   in Loop: Header=BB10_810 Depth=3
	v_and_b32_e32 v37, 0xffff, v36
	v_or_b32_e32 v49, 0x10000, v36
	s_delay_alu instid0(VALU_DEP_2) | instskip(NEXT) | instid1(VALU_DEP_2)
	v_cmp_eq_u32_e32 vcc_lo, 0, v37
	v_cndmask_b32_e32 v49, v49, v36, vcc_lo
; %bb.826:                              ;   in Loop: Header=BB10_810 Depth=3
	s_or_b32 exec_lo, exec_lo, s15
	v_lshlrev_b32_e32 v36, 16, v38
	v_lshlrev_b32_e32 v37, 16, v50
	s_mov_b32 s15, exec_lo
                                        ; implicit-def: $vgpr111
	s_delay_alu instid0(VALU_DEP_1) | instskip(NEXT) | instid1(VALU_DEP_1)
	v_mul_f32_e32 v36, v37, v36
	v_and_b32_e32 v37, 0x7f800000, v36
	s_delay_alu instid0(VALU_DEP_1)
	v_cmpx_ne_u32_e32 0x7f800000, v37
	s_xor_b32 s15, exec_lo, s15
; %bb.827:                              ;   in Loop: Header=BB10_810 Depth=3
	v_bfe_u32 v37, v36, 16, 1
	s_delay_alu instid0(VALU_DEP_1)
	v_add3_u32 v111, v36, v37, 0x7fff
                                        ; implicit-def: $vgpr36
; %bb.828:                              ;   in Loop: Header=BB10_810 Depth=3
	s_and_not1_saveexec_b32 s15, s15
; %bb.829:                              ;   in Loop: Header=BB10_810 Depth=3
	v_and_b32_e32 v37, 0xffff, v36
	v_or_b32_e32 v96, 0x10000, v36
	s_delay_alu instid0(VALU_DEP_2) | instskip(NEXT) | instid1(VALU_DEP_2)
	v_cmp_eq_u32_e32 vcc_lo, 0, v37
	v_cndmask_b32_e32 v111, v96, v36, vcc_lo
; %bb.830:                              ;   in Loop: Header=BB10_810 Depth=3
	s_or_b32 exec_lo, exec_lo, s15
	v_and_b32_e32 v37, 0xffff0000, v50
	v_and_b32_e32 v36, 0xffff0000, v38
	s_mov_b32 s15, exec_lo
	s_delay_alu instid0(VALU_DEP_2) | instskip(NEXT) | instid1(VALU_DEP_1)
	v_mov_b32_e32 v38, v37
	v_pk_mul_f32 v[36:37], v[38:39], v[36:37]
                                        ; implicit-def: $vgpr38
	s_delay_alu instid0(VALU_DEP_1) | instskip(NEXT) | instid1(VALU_DEP_1)
	v_and_b32_e32 v37, 0x7f800000, v36
	v_cmpx_ne_u32_e32 0x7f800000, v37
	s_xor_b32 s15, exec_lo, s15
; %bb.831:                              ;   in Loop: Header=BB10_810 Depth=3
	v_bfe_u32 v37, v36, 16, 1
	s_delay_alu instid0(VALU_DEP_1)
	v_add3_u32 v38, v36, v37, 0x7fff
                                        ; implicit-def: $vgpr36_vgpr37
; %bb.832:                              ;   in Loop: Header=BB10_810 Depth=3
	s_and_not1_saveexec_b32 s15, s15
; %bb.833:                              ;   in Loop: Header=BB10_810 Depth=3
	v_and_b32_e32 v37, 0xffff, v36
	v_or_b32_e32 v38, 0x10000, v36
	s_delay_alu instid0(VALU_DEP_2) | instskip(NEXT) | instid1(VALU_DEP_2)
	v_cmp_eq_u32_e32 vcc_lo, 0, v37
	v_cndmask_b32_e32 v38, v38, v36, vcc_lo
; %bb.834:                              ;   in Loop: Header=BB10_810 Depth=3
	s_or_b32 exec_lo, exec_lo, s15
	v_lshlrev_b32_e32 v36, 16, v39
	v_lshlrev_b32_e32 v37, 16, v51
	s_mov_b32 s15, exec_lo
                                        ; implicit-def: $vgpr50
	s_delay_alu instid0(VALU_DEP_1) | instskip(NEXT) | instid1(VALU_DEP_1)
	v_mul_f32_e32 v36, v37, v36
	v_and_b32_e32 v37, 0x7f800000, v36
	s_delay_alu instid0(VALU_DEP_1)
	v_cmpx_ne_u32_e32 0x7f800000, v37
	s_xor_b32 s15, exec_lo, s15
; %bb.835:                              ;   in Loop: Header=BB10_810 Depth=3
	v_bfe_u32 v37, v36, 16, 1
	s_delay_alu instid0(VALU_DEP_1)
	v_add3_u32 v50, v36, v37, 0x7fff
                                        ; implicit-def: $vgpr36
; %bb.836:                              ;   in Loop: Header=BB10_810 Depth=3
	s_and_not1_saveexec_b32 s15, s15
; %bb.837:                              ;   in Loop: Header=BB10_810 Depth=3
	v_and_b32_e32 v37, 0xffff, v36
	v_or_b32_e32 v50, 0x10000, v36
	s_delay_alu instid0(VALU_DEP_2) | instskip(NEXT) | instid1(VALU_DEP_2)
	v_cmp_eq_u32_e32 vcc_lo, 0, v37
	v_cndmask_b32_e32 v50, v50, v36, vcc_lo
; %bb.838:                              ;   in Loop: Header=BB10_810 Depth=3
	s_or_b32 exec_lo, exec_lo, s15
	v_and_b32_e32 v37, 0xffff0000, v51
	v_and_b32_e32 v36, 0xffff0000, v39
	s_mov_b32 s15, exec_lo
                                        ; implicit-def: $vgpr39
	s_delay_alu instid0(VALU_DEP_2) | instskip(NEXT) | instid1(VALU_DEP_1)
	v_mov_b32_e32 v96, v37
	v_pk_mul_f32 v[36:37], v[96:97], v[36:37]
	s_delay_alu instid0(VALU_DEP_1) | instskip(NEXT) | instid1(VALU_DEP_1)
	v_and_b32_e32 v37, 0x7f800000, v36
	v_cmpx_ne_u32_e32 0x7f800000, v37
	s_xor_b32 s15, exec_lo, s15
; %bb.839:                              ;   in Loop: Header=BB10_810 Depth=3
	v_bfe_u32 v37, v36, 16, 1
	s_delay_alu instid0(VALU_DEP_1)
	v_add3_u32 v39, v36, v37, 0x7fff
                                        ; implicit-def: $vgpr36_vgpr37
; %bb.840:                              ;   in Loop: Header=BB10_810 Depth=3
	s_and_not1_saveexec_b32 s15, s15
; %bb.841:                              ;   in Loop: Header=BB10_810 Depth=3
	v_and_b32_e32 v37, 0xffff, v36
	v_or_b32_e32 v39, 0x10000, v36
	s_delay_alu instid0(VALU_DEP_2) | instskip(NEXT) | instid1(VALU_DEP_2)
	v_cmp_eq_u32_e32 vcc_lo, 0, v37
	v_cndmask_b32_e32 v39, v39, v36, vcc_lo
; %bb.842:                              ;   in Loop: Header=BB10_810 Depth=3
	s_or_b32 exec_lo, exec_lo, s15
	s_wait_loadcnt 0x5
	v_lshlrev_b32_e32 v36, 16, v24
	s_wait_loadcnt 0x2
	v_lshlrev_b32_e32 v37, 16, v32
	s_mov_b32 s15, exec_lo
                                        ; implicit-def: $vgpr51
	s_delay_alu instid0(VALU_DEP_1) | instskip(NEXT) | instid1(VALU_DEP_1)
	v_mul_f32_e32 v36, v37, v36
	v_and_b32_e32 v37, 0x7f800000, v36
	s_delay_alu instid0(VALU_DEP_1)
	v_cmpx_ne_u32_e32 0x7f800000, v37
	s_xor_b32 s15, exec_lo, s15
; %bb.843:                              ;   in Loop: Header=BB10_810 Depth=3
	v_bfe_u32 v37, v36, 16, 1
	s_delay_alu instid0(VALU_DEP_1)
	v_add3_u32 v51, v36, v37, 0x7fff
                                        ; implicit-def: $vgpr36
; %bb.844:                              ;   in Loop: Header=BB10_810 Depth=3
	s_and_not1_saveexec_b32 s15, s15
; %bb.845:                              ;   in Loop: Header=BB10_810 Depth=3
	v_and_b32_e32 v37, 0xffff, v36
	v_or_b32_e32 v51, 0x10000, v36
	s_delay_alu instid0(VALU_DEP_2) | instskip(NEXT) | instid1(VALU_DEP_2)
	v_cmp_eq_u32_e32 vcc_lo, 0, v37
	v_cndmask_b32_e32 v51, v51, v36, vcc_lo
; %bb.846:                              ;   in Loop: Header=BB10_810 Depth=3
	s_or_b32 exec_lo, exec_lo, s15
	v_and_b32_e32 v37, 0xffff0000, v32
	v_and_b32_e32 v36, 0xffff0000, v24
	s_mov_b32 s15, exec_lo
                                        ; implicit-def: $vgpr32
	s_delay_alu instid0(VALU_DEP_2) | instskip(NEXT) | instid1(VALU_DEP_1)
	v_mov_b32_e32 v24, v37
	v_pk_mul_f32 v[36:37], v[24:25], v[36:37]
	s_delay_alu instid0(VALU_DEP_1) | instskip(NEXT) | instid1(VALU_DEP_1)
	v_and_b32_e32 v24, 0x7f800000, v36
	v_cmpx_ne_u32_e32 0x7f800000, v24
	s_xor_b32 s15, exec_lo, s15
; %bb.847:                              ;   in Loop: Header=BB10_810 Depth=3
	v_bfe_u32 v24, v36, 16, 1
	s_delay_alu instid0(VALU_DEP_1)
	v_add3_u32 v32, v36, v24, 0x7fff
                                        ; implicit-def: $vgpr36_vgpr37
; %bb.848:                              ;   in Loop: Header=BB10_810 Depth=3
	s_and_not1_saveexec_b32 s15, s15
; %bb.849:                              ;   in Loop: Header=BB10_810 Depth=3
	v_and_b32_e32 v24, 0xffff, v36
	v_or_b32_e32 v32, 0x10000, v36
	s_delay_alu instid0(VALU_DEP_2) | instskip(NEXT) | instid1(VALU_DEP_2)
	v_cmp_eq_u32_e32 vcc_lo, 0, v24
	v_cndmask_b32_e32 v32, v32, v36, vcc_lo
; %bb.850:                              ;   in Loop: Header=BB10_810 Depth=3
	s_or_b32 exec_lo, exec_lo, s15
	v_lshlrev_b32_e32 v24, 16, v25
	v_lshlrev_b32_e32 v36, 16, v33
	s_delay_alu instid0(VALU_DEP_1) | instskip(NEXT) | instid1(VALU_DEP_1)
	v_mul_f32_e32 v24, v36, v24
	v_and_b32_e32 v36, 0x7f800000, v24
	s_delay_alu instid0(VALU_DEP_1) | instskip(SKIP_1) | instid1(SALU_CYCLE_1)
	v_cmp_ne_u32_e32 vcc_lo, 0x7f800000, v36
                                        ; implicit-def: $vgpr36
	s_and_saveexec_b32 s15, vcc_lo
	s_xor_b32 s15, exec_lo, s15
; %bb.851:                              ;   in Loop: Header=BB10_810 Depth=3
	v_bfe_u32 v36, v24, 16, 1
	s_delay_alu instid0(VALU_DEP_1)
	v_add3_u32 v36, v24, v36, 0x7fff
                                        ; implicit-def: $vgpr24
; %bb.852:                              ;   in Loop: Header=BB10_810 Depth=3
	s_and_not1_saveexec_b32 s15, s15
; %bb.853:                              ;   in Loop: Header=BB10_810 Depth=3
	v_and_b32_e32 v36, 0xffff, v24
	v_or_b32_e32 v37, 0x10000, v24
	s_delay_alu instid0(VALU_DEP_2) | instskip(NEXT) | instid1(VALU_DEP_2)
	v_cmp_eq_u32_e32 vcc_lo, 0, v36
	v_cndmask_b32_e32 v36, v37, v24, vcc_lo
; %bb.854:                              ;   in Loop: Header=BB10_810 Depth=3
	s_or_b32 exec_lo, exec_lo, s15
	v_and_b32_e32 v97, 0xffff0000, v33
	v_and_b32_e32 v96, 0xffff0000, v25
	s_mov_b32 s15, exec_lo
                                        ; implicit-def: $vgpr33
	s_delay_alu instid0(VALU_DEP_2) | instskip(NEXT) | instid1(VALU_DEP_1)
	v_mov_b32_e32 v24, v97
	v_pk_mul_f32 v[24:25], v[24:25], v[96:97]
	s_delay_alu instid0(VALU_DEP_1) | instskip(NEXT) | instid1(VALU_DEP_1)
	v_and_b32_e32 v25, 0x7f800000, v24
	v_cmpx_ne_u32_e32 0x7f800000, v25
	s_xor_b32 s15, exec_lo, s15
; %bb.855:                              ;   in Loop: Header=BB10_810 Depth=3
	v_bfe_u32 v25, v24, 16, 1
	s_delay_alu instid0(VALU_DEP_1)
	v_add3_u32 v33, v24, v25, 0x7fff
                                        ; implicit-def: $vgpr24_vgpr25
; %bb.856:                              ;   in Loop: Header=BB10_810 Depth=3
	s_and_not1_saveexec_b32 s15, s15
; %bb.857:                              ;   in Loop: Header=BB10_810 Depth=3
	v_and_b32_e32 v25, 0xffff, v24
	v_or_b32_e32 v33, 0x10000, v24
	s_delay_alu instid0(VALU_DEP_2) | instskip(NEXT) | instid1(VALU_DEP_2)
	v_cmp_eq_u32_e32 vcc_lo, 0, v25
	v_cndmask_b32_e32 v33, v33, v24, vcc_lo
; %bb.858:                              ;   in Loop: Header=BB10_810 Depth=3
	s_or_b32 exec_lo, exec_lo, s15
	v_lshlrev_b32_e32 v24, 16, v26
	v_lshlrev_b32_e32 v25, 16, v34
	s_mov_b32 s15, exec_lo
                                        ; implicit-def: $vgpr37
	s_delay_alu instid0(VALU_DEP_1) | instskip(NEXT) | instid1(VALU_DEP_1)
	v_mul_f32_e32 v24, v25, v24
	v_and_b32_e32 v25, 0x7f800000, v24
	s_delay_alu instid0(VALU_DEP_1)
	v_cmpx_ne_u32_e32 0x7f800000, v25
	s_xor_b32 s15, exec_lo, s15
; %bb.859:                              ;   in Loop: Header=BB10_810 Depth=3
	v_bfe_u32 v25, v24, 16, 1
	s_delay_alu instid0(VALU_DEP_1)
	v_add3_u32 v37, v24, v25, 0x7fff
                                        ; implicit-def: $vgpr24
; %bb.860:                              ;   in Loop: Header=BB10_810 Depth=3
	s_and_not1_saveexec_b32 s15, s15
; %bb.861:                              ;   in Loop: Header=BB10_810 Depth=3
	v_and_b32_e32 v25, 0xffff, v24
	v_or_b32_e32 v37, 0x10000, v24
	s_delay_alu instid0(VALU_DEP_2) | instskip(NEXT) | instid1(VALU_DEP_2)
	v_cmp_eq_u32_e32 vcc_lo, 0, v25
	v_cndmask_b32_e32 v37, v37, v24, vcc_lo
; %bb.862:                              ;   in Loop: Header=BB10_810 Depth=3
	s_or_b32 exec_lo, exec_lo, s15
	v_and_b32_e32 v25, 0xffff0000, v34
	v_and_b32_e32 v24, 0xffff0000, v26
	s_mov_b32 s15, exec_lo
	s_delay_alu instid0(VALU_DEP_2) | instskip(NEXT) | instid1(VALU_DEP_1)
	v_mov_b32_e32 v26, v25
	v_pk_mul_f32 v[24:25], v[26:27], v[24:25]
                                        ; implicit-def: $vgpr26
	s_delay_alu instid0(VALU_DEP_1) | instskip(NEXT) | instid1(VALU_DEP_1)
	v_and_b32_e32 v25, 0x7f800000, v24
	v_cmpx_ne_u32_e32 0x7f800000, v25
	s_xor_b32 s15, exec_lo, s15
; %bb.863:                              ;   in Loop: Header=BB10_810 Depth=3
	v_bfe_u32 v25, v24, 16, 1
	s_delay_alu instid0(VALU_DEP_1)
	v_add3_u32 v26, v24, v25, 0x7fff
                                        ; implicit-def: $vgpr24_vgpr25
; %bb.864:                              ;   in Loop: Header=BB10_810 Depth=3
	s_and_not1_saveexec_b32 s15, s15
; %bb.865:                              ;   in Loop: Header=BB10_810 Depth=3
	v_and_b32_e32 v25, 0xffff, v24
	v_or_b32_e32 v26, 0x10000, v24
	s_delay_alu instid0(VALU_DEP_2) | instskip(NEXT) | instid1(VALU_DEP_2)
	v_cmp_eq_u32_e32 vcc_lo, 0, v25
	v_cndmask_b32_e32 v26, v26, v24, vcc_lo
; %bb.866:                              ;   in Loop: Header=BB10_810 Depth=3
	s_or_b32 exec_lo, exec_lo, s15
	v_lshlrev_b32_e32 v24, 16, v27
	v_lshlrev_b32_e32 v25, 16, v35
	s_mov_b32 s15, exec_lo
                                        ; implicit-def: $vgpr34
	s_delay_alu instid0(VALU_DEP_1) | instskip(NEXT) | instid1(VALU_DEP_1)
	v_mul_f32_e32 v24, v25, v24
	v_and_b32_e32 v25, 0x7f800000, v24
	s_delay_alu instid0(VALU_DEP_1)
	v_cmpx_ne_u32_e32 0x7f800000, v25
	s_xor_b32 s15, exec_lo, s15
; %bb.867:                              ;   in Loop: Header=BB10_810 Depth=3
	v_bfe_u32 v25, v24, 16, 1
	s_delay_alu instid0(VALU_DEP_1)
	v_add3_u32 v34, v24, v25, 0x7fff
                                        ; implicit-def: $vgpr24
; %bb.868:                              ;   in Loop: Header=BB10_810 Depth=3
	s_and_not1_saveexec_b32 s15, s15
; %bb.869:                              ;   in Loop: Header=BB10_810 Depth=3
	v_and_b32_e32 v25, 0xffff, v24
	v_or_b32_e32 v34, 0x10000, v24
	s_delay_alu instid0(VALU_DEP_2) | instskip(NEXT) | instid1(VALU_DEP_2)
	v_cmp_eq_u32_e32 vcc_lo, 0, v25
	v_cndmask_b32_e32 v34, v34, v24, vcc_lo
; %bb.870:                              ;   in Loop: Header=BB10_810 Depth=3
	s_or_b32 exec_lo, exec_lo, s15
	v_and_b32_e32 v25, 0xffff0000, v35
	v_and_b32_e32 v24, 0xffff0000, v27
	s_mov_b32 s15, exec_lo
                                        ; implicit-def: $vgpr27
	s_delay_alu instid0(VALU_DEP_2) | instskip(NEXT) | instid1(VALU_DEP_1)
	v_mov_b32_e32 v96, v25
	v_pk_mul_f32 v[24:25], v[96:97], v[24:25]
	s_delay_alu instid0(VALU_DEP_1) | instskip(NEXT) | instid1(VALU_DEP_1)
	v_and_b32_e32 v25, 0x7f800000, v24
	v_cmpx_ne_u32_e32 0x7f800000, v25
	s_xor_b32 s15, exec_lo, s15
; %bb.871:                              ;   in Loop: Header=BB10_810 Depth=3
	v_bfe_u32 v25, v24, 16, 1
	s_delay_alu instid0(VALU_DEP_1)
	v_add3_u32 v27, v24, v25, 0x7fff
                                        ; implicit-def: $vgpr24_vgpr25
; %bb.872:                              ;   in Loop: Header=BB10_810 Depth=3
	s_and_not1_saveexec_b32 s15, s15
; %bb.873:                              ;   in Loop: Header=BB10_810 Depth=3
	v_and_b32_e32 v25, 0xffff, v24
	v_or_b32_e32 v27, 0x10000, v24
	s_delay_alu instid0(VALU_DEP_2) | instskip(NEXT) | instid1(VALU_DEP_2)
	v_cmp_eq_u32_e32 vcc_lo, 0, v25
	v_cndmask_b32_e32 v27, v27, v24, vcc_lo
; %bb.874:                              ;   in Loop: Header=BB10_810 Depth=3
	s_or_b32 exec_lo, exec_lo, s15
	v_lshlrev_b32_e32 v24, 16, v16
	s_wait_loadcnt 0x1
	v_lshlrev_b32_e32 v25, 16, v20
	s_mov_b32 s15, exec_lo
                                        ; implicit-def: $vgpr35
	s_delay_alu instid0(VALU_DEP_1) | instskip(NEXT) | instid1(VALU_DEP_1)
	v_mul_f32_e32 v24, v25, v24
	v_and_b32_e32 v25, 0x7f800000, v24
	s_delay_alu instid0(VALU_DEP_1)
	v_cmpx_ne_u32_e32 0x7f800000, v25
	s_xor_b32 s15, exec_lo, s15
; %bb.875:                              ;   in Loop: Header=BB10_810 Depth=3
	v_bfe_u32 v25, v24, 16, 1
	s_delay_alu instid0(VALU_DEP_1)
	v_add3_u32 v35, v24, v25, 0x7fff
                                        ; implicit-def: $vgpr24
; %bb.876:                              ;   in Loop: Header=BB10_810 Depth=3
	s_and_not1_saveexec_b32 s15, s15
; %bb.877:                              ;   in Loop: Header=BB10_810 Depth=3
	v_and_b32_e32 v25, 0xffff, v24
	v_or_b32_e32 v35, 0x10000, v24
	s_delay_alu instid0(VALU_DEP_2) | instskip(NEXT) | instid1(VALU_DEP_2)
	v_cmp_eq_u32_e32 vcc_lo, 0, v25
	v_cndmask_b32_e32 v35, v35, v24, vcc_lo
; %bb.878:                              ;   in Loop: Header=BB10_810 Depth=3
	s_or_b32 exec_lo, exec_lo, s15
	v_and_b32_e32 v25, 0xffff0000, v20
	v_and_b32_e32 v24, 0xffff0000, v16
	s_mov_b32 s15, exec_lo
                                        ; implicit-def: $vgpr20
	s_delay_alu instid0(VALU_DEP_2) | instskip(NEXT) | instid1(VALU_DEP_1)
	v_mov_b32_e32 v16, v25
	v_pk_mul_f32 v[24:25], v[16:17], v[24:25]
	s_delay_alu instid0(VALU_DEP_1) | instskip(NEXT) | instid1(VALU_DEP_1)
	v_and_b32_e32 v16, 0x7f800000, v24
	v_cmpx_ne_u32_e32 0x7f800000, v16
	s_xor_b32 s15, exec_lo, s15
; %bb.879:                              ;   in Loop: Header=BB10_810 Depth=3
	v_bfe_u32 v16, v24, 16, 1
	s_delay_alu instid0(VALU_DEP_1)
	v_add3_u32 v20, v24, v16, 0x7fff
                                        ; implicit-def: $vgpr24_vgpr25
; %bb.880:                              ;   in Loop: Header=BB10_810 Depth=3
	s_and_not1_saveexec_b32 s15, s15
; %bb.881:                              ;   in Loop: Header=BB10_810 Depth=3
	v_and_b32_e32 v16, 0xffff, v24
	v_or_b32_e32 v20, 0x10000, v24
	s_delay_alu instid0(VALU_DEP_2) | instskip(NEXT) | instid1(VALU_DEP_2)
	v_cmp_eq_u32_e32 vcc_lo, 0, v16
	v_cndmask_b32_e32 v20, v20, v24, vcc_lo
; %bb.882:                              ;   in Loop: Header=BB10_810 Depth=3
	s_or_b32 exec_lo, exec_lo, s15
	v_lshlrev_b32_e32 v16, 16, v17
	v_lshlrev_b32_e32 v24, 16, v21
	s_delay_alu instid0(VALU_DEP_1) | instskip(NEXT) | instid1(VALU_DEP_1)
	v_mul_f32_e32 v16, v24, v16
	v_and_b32_e32 v24, 0x7f800000, v16
	s_delay_alu instid0(VALU_DEP_1) | instskip(SKIP_1) | instid1(SALU_CYCLE_1)
	v_cmp_ne_u32_e32 vcc_lo, 0x7f800000, v24
                                        ; implicit-def: $vgpr24
	s_and_saveexec_b32 s15, vcc_lo
	s_xor_b32 s15, exec_lo, s15
; %bb.883:                              ;   in Loop: Header=BB10_810 Depth=3
	v_bfe_u32 v24, v16, 16, 1
	s_delay_alu instid0(VALU_DEP_1)
	v_add3_u32 v24, v16, v24, 0x7fff
                                        ; implicit-def: $vgpr16
; %bb.884:                              ;   in Loop: Header=BB10_810 Depth=3
	s_and_not1_saveexec_b32 s15, s15
; %bb.885:                              ;   in Loop: Header=BB10_810 Depth=3
	v_and_b32_e32 v24, 0xffff, v16
	v_or_b32_e32 v25, 0x10000, v16
	s_delay_alu instid0(VALU_DEP_2) | instskip(NEXT) | instid1(VALU_DEP_2)
	v_cmp_eq_u32_e32 vcc_lo, 0, v24
	v_cndmask_b32_e32 v24, v25, v16, vcc_lo
; %bb.886:                              ;   in Loop: Header=BB10_810 Depth=3
	s_or_b32 exec_lo, exec_lo, s15
	v_and_b32_e32 v97, 0xffff0000, v21
	v_and_b32_e32 v96, 0xffff0000, v17
	s_mov_b32 s15, exec_lo
                                        ; implicit-def: $vgpr21
	s_delay_alu instid0(VALU_DEP_2) | instskip(NEXT) | instid1(VALU_DEP_1)
	v_mov_b32_e32 v16, v97
	v_pk_mul_f32 v[16:17], v[16:17], v[96:97]
	s_delay_alu instid0(VALU_DEP_1) | instskip(NEXT) | instid1(VALU_DEP_1)
	v_and_b32_e32 v17, 0x7f800000, v16
	v_cmpx_ne_u32_e32 0x7f800000, v17
	s_xor_b32 s15, exec_lo, s15
; %bb.887:                              ;   in Loop: Header=BB10_810 Depth=3
	v_bfe_u32 v17, v16, 16, 1
	s_delay_alu instid0(VALU_DEP_1)
	v_add3_u32 v21, v16, v17, 0x7fff
                                        ; implicit-def: $vgpr16_vgpr17
; %bb.888:                              ;   in Loop: Header=BB10_810 Depth=3
	s_and_not1_saveexec_b32 s15, s15
; %bb.889:                              ;   in Loop: Header=BB10_810 Depth=3
	v_and_b32_e32 v17, 0xffff, v16
	v_or_b32_e32 v21, 0x10000, v16
	s_delay_alu instid0(VALU_DEP_2) | instskip(NEXT) | instid1(VALU_DEP_2)
	v_cmp_eq_u32_e32 vcc_lo, 0, v17
	v_cndmask_b32_e32 v21, v21, v16, vcc_lo
; %bb.890:                              ;   in Loop: Header=BB10_810 Depth=3
	s_or_b32 exec_lo, exec_lo, s15
	v_lshlrev_b32_e32 v16, 16, v18
	v_lshlrev_b32_e32 v17, 16, v22
	s_mov_b32 s15, exec_lo
                                        ; implicit-def: $vgpr25
	s_delay_alu instid0(VALU_DEP_1) | instskip(NEXT) | instid1(VALU_DEP_1)
	v_mul_f32_e32 v16, v17, v16
	v_and_b32_e32 v17, 0x7f800000, v16
	s_delay_alu instid0(VALU_DEP_1)
	v_cmpx_ne_u32_e32 0x7f800000, v17
	s_xor_b32 s15, exec_lo, s15
; %bb.891:                              ;   in Loop: Header=BB10_810 Depth=3
	v_bfe_u32 v17, v16, 16, 1
	s_delay_alu instid0(VALU_DEP_1)
	v_add3_u32 v25, v16, v17, 0x7fff
                                        ; implicit-def: $vgpr16
; %bb.892:                              ;   in Loop: Header=BB10_810 Depth=3
	s_and_not1_saveexec_b32 s15, s15
; %bb.893:                              ;   in Loop: Header=BB10_810 Depth=3
	v_and_b32_e32 v17, 0xffff, v16
	v_or_b32_e32 v25, 0x10000, v16
	s_delay_alu instid0(VALU_DEP_2) | instskip(NEXT) | instid1(VALU_DEP_2)
	v_cmp_eq_u32_e32 vcc_lo, 0, v17
	v_cndmask_b32_e32 v25, v25, v16, vcc_lo
; %bb.894:                              ;   in Loop: Header=BB10_810 Depth=3
	s_or_b32 exec_lo, exec_lo, s15
	v_and_b32_e32 v17, 0xffff0000, v22
	v_and_b32_e32 v16, 0xffff0000, v18
	s_mov_b32 s15, exec_lo
	s_delay_alu instid0(VALU_DEP_2) | instskip(NEXT) | instid1(VALU_DEP_1)
	v_mov_b32_e32 v18, v17
	v_pk_mul_f32 v[16:17], v[18:19], v[16:17]
                                        ; implicit-def: $vgpr18
	s_delay_alu instid0(VALU_DEP_1) | instskip(NEXT) | instid1(VALU_DEP_1)
	v_and_b32_e32 v17, 0x7f800000, v16
	v_cmpx_ne_u32_e32 0x7f800000, v17
	s_xor_b32 s15, exec_lo, s15
; %bb.895:                              ;   in Loop: Header=BB10_810 Depth=3
	v_bfe_u32 v17, v16, 16, 1
	s_delay_alu instid0(VALU_DEP_1)
	v_add3_u32 v18, v16, v17, 0x7fff
                                        ; implicit-def: $vgpr16_vgpr17
; %bb.896:                              ;   in Loop: Header=BB10_810 Depth=3
	s_and_not1_saveexec_b32 s15, s15
; %bb.897:                              ;   in Loop: Header=BB10_810 Depth=3
	v_and_b32_e32 v17, 0xffff, v16
	v_or_b32_e32 v18, 0x10000, v16
	s_delay_alu instid0(VALU_DEP_2) | instskip(NEXT) | instid1(VALU_DEP_2)
	v_cmp_eq_u32_e32 vcc_lo, 0, v17
	v_cndmask_b32_e32 v18, v18, v16, vcc_lo
; %bb.898:                              ;   in Loop: Header=BB10_810 Depth=3
	s_or_b32 exec_lo, exec_lo, s15
	v_lshlrev_b32_e32 v16, 16, v19
	v_lshlrev_b32_e32 v17, 16, v23
	s_mov_b32 s15, exec_lo
                                        ; implicit-def: $vgpr22
	s_delay_alu instid0(VALU_DEP_1) | instskip(NEXT) | instid1(VALU_DEP_1)
	v_mul_f32_e32 v16, v17, v16
	v_and_b32_e32 v17, 0x7f800000, v16
	s_delay_alu instid0(VALU_DEP_1)
	v_cmpx_ne_u32_e32 0x7f800000, v17
	s_xor_b32 s15, exec_lo, s15
; %bb.899:                              ;   in Loop: Header=BB10_810 Depth=3
	v_bfe_u32 v17, v16, 16, 1
	s_delay_alu instid0(VALU_DEP_1)
	v_add3_u32 v22, v16, v17, 0x7fff
                                        ; implicit-def: $vgpr16
; %bb.900:                              ;   in Loop: Header=BB10_810 Depth=3
	s_and_not1_saveexec_b32 s15, s15
; %bb.901:                              ;   in Loop: Header=BB10_810 Depth=3
	v_and_b32_e32 v17, 0xffff, v16
	v_or_b32_e32 v22, 0x10000, v16
	s_delay_alu instid0(VALU_DEP_2) | instskip(NEXT) | instid1(VALU_DEP_2)
	v_cmp_eq_u32_e32 vcc_lo, 0, v17
	v_cndmask_b32_e32 v22, v22, v16, vcc_lo
; %bb.902:                              ;   in Loop: Header=BB10_810 Depth=3
	s_or_b32 exec_lo, exec_lo, s15
	v_and_b32_e32 v17, 0xffff0000, v23
	v_and_b32_e32 v16, 0xffff0000, v19
	s_mov_b32 s15, exec_lo
                                        ; implicit-def: $vgpr19
	s_delay_alu instid0(VALU_DEP_2) | instskip(NEXT) | instid1(VALU_DEP_1)
	v_mov_b32_e32 v96, v17
	v_pk_mul_f32 v[16:17], v[96:97], v[16:17]
	s_delay_alu instid0(VALU_DEP_1) | instskip(NEXT) | instid1(VALU_DEP_1)
	v_and_b32_e32 v17, 0x7f800000, v16
	v_cmpx_ne_u32_e32 0x7f800000, v17
	s_xor_b32 s15, exec_lo, s15
; %bb.903:                              ;   in Loop: Header=BB10_810 Depth=3
	v_bfe_u32 v17, v16, 16, 1
	s_delay_alu instid0(VALU_DEP_1)
	v_add3_u32 v19, v16, v17, 0x7fff
                                        ; implicit-def: $vgpr16_vgpr17
; %bb.904:                              ;   in Loop: Header=BB10_810 Depth=3
	s_and_not1_saveexec_b32 s15, s15
; %bb.905:                              ;   in Loop: Header=BB10_810 Depth=3
	v_and_b32_e32 v17, 0xffff, v16
	v_or_b32_e32 v19, 0x10000, v16
	s_delay_alu instid0(VALU_DEP_2) | instskip(NEXT) | instid1(VALU_DEP_2)
	v_cmp_eq_u32_e32 vcc_lo, 0, v17
	v_cndmask_b32_e32 v19, v19, v16, vcc_lo
; %bb.906:                              ;   in Loop: Header=BB10_810 Depth=3
	s_or_b32 exec_lo, exec_lo, s15
	v_lshlrev_b32_e32 v16, 16, v8
	s_wait_loadcnt 0x0
	v_lshlrev_b32_e32 v17, 16, v12
	s_mov_b32 s15, exec_lo
                                        ; implicit-def: $vgpr23
	s_delay_alu instid0(VALU_DEP_1) | instskip(NEXT) | instid1(VALU_DEP_1)
	v_mul_f32_e32 v16, v17, v16
	v_and_b32_e32 v17, 0x7f800000, v16
	s_delay_alu instid0(VALU_DEP_1)
	v_cmpx_ne_u32_e32 0x7f800000, v17
	s_xor_b32 s15, exec_lo, s15
; %bb.907:                              ;   in Loop: Header=BB10_810 Depth=3
	v_bfe_u32 v17, v16, 16, 1
	s_delay_alu instid0(VALU_DEP_1)
	v_add3_u32 v23, v16, v17, 0x7fff
                                        ; implicit-def: $vgpr16
; %bb.908:                              ;   in Loop: Header=BB10_810 Depth=3
	s_and_not1_saveexec_b32 s15, s15
; %bb.909:                              ;   in Loop: Header=BB10_810 Depth=3
	v_and_b32_e32 v17, 0xffff, v16
	v_or_b32_e32 v23, 0x10000, v16
	s_delay_alu instid0(VALU_DEP_2) | instskip(NEXT) | instid1(VALU_DEP_2)
	v_cmp_eq_u32_e32 vcc_lo, 0, v17
	v_cndmask_b32_e32 v23, v23, v16, vcc_lo
; %bb.910:                              ;   in Loop: Header=BB10_810 Depth=3
	s_or_b32 exec_lo, exec_lo, s15
	v_and_b32_e32 v17, 0xffff0000, v12
	v_and_b32_e32 v16, 0xffff0000, v8
	s_mov_b32 s15, exec_lo
                                        ; implicit-def: $vgpr12
	s_delay_alu instid0(VALU_DEP_2) | instskip(NEXT) | instid1(VALU_DEP_1)
	v_mov_b32_e32 v8, v17
	v_pk_mul_f32 v[16:17], v[8:9], v[16:17]
	s_delay_alu instid0(VALU_DEP_1) | instskip(NEXT) | instid1(VALU_DEP_1)
	v_and_b32_e32 v8, 0x7f800000, v16
	v_cmpx_ne_u32_e32 0x7f800000, v8
	s_xor_b32 s15, exec_lo, s15
; %bb.911:                              ;   in Loop: Header=BB10_810 Depth=3
	v_bfe_u32 v8, v16, 16, 1
	s_delay_alu instid0(VALU_DEP_1)
	v_add3_u32 v12, v16, v8, 0x7fff
                                        ; implicit-def: $vgpr16_vgpr17
; %bb.912:                              ;   in Loop: Header=BB10_810 Depth=3
	s_and_not1_saveexec_b32 s15, s15
; %bb.913:                              ;   in Loop: Header=BB10_810 Depth=3
	v_and_b32_e32 v8, 0xffff, v16
	v_or_b32_e32 v12, 0x10000, v16
	s_delay_alu instid0(VALU_DEP_2) | instskip(NEXT) | instid1(VALU_DEP_2)
	v_cmp_eq_u32_e32 vcc_lo, 0, v8
	v_cndmask_b32_e32 v12, v12, v16, vcc_lo
; %bb.914:                              ;   in Loop: Header=BB10_810 Depth=3
	s_or_b32 exec_lo, exec_lo, s15
	v_lshlrev_b32_e32 v8, 16, v9
	v_lshlrev_b32_e32 v16, 16, v13
	s_delay_alu instid0(VALU_DEP_1) | instskip(NEXT) | instid1(VALU_DEP_1)
	v_mul_f32_e32 v8, v16, v8
	v_and_b32_e32 v16, 0x7f800000, v8
	s_delay_alu instid0(VALU_DEP_1) | instskip(SKIP_1) | instid1(SALU_CYCLE_1)
	v_cmp_ne_u32_e32 vcc_lo, 0x7f800000, v16
                                        ; implicit-def: $vgpr16
	s_and_saveexec_b32 s15, vcc_lo
	s_xor_b32 s15, exec_lo, s15
; %bb.915:                              ;   in Loop: Header=BB10_810 Depth=3
	v_bfe_u32 v16, v8, 16, 1
	s_delay_alu instid0(VALU_DEP_1)
	v_add3_u32 v16, v8, v16, 0x7fff
                                        ; implicit-def: $vgpr8
; %bb.916:                              ;   in Loop: Header=BB10_810 Depth=3
	s_and_not1_saveexec_b32 s15, s15
; %bb.917:                              ;   in Loop: Header=BB10_810 Depth=3
	v_and_b32_e32 v16, 0xffff, v8
	v_or_b32_e32 v17, 0x10000, v8
	s_delay_alu instid0(VALU_DEP_2) | instskip(NEXT) | instid1(VALU_DEP_2)
	v_cmp_eq_u32_e32 vcc_lo, 0, v16
	v_cndmask_b32_e32 v16, v17, v8, vcc_lo
; %bb.918:                              ;   in Loop: Header=BB10_810 Depth=3
	s_or_b32 exec_lo, exec_lo, s15
	v_and_b32_e32 v97, 0xffff0000, v13
	v_and_b32_e32 v96, 0xffff0000, v9
	s_mov_b32 s15, exec_lo
                                        ; implicit-def: $vgpr13
	s_delay_alu instid0(VALU_DEP_2) | instskip(NEXT) | instid1(VALU_DEP_1)
	v_mov_b32_e32 v8, v97
	v_pk_mul_f32 v[8:9], v[8:9], v[96:97]
	s_delay_alu instid0(VALU_DEP_1) | instskip(NEXT) | instid1(VALU_DEP_1)
	v_and_b32_e32 v9, 0x7f800000, v8
	v_cmpx_ne_u32_e32 0x7f800000, v9
	s_xor_b32 s15, exec_lo, s15
; %bb.919:                              ;   in Loop: Header=BB10_810 Depth=3
	v_bfe_u32 v9, v8, 16, 1
	s_delay_alu instid0(VALU_DEP_1)
	v_add3_u32 v13, v8, v9, 0x7fff
                                        ; implicit-def: $vgpr8_vgpr9
; %bb.920:                              ;   in Loop: Header=BB10_810 Depth=3
	s_and_not1_saveexec_b32 s15, s15
; %bb.921:                              ;   in Loop: Header=BB10_810 Depth=3
	v_and_b32_e32 v9, 0xffff, v8
	v_or_b32_e32 v13, 0x10000, v8
	s_delay_alu instid0(VALU_DEP_2) | instskip(NEXT) | instid1(VALU_DEP_2)
	v_cmp_eq_u32_e32 vcc_lo, 0, v9
	v_cndmask_b32_e32 v13, v13, v8, vcc_lo
; %bb.922:                              ;   in Loop: Header=BB10_810 Depth=3
	s_or_b32 exec_lo, exec_lo, s15
	v_lshlrev_b32_e32 v8, 16, v10
	v_lshlrev_b32_e32 v9, 16, v14
	s_mov_b32 s15, exec_lo
                                        ; implicit-def: $vgpr17
	s_delay_alu instid0(VALU_DEP_1) | instskip(NEXT) | instid1(VALU_DEP_1)
	v_mul_f32_e32 v8, v9, v8
	v_and_b32_e32 v9, 0x7f800000, v8
	s_delay_alu instid0(VALU_DEP_1)
	v_cmpx_ne_u32_e32 0x7f800000, v9
	s_xor_b32 s15, exec_lo, s15
; %bb.923:                              ;   in Loop: Header=BB10_810 Depth=3
	v_bfe_u32 v9, v8, 16, 1
	s_delay_alu instid0(VALU_DEP_1)
	v_add3_u32 v17, v8, v9, 0x7fff
                                        ; implicit-def: $vgpr8
; %bb.924:                              ;   in Loop: Header=BB10_810 Depth=3
	s_and_not1_saveexec_b32 s15, s15
; %bb.925:                              ;   in Loop: Header=BB10_810 Depth=3
	v_and_b32_e32 v9, 0xffff, v8
	v_or_b32_e32 v17, 0x10000, v8
	s_delay_alu instid0(VALU_DEP_2) | instskip(NEXT) | instid1(VALU_DEP_2)
	v_cmp_eq_u32_e32 vcc_lo, 0, v9
	v_cndmask_b32_e32 v17, v17, v8, vcc_lo
; %bb.926:                              ;   in Loop: Header=BB10_810 Depth=3
	s_or_b32 exec_lo, exec_lo, s15
	v_and_b32_e32 v9, 0xffff0000, v14
	v_and_b32_e32 v8, 0xffff0000, v10
	s_mov_b32 s15, exec_lo
	s_delay_alu instid0(VALU_DEP_2) | instskip(NEXT) | instid1(VALU_DEP_1)
	v_mov_b32_e32 v10, v9
	v_pk_mul_f32 v[8:9], v[10:11], v[8:9]
                                        ; implicit-def: $vgpr10
	s_delay_alu instid0(VALU_DEP_1) | instskip(NEXT) | instid1(VALU_DEP_1)
	v_and_b32_e32 v9, 0x7f800000, v8
	v_cmpx_ne_u32_e32 0x7f800000, v9
	s_xor_b32 s15, exec_lo, s15
; %bb.927:                              ;   in Loop: Header=BB10_810 Depth=3
	v_bfe_u32 v9, v8, 16, 1
	s_delay_alu instid0(VALU_DEP_1)
	v_add3_u32 v10, v8, v9, 0x7fff
                                        ; implicit-def: $vgpr8_vgpr9
; %bb.928:                              ;   in Loop: Header=BB10_810 Depth=3
	s_and_not1_saveexec_b32 s15, s15
; %bb.929:                              ;   in Loop: Header=BB10_810 Depth=3
	v_and_b32_e32 v9, 0xffff, v8
	v_or_b32_e32 v10, 0x10000, v8
	s_delay_alu instid0(VALU_DEP_2) | instskip(NEXT) | instid1(VALU_DEP_2)
	v_cmp_eq_u32_e32 vcc_lo, 0, v9
	v_cndmask_b32_e32 v10, v10, v8, vcc_lo
; %bb.930:                              ;   in Loop: Header=BB10_810 Depth=3
	s_or_b32 exec_lo, exec_lo, s15
	v_lshlrev_b32_e32 v8, 16, v11
	v_lshlrev_b32_e32 v9, 16, v15
	s_mov_b32 s15, exec_lo
                                        ; implicit-def: $vgpr14
	s_delay_alu instid0(VALU_DEP_1) | instskip(NEXT) | instid1(VALU_DEP_1)
	v_mul_f32_e32 v8, v9, v8
	v_and_b32_e32 v9, 0x7f800000, v8
	s_delay_alu instid0(VALU_DEP_1)
	v_cmpx_ne_u32_e32 0x7f800000, v9
	s_xor_b32 s15, exec_lo, s15
; %bb.931:                              ;   in Loop: Header=BB10_810 Depth=3
	v_bfe_u32 v9, v8, 16, 1
	s_delay_alu instid0(VALU_DEP_1)
	v_add3_u32 v14, v8, v9, 0x7fff
                                        ; implicit-def: $vgpr8
; %bb.932:                              ;   in Loop: Header=BB10_810 Depth=3
	s_and_not1_saveexec_b32 s15, s15
; %bb.933:                              ;   in Loop: Header=BB10_810 Depth=3
	v_and_b32_e32 v9, 0xffff, v8
	v_or_b32_e32 v14, 0x10000, v8
	s_delay_alu instid0(VALU_DEP_2) | instskip(NEXT) | instid1(VALU_DEP_2)
	v_cmp_eq_u32_e32 vcc_lo, 0, v9
	v_cndmask_b32_e32 v14, v14, v8, vcc_lo
; %bb.934:                              ;   in Loop: Header=BB10_810 Depth=3
	s_or_b32 exec_lo, exec_lo, s15
	v_and_b32_e32 v9, 0xffff0000, v15
	v_and_b32_e32 v8, 0xffff0000, v11
	s_mov_b32 s15, exec_lo
                                        ; implicit-def: $vgpr11
	s_delay_alu instid0(VALU_DEP_2) | instskip(NEXT) | instid1(VALU_DEP_1)
	v_mov_b32_e32 v96, v9
	v_pk_mul_f32 v[8:9], v[96:97], v[8:9]
	s_delay_alu instid0(VALU_DEP_1) | instskip(NEXT) | instid1(VALU_DEP_1)
	v_and_b32_e32 v9, 0x7f800000, v8
	v_cmpx_ne_u32_e32 0x7f800000, v9
	s_xor_b32 s15, exec_lo, s15
; %bb.935:                              ;   in Loop: Header=BB10_810 Depth=3
	v_bfe_u32 v9, v8, 16, 1
	s_delay_alu instid0(VALU_DEP_1)
	v_add3_u32 v11, v8, v9, 0x7fff
                                        ; implicit-def: $vgpr8_vgpr9
; %bb.936:                              ;   in Loop: Header=BB10_810 Depth=3
	s_and_not1_saveexec_b32 s15, s15
	s_cbranch_execz .LBB10_809
; %bb.937:                              ;   in Loop: Header=BB10_810 Depth=3
	v_and_b32_e32 v9, 0xffff, v8
	v_or_b32_e32 v11, 0x10000, v8
	s_delay_alu instid0(VALU_DEP_2) | instskip(NEXT) | instid1(VALU_DEP_2)
	v_cmp_eq_u32_e32 vcc_lo, 0, v9
	v_cndmask_b32_e32 v11, v11, v8, vcc_lo
	s_branch .LBB10_809
.LBB10_938:                             ;   in Loop: Header=BB10_727 Depth=2
	s_or_b32 exec_lo, exec_lo, s14
.LBB10_939:                             ;   in Loop: Header=BB10_727 Depth=2
	s_delay_alu instid0(SALU_CYCLE_1) | instskip(SKIP_3) | instid1(VALU_DEP_1)
	s_or_b32 exec_lo, exec_lo, s13
	v_dual_lshlrev_b32 v24, 11, v52 :: v_dual_mov_b32 v16, 0
	s_mov_b32 s13, 0
	s_mov_b32 s62, exec_lo
                                        ; implicit-def: $vgpr17
                                        ; implicit-def: $vgpr18
                                        ; implicit-def: $vgpr8
	v_cmpx_ne_u32_e64 v75, v24
	s_cbranch_execz .LBB10_981
; %bb.940:                              ;   in Loop: Header=BB10_727 Depth=2
	v_dual_lshlrev_b32 v8, 5, v77 :: v_dual_sub_nc_u32 v10, v75, v24
	s_mov_b32 s63, exec_lo
	s_delay_alu instid0(VALU_DEP_1) | instskip(NEXT) | instid1(VALU_DEP_1)
	v_dual_sub_nc_u32 v8, v125, v8 :: v_dual_ashrrev_i32 v11, 31, v10
	v_dual_ashrrev_i32 v9, 31, v8 :: v_dual_lshrrev_b32 v11, 23, v11
	s_delay_alu instid0(VALU_DEP_1) | instskip(NEXT) | instid1(VALU_DEP_1)
	v_lshrrev_b32_e32 v9, 27, v9
	v_add_nc_u32_e32 v9, v8, v9
	s_delay_alu instid0(VALU_DEP_1) | instskip(NEXT) | instid1(VALU_DEP_1)
	v_and_b32_e32 v12, 0xffffffe0, v9
	v_dual_add_nc_u32 v11, v10, v11 :: v_dual_sub_nc_u32 v26, v8, v12
	s_delay_alu instid0(VALU_DEP_1) | instskip(SKIP_1) | instid1(VALU_DEP_2)
	v_and_b32_e32 v25, 0xfffffe00, v11
	v_dual_ashrrev_i32 v9, 5, v9 :: v_dual_ashrrev_i32 v11, 9, v11
	v_dual_lshlrev_b32 v8, 4, v26 :: v_dual_sub_nc_u32 v27, v10, v25
	s_delay_alu instid0(VALU_DEP_1) | instskip(NEXT) | instid1(VALU_DEP_2)
	v_lshl_add_u32 v8, v9, 9, v8
	v_cmp_lt_i32_e64 s13, 15, v27
	s_delay_alu instid0(VALU_DEP_1) | instskip(NEXT) | instid1(VALU_DEP_1)
	v_add_co_ci_u32_e64 v11, null, 0, v11, s13
	v_dual_sub_nc_u32 v33, v10, v8 :: v_dual_sub_nc_u32 v32, v11, v9
	s_delay_alu instid0(VALU_DEP_1)
	v_cmpx_lt_i32_e32 15, v33
	s_cbranch_execz .LBB10_978
; %bb.941:                              ;   in Loop: Header=BB10_727 Depth=2
	s_trap 2
	ds_load_b64 v[10:11], v0
	v_add_nc_u32_e32 v8, v8, v24
	s_mov_b32 s72, 0
	s_delay_alu instid0(VALU_DEP_1) | instskip(NEXT) | instid1(VALU_DEP_1)
	v_ashrrev_i32_e32 v9, 31, v8
	v_add_nc_u64_e32 v[16:17], v[8:9], v[90:91]
	v_add_nc_u64_e32 v[18:19], v[8:9], v[92:93]
	;; [unrolled: 1-line block ×3, first 2 shown]
	s_wait_dscnt 0x0
	v_add_nc_u64_e32 v[22:23], v[10:11], v[8:9]
.LBB10_942:                             ;   Parent Loop BB10_47 Depth=1
                                        ;     Parent Loop BB10_727 Depth=2
                                        ; =>    This Loop Header: Depth=3
                                        ;         Child Loop BB10_975 Depth 4
	global_load_b128 v[8:11], v[22:23], off th:TH_LOAD_NT
	global_load_b128 v[12:15], v[20:21], off th:TH_LOAD_NT
	s_wait_loadcnt 0x1
	v_lshlrev_b32_e32 v34, 16, v8
	s_wait_loadcnt 0x0
	v_lshlrev_b32_e32 v35, 16, v12
	s_delay_alu instid0(VALU_DEP_1) | instskip(NEXT) | instid1(VALU_DEP_1)
	v_mul_f32_e32 v35, v35, v34
	v_and_b32_e32 v34, 0x7f800000, v35
	s_delay_alu instid0(VALU_DEP_1) | instskip(SKIP_2) | instid1(SALU_CYCLE_1)
	v_cmp_ne_u32_e32 vcc_lo, 0x7f800000, v34
                                        ; implicit-def: $vgpr34
	s_wait_xcnt 0x0
	s_and_saveexec_b32 s14, vcc_lo
	s_xor_b32 s14, exec_lo, s14
; %bb.943:                              ;   in Loop: Header=BB10_942 Depth=3
	v_bfe_u32 v34, v35, 16, 1
	s_delay_alu instid0(VALU_DEP_1)
	v_add3_u32 v34, v35, v34, 0x7fff
                                        ; implicit-def: $vgpr35
; %bb.944:                              ;   in Loop: Header=BB10_942 Depth=3
	s_and_not1_saveexec_b32 s14, s14
; %bb.945:                              ;   in Loop: Header=BB10_942 Depth=3
	v_and_b32_e32 v34, 0xffff, v35
	v_or_b32_e32 v36, 0x10000, v35
	s_delay_alu instid0(VALU_DEP_2) | instskip(NEXT) | instid1(VALU_DEP_2)
	v_cmp_eq_u32_e32 vcc_lo, 0, v34
	v_cndmask_b32_e32 v34, v36, v35, vcc_lo
; %bb.946:                              ;   in Loop: Header=BB10_942 Depth=3
	s_or_b32 exec_lo, exec_lo, s14
	v_and_b32_e32 v8, 0xffff0000, v8
	v_and_b32_e32 v12, 0xffff0000, v12
	s_delay_alu instid0(VALU_DEP_1) | instskip(NEXT) | instid1(VALU_DEP_1)
	v_mul_f32_e32 v12, v12, v8
	v_and_b32_e32 v8, 0x7f800000, v12
	s_delay_alu instid0(VALU_DEP_1) | instskip(SKIP_1) | instid1(SALU_CYCLE_1)
	v_cmp_ne_u32_e32 vcc_lo, 0x7f800000, v8
                                        ; implicit-def: $vgpr8
	s_and_saveexec_b32 s14, vcc_lo
	s_xor_b32 s14, exec_lo, s14
; %bb.947:                              ;   in Loop: Header=BB10_942 Depth=3
	v_bfe_u32 v8, v12, 16, 1
	s_delay_alu instid0(VALU_DEP_1)
	v_add3_u32 v8, v12, v8, 0x7fff
                                        ; implicit-def: $vgpr12
; %bb.948:                              ;   in Loop: Header=BB10_942 Depth=3
	s_and_not1_saveexec_b32 s14, s14
; %bb.949:                              ;   in Loop: Header=BB10_942 Depth=3
	v_and_b32_e32 v8, 0xffff, v12
	v_or_b32_e32 v35, 0x10000, v12
	s_delay_alu instid0(VALU_DEP_2) | instskip(NEXT) | instid1(VALU_DEP_2)
	v_cmp_eq_u32_e32 vcc_lo, 0, v8
	v_cndmask_b32_e32 v8, v35, v12, vcc_lo
; %bb.950:                              ;   in Loop: Header=BB10_942 Depth=3
	s_or_b32 exec_lo, exec_lo, s14
	v_lshlrev_b32_e32 v12, 16, v9
	v_lshlrev_b32_e32 v35, 16, v13
	s_delay_alu instid0(VALU_DEP_1) | instskip(NEXT) | instid1(VALU_DEP_1)
	v_mul_f32_e32 v35, v35, v12
	v_and_b32_e32 v12, 0x7f800000, v35
	s_delay_alu instid0(VALU_DEP_1) | instskip(SKIP_1) | instid1(SALU_CYCLE_1)
	v_cmp_ne_u32_e32 vcc_lo, 0x7f800000, v12
                                        ; implicit-def: $vgpr12
	s_and_saveexec_b32 s14, vcc_lo
	s_xor_b32 s14, exec_lo, s14
; %bb.951:                              ;   in Loop: Header=BB10_942 Depth=3
	v_bfe_u32 v12, v35, 16, 1
	s_delay_alu instid0(VALU_DEP_1)
	v_add3_u32 v12, v35, v12, 0x7fff
                                        ; implicit-def: $vgpr35
; %bb.952:                              ;   in Loop: Header=BB10_942 Depth=3
	s_and_not1_saveexec_b32 s14, s14
; %bb.953:                              ;   in Loop: Header=BB10_942 Depth=3
	v_and_b32_e32 v12, 0xffff, v35
	v_or_b32_e32 v36, 0x10000, v35
	s_delay_alu instid0(VALU_DEP_2) | instskip(NEXT) | instid1(VALU_DEP_2)
	v_cmp_eq_u32_e32 vcc_lo, 0, v12
	v_cndmask_b32_e32 v12, v36, v35, vcc_lo
; %bb.954:                              ;   in Loop: Header=BB10_942 Depth=3
	s_or_b32 exec_lo, exec_lo, s14
	v_and_b32_e32 v13, 0xffff0000, v13
	v_and_b32_e32 v9, 0xffff0000, v9
	s_delay_alu instid0(VALU_DEP_1) | instskip(NEXT) | instid1(VALU_DEP_1)
	v_mul_f32_e32 v13, v13, v9
	v_and_b32_e32 v9, 0x7f800000, v13
	s_delay_alu instid0(VALU_DEP_1) | instskip(SKIP_1) | instid1(SALU_CYCLE_1)
	v_cmp_ne_u32_e32 vcc_lo, 0x7f800000, v9
                                        ; implicit-def: $vgpr9
	s_and_saveexec_b32 s14, vcc_lo
	s_xor_b32 s14, exec_lo, s14
; %bb.955:                              ;   in Loop: Header=BB10_942 Depth=3
	v_bfe_u32 v9, v13, 16, 1
	s_delay_alu instid0(VALU_DEP_1)
	v_add3_u32 v9, v13, v9, 0x7fff
                                        ; implicit-def: $vgpr13
; %bb.956:                              ;   in Loop: Header=BB10_942 Depth=3
	s_and_not1_saveexec_b32 s14, s14
; %bb.957:                              ;   in Loop: Header=BB10_942 Depth=3
	v_and_b32_e32 v9, 0xffff, v13
	v_or_b32_e32 v35, 0x10000, v13
	s_delay_alu instid0(VALU_DEP_2) | instskip(NEXT) | instid1(VALU_DEP_2)
	v_cmp_eq_u32_e32 vcc_lo, 0, v9
	v_cndmask_b32_e32 v9, v35, v13, vcc_lo
; %bb.958:                              ;   in Loop: Header=BB10_942 Depth=3
	s_or_b32 exec_lo, exec_lo, s14
	v_lshlrev_b32_e32 v13, 16, v10
	v_lshlrev_b32_e32 v35, 16, v14
	s_delay_alu instid0(VALU_DEP_1) | instskip(NEXT) | instid1(VALU_DEP_1)
	v_mul_f32_e32 v35, v35, v13
	v_and_b32_e32 v13, 0x7f800000, v35
	s_delay_alu instid0(VALU_DEP_1) | instskip(SKIP_1) | instid1(SALU_CYCLE_1)
	v_cmp_ne_u32_e32 vcc_lo, 0x7f800000, v13
                                        ; implicit-def: $vgpr13
	s_and_saveexec_b32 s14, vcc_lo
	s_xor_b32 s14, exec_lo, s14
; %bb.959:                              ;   in Loop: Header=BB10_942 Depth=3
	v_bfe_u32 v13, v35, 16, 1
	s_delay_alu instid0(VALU_DEP_1)
	v_add3_u32 v13, v35, v13, 0x7fff
                                        ; implicit-def: $vgpr35
; %bb.960:                              ;   in Loop: Header=BB10_942 Depth=3
	s_and_not1_saveexec_b32 s14, s14
; %bb.961:                              ;   in Loop: Header=BB10_942 Depth=3
	v_and_b32_e32 v13, 0xffff, v35
	v_or_b32_e32 v36, 0x10000, v35
	s_delay_alu instid0(VALU_DEP_2) | instskip(NEXT) | instid1(VALU_DEP_2)
	v_cmp_eq_u32_e32 vcc_lo, 0, v13
	v_cndmask_b32_e32 v13, v36, v35, vcc_lo
; %bb.962:                              ;   in Loop: Header=BB10_942 Depth=3
	s_or_b32 exec_lo, exec_lo, s14
	v_and_b32_e32 v14, 0xffff0000, v14
	v_and_b32_e32 v10, 0xffff0000, v10
	s_delay_alu instid0(VALU_DEP_1) | instskip(NEXT) | instid1(VALU_DEP_1)
	v_mul_f32_e32 v14, v14, v10
	v_and_b32_e32 v10, 0x7f800000, v14
	s_delay_alu instid0(VALU_DEP_1) | instskip(SKIP_1) | instid1(SALU_CYCLE_1)
	v_cmp_ne_u32_e32 vcc_lo, 0x7f800000, v10
                                        ; implicit-def: $vgpr10
	s_and_saveexec_b32 s14, vcc_lo
	s_xor_b32 s14, exec_lo, s14
; %bb.963:                              ;   in Loop: Header=BB10_942 Depth=3
	v_bfe_u32 v10, v14, 16, 1
	s_delay_alu instid0(VALU_DEP_1)
	v_add3_u32 v10, v14, v10, 0x7fff
                                        ; implicit-def: $vgpr14
; %bb.964:                              ;   in Loop: Header=BB10_942 Depth=3
	s_and_not1_saveexec_b32 s14, s14
; %bb.965:                              ;   in Loop: Header=BB10_942 Depth=3
	v_and_b32_e32 v10, 0xffff, v14
	v_or_b32_e32 v35, 0x10000, v14
	s_delay_alu instid0(VALU_DEP_2) | instskip(NEXT) | instid1(VALU_DEP_2)
	v_cmp_eq_u32_e32 vcc_lo, 0, v10
	v_cndmask_b32_e32 v10, v35, v14, vcc_lo
; %bb.966:                              ;   in Loop: Header=BB10_942 Depth=3
	s_or_b32 exec_lo, exec_lo, s14
	v_lshlrev_b32_e32 v14, 16, v11
	v_lshlrev_b32_e32 v35, 16, v15
	s_delay_alu instid0(VALU_DEP_1) | instskip(NEXT) | instid1(VALU_DEP_1)
	v_mul_f32_e32 v35, v35, v14
	v_and_b32_e32 v14, 0x7f800000, v35
	s_delay_alu instid0(VALU_DEP_1) | instskip(SKIP_1) | instid1(SALU_CYCLE_1)
	v_cmp_ne_u32_e32 vcc_lo, 0x7f800000, v14
                                        ; implicit-def: $vgpr14
	s_and_saveexec_b32 s14, vcc_lo
	s_xor_b32 s14, exec_lo, s14
; %bb.967:                              ;   in Loop: Header=BB10_942 Depth=3
	v_bfe_u32 v14, v35, 16, 1
	s_delay_alu instid0(VALU_DEP_1)
	v_add3_u32 v14, v35, v14, 0x7fff
                                        ; implicit-def: $vgpr35
; %bb.968:                              ;   in Loop: Header=BB10_942 Depth=3
	s_and_not1_saveexec_b32 s14, s14
; %bb.969:                              ;   in Loop: Header=BB10_942 Depth=3
	v_and_b32_e32 v14, 0xffff, v35
	v_or_b32_e32 v36, 0x10000, v35
	s_delay_alu instid0(VALU_DEP_2) | instskip(NEXT) | instid1(VALU_DEP_2)
	v_cmp_eq_u32_e32 vcc_lo, 0, v14
	v_cndmask_b32_e32 v14, v36, v35, vcc_lo
; %bb.970:                              ;   in Loop: Header=BB10_942 Depth=3
	s_or_b32 exec_lo, exec_lo, s14
	v_and_b32_e32 v15, 0xffff0000, v15
	v_and_b32_e32 v11, 0xffff0000, v11
	s_delay_alu instid0(VALU_DEP_1) | instskip(NEXT) | instid1(VALU_DEP_1)
	v_mul_f32_e32 v15, v15, v11
	v_and_b32_e32 v11, 0x7f800000, v15
	s_delay_alu instid0(VALU_DEP_1) | instskip(SKIP_1) | instid1(SALU_CYCLE_1)
	v_cmp_ne_u32_e32 vcc_lo, 0x7f800000, v11
                                        ; implicit-def: $vgpr11
	s_and_saveexec_b32 s14, vcc_lo
	s_xor_b32 s14, exec_lo, s14
; %bb.971:                              ;   in Loop: Header=BB10_942 Depth=3
	v_bfe_u32 v11, v15, 16, 1
	s_delay_alu instid0(VALU_DEP_1)
	v_add3_u32 v11, v15, v11, 0x7fff
                                        ; implicit-def: $vgpr15
; %bb.972:                              ;   in Loop: Header=BB10_942 Depth=3
	s_and_not1_saveexec_b32 s14, s14
; %bb.973:                              ;   in Loop: Header=BB10_942 Depth=3
	v_and_b32_e32 v11, 0xffff, v15
	v_or_b32_e32 v35, 0x10000, v15
	s_delay_alu instid0(VALU_DEP_2) | instskip(NEXT) | instid1(VALU_DEP_2)
	v_cmp_eq_u32_e32 vcc_lo, 0, v11
	v_cndmask_b32_e32 v11, v35, v15, vcc_lo
; %bb.974:                              ;   in Loop: Header=BB10_942 Depth=3
	s_or_b32 exec_lo, exec_lo, s14
	v_dual_lshrrev_b32 v12, 16, v12 :: v_dual_lshrrev_b32 v15, 16, v34
	v_dual_lshrrev_b32 v13, 16, v13 :: v_dual_lshrrev_b32 v14, 16, v14
	s_mov_b64 s[40:41], 0
	s_delay_alu instid0(VALU_DEP_2) | instskip(NEXT) | instid1(VALU_DEP_3)
	v_and_or_b32 v9, 0xffff0000, v9, v12
	v_and_or_b32 v8, 0xffff0000, v8, v15
	s_delay_alu instid0(VALU_DEP_3)
	v_and_or_b32 v10, 0xffff0000, v10, v13
	v_and_or_b32 v11, 0xffff0000, v11, v14
	s_mov_b32 s73, -1
.LBB10_975:                             ;   Parent Loop BB10_47 Depth=1
                                        ;     Parent Loop BB10_727 Depth=2
                                        ;       Parent Loop BB10_942 Depth=3
                                        ; =>      This Inner Loop Header: Depth=4
	s_cmp_eq_u32 s40, 1
	s_cselect_b32 vcc_lo, -1, 0
	s_cmp_eq_u32 s40, 0
	s_wait_xcnt 0x0
	v_dual_cndmask_b32 v13, v17, v19 :: v_dual_cndmask_b32 v12, v16, v18
	s_cselect_b32 s14, -1, 0
	s_and_b32 s15, exec_lo, s73
	s_mov_b64 s[40:41], 1
	s_mov_b32 s73, 0
	v_add_nc_u64_e32 v[14:15], 0x200, v[12:13]
	global_store_b128 v[12:13], v[8:11], off th:TH_STORE_NT
	v_dual_cndmask_b32 v19, v19, v15 :: v_dual_cndmask_b32 v18, v18, v14
	v_dual_cndmask_b32 v17, v17, v15, s14 :: v_dual_cndmask_b32 v16, v16, v14, s14
	s_mov_b32 vcc_lo, s15
	s_cbranch_vccnz .LBB10_975
; %bb.976:                              ;   in Loop: Header=BB10_942 Depth=3
	v_dual_sub_nc_u32 v33, v33, v102 :: v_dual_sub_nc_u32 v32, v32, v84
	v_add_nc_u64_e32 v[20:21], v[20:21], v[42:43]
	v_add_nc_u64_e32 v[22:23], v[22:23], v[42:43]
	;; [unrolled: 1-line block ×3, first 2 shown]
	s_delay_alu instid0(VALU_DEP_4)
	v_cmp_gt_i32_e32 vcc_lo, 16, v33
	v_add_nc_u64_e32 v[18:19], v[18:19], v[118:119]
	s_or_b32 s72, vcc_lo, s72
	s_wait_xcnt 0x0
	s_and_not1_b32 exec_lo, exec_lo, s72
	s_cbranch_execnz .LBB10_942
; %bb.977:                              ;   in Loop: Header=BB10_727 Depth=2
	s_or_b32 exec_lo, exec_lo, s72
.LBB10_978:                             ;   in Loop: Header=BB10_727 Depth=2
	s_delay_alu instid0(SALU_CYCLE_1) | instskip(SKIP_3) | instid1(VALU_DEP_1)
	s_or_b32 exec_lo, exec_lo, s63
	v_dual_mov_b32 v16, 0 :: v_dual_bitop2_b32 v9, 14, v75 bitop3:0x40
	s_mov_b32 s14, 0
	s_mov_b32 s15, exec_lo
                                        ; implicit-def: $vgpr18
                                        ; implicit-def: $vgpr8
	v_cndmask_b32_e64 v17, v27, v9, s13
	s_delay_alu instid0(VALU_DEP_1)
	v_cmpx_ne_u32_e32 0, v17
	s_cbranch_execz .LBB10_980
; %bb.979:                              ;   in Loop: Header=BB10_727 Depth=2
	v_cmp_lt_i32_e32 vcc_lo, 0, v32
	s_mov_b32 s14, exec_lo
	v_dual_cndmask_b32 v8, 0, v84 :: v_dual_sub_nc_u32 v9, v27, v9
	s_delay_alu instid0(VALU_DEP_1) | instskip(NEXT) | instid1(VALU_DEP_1)
	v_dual_cndmask_b32 v9, 0, v9, s13 :: v_dual_sub_nc_u32 v8, v8, v32
	v_add3_u32 v16, v25, v24, v9
	s_delay_alu instid0(VALU_DEP_2) | instskip(NEXT) | instid1(VALU_DEP_1)
	v_lshl_add_u32 v18, v8, 5, v26
	v_ashrrev_i32_e32 v8, 31, v18
	s_delay_alu instid0(VALU_DEP_1) | instskip(NEXT) | instid1(VALU_DEP_1)
	v_lshrrev_b32_e32 v8, 27, v8
	v_add_nc_u32_e32 v8, v18, v8
	s_delay_alu instid0(VALU_DEP_1)
	v_ashrrev_i32_e32 v8, 5, v8
.LBB10_980:                             ;   in Loop: Header=BB10_727 Depth=2
	s_or_b32 exec_lo, exec_lo, s15
	s_delay_alu instid0(SALU_CYCLE_1)
	s_and_b32 s13, s14, exec_lo
.LBB10_981:                             ;   in Loop: Header=BB10_727 Depth=2
	s_or_b32 exec_lo, exec_lo, s62
	s_and_saveexec_b32 s15, s13
	s_cbranch_execz .LBB10_1060
.LBB10_982:                             ;   in Loop: Header=BB10_727 Depth=2
	v_ashrrev_i32_e32 v9, 31, v17
	s_mov_b32 s13, exec_lo
	s_delay_alu instid0(VALU_DEP_1) | instskip(NEXT) | instid1(VALU_DEP_1)
	v_lshrrev_b32_e32 v9, 22, v9
	v_add_nc_u32_e32 v9, v17, v9
	s_delay_alu instid0(VALU_DEP_1) | instskip(NEXT) | instid1(VALU_DEP_1)
	v_dual_ashrrev_i32 v21, 10, v9 :: v_dual_ashrrev_i32 v9, 31, v18
	v_dual_sub_nc_u32 v19, v21, v8 :: v_dual_lshrrev_b32 v20, 27, v9
	s_delay_alu instid0(VALU_DEP_1)
	v_cmpx_lt_i32_e32 0, v19
	s_cbranch_execz .LBB10_1050
; %bb.983:                              ;   in Loop: Header=BB10_727 Depth=2
	s_delay_alu instid0(VALU_DEP_2)
	v_add_nc_u32_e32 v9, v18, v20
	s_trap 2
	ds_load_b64 v[14:15], v0
	s_mov_b32 s14, 0
	v_lshlrev_b32_e32 v8, 10, v8
	v_and_b32_e32 v9, 0x7fffffe0, v9
	s_delay_alu instid0(VALU_DEP_1) | instskip(NEXT) | instid1(VALU_DEP_1)
	v_sub_nc_u32_e32 v9, v18, v9
	v_lshlrev_b32_e32 v9, 1, v9
	s_delay_alu instid0(VALU_DEP_1) | instskip(NEXT) | instid1(VALU_DEP_1)
	v_add3_u32 v22, v9, v16, v8
	v_ashrrev_i32_e32 v23, 31, v22
	s_delay_alu instid0(VALU_DEP_1)
	v_add_nc_u64_e32 v[8:9], v[22:23], v[90:91]
	v_add_nc_u64_e32 v[10:11], v[22:23], v[92:93]
	;; [unrolled: 1-line block ×3, first 2 shown]
	s_wait_dscnt 0x0
	v_add_nc_u64_e32 v[14:15], v[14:15], v[22:23]
	s_branch .LBB10_985
.LBB10_984:                             ;   in Loop: Header=BB10_985 Depth=3
	s_or_b32 exec_lo, exec_lo, s40
	v_dual_lshrrev_b32 v37, 16, v95 :: v_dual_lshrrev_b32 v22, 16, v22
	v_dual_lshrrev_b32 v27, 16, v27 :: v_dual_sub_nc_u32 v19, v19, v84
	v_dual_lshrrev_b32 v32, 16, v36 :: v_dual_lshrrev_b32 v35, 16, v50
	v_dual_lshrrev_b32 v36, 16, v53 :: v_dual_lshrrev_b32 v38, 16, v38
	;; [unrolled: 1-line block ×6, first 2 shown]
	v_lshrrev_b32_e32 v49, 16, v49
	s_clause 0xf
	flat_store_b16 v[8:9], v22 th:TH_STORE_NT
	flat_store_b16 v[8:9], v24 offset:64 th:TH_STORE_NT
	flat_store_b16 v[8:9], v27 offset:128 th:TH_STORE_NT
	;; [unrolled: 1-line block ×15, first 2 shown]
	s_clause 0xf
	flat_store_b16 v[10:11], v22 th:TH_STORE_NT
	flat_store_b16 v[10:11], v24 offset:64 th:TH_STORE_NT
	flat_store_b16 v[10:11], v27 offset:128 th:TH_STORE_NT
	;; [unrolled: 1-line block ×15, first 2 shown]
	v_add_nc_u64_e32 v[12:13], v[12:13], v[112:113]
	v_add_nc_u64_e32 v[14:15], v[14:15], v[112:113]
	s_wait_xcnt 0x10
	v_add_nc_u64_e32 v[8:9], v[8:9], v[112:113]
	v_cmp_gt_i32_e32 vcc_lo, 1, v19
	s_wait_xcnt 0x0
	v_add_nc_u64_e32 v[10:11], v[10:11], v[112:113]
	s_or_b32 s14, vcc_lo, s14
	s_delay_alu instid0(SALU_CYCLE_1)
	s_and_not1_b32 exec_lo, exec_lo, s14
	s_cbranch_execz .LBB10_1049
.LBB10_985:                             ;   Parent Loop BB10_47 Depth=1
                                        ;     Parent Loop BB10_727 Depth=2
                                        ; =>    This Inner Loop Header: Depth=3
	s_clause 0x7
	flat_load_u16 v27, v[12:13] offset:128 th:TH_LOAD_NT
	flat_load_u16 v34, v[12:13] offset:192 th:TH_LOAD_NT
	;; [unrolled: 1-line block ×6, first 2 shown]
	flat_load_u16 v22, v[12:13] th:TH_LOAD_NT
	flat_load_u16 v24, v[12:13] offset:64 th:TH_LOAD_NT
	s_clause 0x7
	flat_load_u16 v110, v[14:15] offset:128 th:TH_LOAD_NT
	flat_load_u16 v109, v[14:15] offset:192 th:TH_LOAD_NT
	;; [unrolled: 1-line block ×3, first 2 shown]
	flat_load_u16 v96, v[14:15] th:TH_LOAD_NT
	flat_load_u16 v107, v[14:15] offset:320 th:TH_LOAD_NT
	flat_load_u16 v106, v[14:15] offset:384 th:TH_LOAD_NT
	;; [unrolled: 1-line block ×4, first 2 shown]
	s_clause 0x7
	flat_load_u16 v95, v[12:13] offset:512 th:TH_LOAD_NT
	flat_load_u16 v53, v[12:13] offset:576 th:TH_LOAD_NT
	;; [unrolled: 1-line block ×8, first 2 shown]
	s_clause 0x7
	flat_load_u16 v104, v[14:15] offset:512 th:TH_LOAD_NT
	flat_load_u16 v77, v[14:15] offset:576 th:TH_LOAD_NT
	flat_load_u16 v51, v[14:15] offset:640 th:TH_LOAD_NT
	flat_load_u16 v48, v[14:15] offset:704 th:TH_LOAD_NT
	flat_load_u16 v37, v[14:15] offset:768 th:TH_LOAD_NT
	flat_load_u16 v35, v[14:15] offset:832 th:TH_LOAD_NT
	flat_load_u16 v32, v[14:15] offset:896 th:TH_LOAD_NT
	flat_load_u16 v25, v[14:15] offset:960 th:TH_LOAD_NT
	s_wait_loadcnt_dscnt 0x1414
	v_dual_lshlrev_b32 v22, 16, v22 :: v_dual_lshlrev_b32 v96, 16, v96
	s_delay_alu instid0(VALU_DEP_1) | instskip(NEXT) | instid1(VALU_DEP_1)
	v_mul_f32_e32 v120, v96, v22
	v_and_b32_e32 v22, 0x7f800000, v120
	s_delay_alu instid0(VALU_DEP_1) | instskip(SKIP_2) | instid1(SALU_CYCLE_1)
	v_cmp_ne_u32_e32 vcc_lo, 0x7f800000, v22
                                        ; implicit-def: $vgpr22
	s_wait_xcnt 0x0
	s_and_saveexec_b32 s40, vcc_lo
	s_xor_b32 s40, exec_lo, s40
; %bb.986:                              ;   in Loop: Header=BB10_985 Depth=3
	v_bfe_u32 v22, v120, 16, 1
	s_delay_alu instid0(VALU_DEP_1)
	v_add3_u32 v22, v120, v22, 0x7fff
                                        ; implicit-def: $vgpr120
; %bb.987:                              ;   in Loop: Header=BB10_985 Depth=3
	s_and_not1_saveexec_b32 s40, s40
; %bb.988:                              ;   in Loop: Header=BB10_985 Depth=3
	v_and_b32_e32 v22, 0xffff, v120
	v_or_b32_e32 v96, 0x10000, v120
	s_delay_alu instid0(VALU_DEP_2) | instskip(NEXT) | instid1(VALU_DEP_2)
	v_cmp_eq_u32_e32 vcc_lo, 0, v22
	v_cndmask_b32_e32 v22, v96, v120, vcc_lo
; %bb.989:                              ;   in Loop: Header=BB10_985 Depth=3
	s_or_b32 exec_lo, exec_lo, s40
	s_wait_loadcnt_dscnt 0x1010
	v_dual_lshlrev_b32 v24, 16, v24 :: v_dual_lshlrev_b32 v96, 16, v111
	s_delay_alu instid0(VALU_DEP_1) | instskip(NEXT) | instid1(VALU_DEP_1)
	v_mul_f32_e32 v111, v96, v24
	v_and_b32_e32 v24, 0x7f800000, v111
	s_delay_alu instid0(VALU_DEP_1) | instskip(SKIP_1) | instid1(SALU_CYCLE_1)
	v_cmp_ne_u32_e32 vcc_lo, 0x7f800000, v24
                                        ; implicit-def: $vgpr24
	s_and_saveexec_b32 s40, vcc_lo
	s_xor_b32 s40, exec_lo, s40
; %bb.990:                              ;   in Loop: Header=BB10_985 Depth=3
	v_bfe_u32 v24, v111, 16, 1
	s_delay_alu instid0(VALU_DEP_1)
	v_add3_u32 v24, v111, v24, 0x7fff
                                        ; implicit-def: $vgpr111
; %bb.991:                              ;   in Loop: Header=BB10_985 Depth=3
	s_and_not1_saveexec_b32 s40, s40
; %bb.992:                              ;   in Loop: Header=BB10_985 Depth=3
	v_and_b32_e32 v24, 0xffff, v111
	v_or_b32_e32 v96, 0x10000, v111
	s_delay_alu instid0(VALU_DEP_2) | instskip(NEXT) | instid1(VALU_DEP_2)
	v_cmp_eq_u32_e32 vcc_lo, 0, v24
	v_cndmask_b32_e32 v24, v96, v111, vcc_lo
; %bb.993:                              ;   in Loop: Header=BB10_985 Depth=3
	s_or_b32 exec_lo, exec_lo, s40
	v_dual_lshlrev_b32 v27, 16, v27 :: v_dual_lshlrev_b32 v96, 16, v110
	s_delay_alu instid0(VALU_DEP_1) | instskip(NEXT) | instid1(VALU_DEP_1)
	v_mul_f32_e32 v110, v96, v27
	v_and_b32_e32 v27, 0x7f800000, v110
	s_delay_alu instid0(VALU_DEP_1) | instskip(SKIP_1) | instid1(SALU_CYCLE_1)
	v_cmp_ne_u32_e32 vcc_lo, 0x7f800000, v27
                                        ; implicit-def: $vgpr27
	s_and_saveexec_b32 s40, vcc_lo
	s_xor_b32 s40, exec_lo, s40
; %bb.994:                              ;   in Loop: Header=BB10_985 Depth=3
	v_bfe_u32 v27, v110, 16, 1
	s_delay_alu instid0(VALU_DEP_1)
	v_add3_u32 v27, v110, v27, 0x7fff
                                        ; implicit-def: $vgpr110
; %bb.995:                              ;   in Loop: Header=BB10_985 Depth=3
	s_and_not1_saveexec_b32 s40, s40
; %bb.996:                              ;   in Loop: Header=BB10_985 Depth=3
	v_and_b32_e32 v27, 0xffff, v110
	v_or_b32_e32 v96, 0x10000, v110
	s_delay_alu instid0(VALU_DEP_2) | instskip(NEXT) | instid1(VALU_DEP_2)
	v_cmp_eq_u32_e32 vcc_lo, 0, v27
	v_cndmask_b32_e32 v27, v96, v110, vcc_lo
; %bb.997:                              ;   in Loop: Header=BB10_985 Depth=3
	s_or_b32 exec_lo, exec_lo, s40
	v_dual_lshlrev_b32 v34, 16, v34 :: v_dual_lshlrev_b32 v96, 16, v109
	s_delay_alu instid0(VALU_DEP_1) | instskip(NEXT) | instid1(VALU_DEP_1)
	v_mul_f32_e32 v109, v96, v34
	v_and_b32_e32 v34, 0x7f800000, v109
	s_delay_alu instid0(VALU_DEP_1) | instskip(SKIP_1) | instid1(SALU_CYCLE_1)
	v_cmp_ne_u32_e32 vcc_lo, 0x7f800000, v34
                                        ; implicit-def: $vgpr34
	s_and_saveexec_b32 s40, vcc_lo
	s_xor_b32 s40, exec_lo, s40
; %bb.998:                              ;   in Loop: Header=BB10_985 Depth=3
	v_bfe_u32 v34, v109, 16, 1
	s_delay_alu instid0(VALU_DEP_1)
	v_add3_u32 v34, v109, v34, 0x7fff
                                        ; implicit-def: $vgpr109
; %bb.999:                              ;   in Loop: Header=BB10_985 Depth=3
	s_and_not1_saveexec_b32 s40, s40
; %bb.1000:                             ;   in Loop: Header=BB10_985 Depth=3
	v_and_b32_e32 v34, 0xffff, v109
	v_or_b32_e32 v96, 0x10000, v109
	s_delay_alu instid0(VALU_DEP_2) | instskip(NEXT) | instid1(VALU_DEP_2)
	v_cmp_eq_u32_e32 vcc_lo, 0, v34
	v_cndmask_b32_e32 v34, v96, v109, vcc_lo
; %bb.1001:                             ;   in Loop: Header=BB10_985 Depth=3
	s_or_b32 exec_lo, exec_lo, s40
	v_dual_lshlrev_b32 v38, 16, v38 :: v_dual_lshlrev_b32 v96, 16, v108
	s_delay_alu instid0(VALU_DEP_1) | instskip(NEXT) | instid1(VALU_DEP_1)
	v_mul_f32_e32 v108, v96, v38
	v_and_b32_e32 v38, 0x7f800000, v108
	s_delay_alu instid0(VALU_DEP_1) | instskip(SKIP_1) | instid1(SALU_CYCLE_1)
	v_cmp_ne_u32_e32 vcc_lo, 0x7f800000, v38
                                        ; implicit-def: $vgpr38
	s_and_saveexec_b32 s40, vcc_lo
	s_xor_b32 s40, exec_lo, s40
; %bb.1002:                             ;   in Loop: Header=BB10_985 Depth=3
	v_bfe_u32 v38, v108, 16, 1
	s_delay_alu instid0(VALU_DEP_1)
	v_add3_u32 v38, v108, v38, 0x7fff
                                        ; implicit-def: $vgpr108
; %bb.1003:                             ;   in Loop: Header=BB10_985 Depth=3
	s_and_not1_saveexec_b32 s40, s40
; %bb.1004:                             ;   in Loop: Header=BB10_985 Depth=3
	v_and_b32_e32 v38, 0xffff, v108
	v_or_b32_e32 v96, 0x10000, v108
	s_delay_alu instid0(VALU_DEP_2) | instskip(NEXT) | instid1(VALU_DEP_2)
	v_cmp_eq_u32_e32 vcc_lo, 0, v38
	v_cndmask_b32_e32 v38, v96, v108, vcc_lo
; %bb.1005:                             ;   in Loop: Header=BB10_985 Depth=3
	s_or_b32 exec_lo, exec_lo, s40
	v_dual_lshlrev_b32 v49, 16, v49 :: v_dual_lshlrev_b32 v96, 16, v107
	s_delay_alu instid0(VALU_DEP_1) | instskip(NEXT) | instid1(VALU_DEP_1)
	v_mul_f32_e32 v107, v96, v49
	v_and_b32_e32 v49, 0x7f800000, v107
	s_delay_alu instid0(VALU_DEP_1) | instskip(SKIP_1) | instid1(SALU_CYCLE_1)
	v_cmp_ne_u32_e32 vcc_lo, 0x7f800000, v49
                                        ; implicit-def: $vgpr49
	s_and_saveexec_b32 s40, vcc_lo
	s_xor_b32 s40, exec_lo, s40
; %bb.1006:                             ;   in Loop: Header=BB10_985 Depth=3
	v_bfe_u32 v49, v107, 16, 1
	s_delay_alu instid0(VALU_DEP_1)
	v_add3_u32 v49, v107, v49, 0x7fff
                                        ; implicit-def: $vgpr107
; %bb.1007:                             ;   in Loop: Header=BB10_985 Depth=3
	s_and_not1_saveexec_b32 s40, s40
; %bb.1008:                             ;   in Loop: Header=BB10_985 Depth=3
	v_and_b32_e32 v49, 0xffff, v107
	v_or_b32_e32 v96, 0x10000, v107
	s_delay_alu instid0(VALU_DEP_2) | instskip(NEXT) | instid1(VALU_DEP_2)
	v_cmp_eq_u32_e32 vcc_lo, 0, v49
	v_cndmask_b32_e32 v49, v96, v107, vcc_lo
; %bb.1009:                             ;   in Loop: Header=BB10_985 Depth=3
	s_or_b32 exec_lo, exec_lo, s40
	v_dual_lshlrev_b32 v52, 16, v52 :: v_dual_lshlrev_b32 v96, 16, v106
	s_delay_alu instid0(VALU_DEP_1) | instskip(NEXT) | instid1(VALU_DEP_1)
	v_mul_f32_e32 v106, v96, v52
	v_and_b32_e32 v52, 0x7f800000, v106
	s_delay_alu instid0(VALU_DEP_1) | instskip(SKIP_1) | instid1(SALU_CYCLE_1)
	v_cmp_ne_u32_e32 vcc_lo, 0x7f800000, v52
                                        ; implicit-def: $vgpr52
	s_and_saveexec_b32 s40, vcc_lo
	s_xor_b32 s40, exec_lo, s40
; %bb.1010:                             ;   in Loop: Header=BB10_985 Depth=3
	v_bfe_u32 v52, v106, 16, 1
	s_delay_alu instid0(VALU_DEP_1)
	v_add3_u32 v52, v106, v52, 0x7fff
                                        ; implicit-def: $vgpr106
; %bb.1011:                             ;   in Loop: Header=BB10_985 Depth=3
	s_and_not1_saveexec_b32 s40, s40
; %bb.1012:                             ;   in Loop: Header=BB10_985 Depth=3
	v_and_b32_e32 v52, 0xffff, v106
	v_or_b32_e32 v96, 0x10000, v106
	s_delay_alu instid0(VALU_DEP_2) | instskip(NEXT) | instid1(VALU_DEP_2)
	v_cmp_eq_u32_e32 vcc_lo, 0, v52
	v_cndmask_b32_e32 v52, v96, v106, vcc_lo
; %bb.1013:                             ;   in Loop: Header=BB10_985 Depth=3
	s_or_b32 exec_lo, exec_lo, s40
	v_dual_lshlrev_b32 v96, 16, v94 :: v_dual_lshlrev_b32 v97, 16, v105
	s_mov_b32 s40, exec_lo
                                        ; implicit-def: $vgpr94
	s_delay_alu instid0(VALU_DEP_1) | instskip(NEXT) | instid1(VALU_DEP_1)
	v_mul_f32_e32 v105, v97, v96
	v_and_b32_e32 v96, 0x7f800000, v105
	s_delay_alu instid0(VALU_DEP_1)
	v_cmpx_ne_u32_e32 0x7f800000, v96
	s_xor_b32 s40, exec_lo, s40
; %bb.1014:                             ;   in Loop: Header=BB10_985 Depth=3
	v_bfe_u32 v96, v105, 16, 1
	s_delay_alu instid0(VALU_DEP_1)
	v_add3_u32 v94, v105, v96, 0x7fff
                                        ; implicit-def: $vgpr105
; %bb.1015:                             ;   in Loop: Header=BB10_985 Depth=3
	s_and_not1_saveexec_b32 s40, s40
; %bb.1016:                             ;   in Loop: Header=BB10_985 Depth=3
	v_and_b32_e32 v96, 0xffff, v105
	v_or_b32_e32 v97, 0x10000, v105
	s_delay_alu instid0(VALU_DEP_2) | instskip(NEXT) | instid1(VALU_DEP_2)
	v_cmp_eq_u32_e32 vcc_lo, 0, v96
	v_cndmask_b32_e32 v94, v97, v105, vcc_lo
; %bb.1017:                             ;   in Loop: Header=BB10_985 Depth=3
	s_or_b32 exec_lo, exec_lo, s40
	s_wait_loadcnt_dscnt 0x707
	v_dual_lshlrev_b32 v96, 16, v95 :: v_dual_lshlrev_b32 v97, 16, v104
	s_mov_b32 s40, exec_lo
                                        ; implicit-def: $vgpr95
	s_delay_alu instid0(VALU_DEP_1) | instskip(NEXT) | instid1(VALU_DEP_1)
	v_mul_f32_e32 v104, v97, v96
	v_and_b32_e32 v96, 0x7f800000, v104
	s_delay_alu instid0(VALU_DEP_1)
	v_cmpx_ne_u32_e32 0x7f800000, v96
	s_xor_b32 s40, exec_lo, s40
; %bb.1018:                             ;   in Loop: Header=BB10_985 Depth=3
	v_bfe_u32 v96, v104, 16, 1
	s_delay_alu instid0(VALU_DEP_1)
	v_add3_u32 v95, v104, v96, 0x7fff
                                        ; implicit-def: $vgpr104
; %bb.1019:                             ;   in Loop: Header=BB10_985 Depth=3
	s_and_not1_saveexec_b32 s40, s40
; %bb.1020:                             ;   in Loop: Header=BB10_985 Depth=3
	v_and_b32_e32 v96, 0xffff, v104
	v_or_b32_e32 v97, 0x10000, v104
	s_delay_alu instid0(VALU_DEP_2) | instskip(NEXT) | instid1(VALU_DEP_2)
	v_cmp_eq_u32_e32 vcc_lo, 0, v96
	v_cndmask_b32_e32 v95, v97, v104, vcc_lo
; %bb.1021:                             ;   in Loop: Header=BB10_985 Depth=3
	s_or_b32 exec_lo, exec_lo, s40
	v_lshlrev_b32_e32 v53, 16, v53
	s_wait_loadcnt_dscnt 0x606
	v_lshlrev_b32_e32 v96, 16, v77
	s_delay_alu instid0(VALU_DEP_1) | instskip(NEXT) | instid1(VALU_DEP_1)
	v_mul_f32_e32 v77, v96, v53
	v_and_b32_e32 v53, 0x7f800000, v77
	s_delay_alu instid0(VALU_DEP_1) | instskip(SKIP_1) | instid1(SALU_CYCLE_1)
	v_cmp_ne_u32_e32 vcc_lo, 0x7f800000, v53
                                        ; implicit-def: $vgpr53
	s_and_saveexec_b32 s40, vcc_lo
	s_xor_b32 s40, exec_lo, s40
; %bb.1022:                             ;   in Loop: Header=BB10_985 Depth=3
	v_bfe_u32 v53, v77, 16, 1
	s_delay_alu instid0(VALU_DEP_1)
	v_add3_u32 v53, v77, v53, 0x7fff
                                        ; implicit-def: $vgpr77
; %bb.1023:                             ;   in Loop: Header=BB10_985 Depth=3
	s_and_not1_saveexec_b32 s40, s40
; %bb.1024:                             ;   in Loop: Header=BB10_985 Depth=3
	v_and_b32_e32 v53, 0xffff, v77
	v_or_b32_e32 v96, 0x10000, v77
	s_delay_alu instid0(VALU_DEP_2) | instskip(NEXT) | instid1(VALU_DEP_2)
	v_cmp_eq_u32_e32 vcc_lo, 0, v53
	v_cndmask_b32_e32 v53, v96, v77, vcc_lo
; %bb.1025:                             ;   in Loop: Header=BB10_985 Depth=3
	s_or_b32 exec_lo, exec_lo, s40
	s_wait_loadcnt_dscnt 0x505
	v_dual_lshlrev_b32 v50, 16, v50 :: v_dual_lshlrev_b32 v51, 16, v51
	s_delay_alu instid0(VALU_DEP_1) | instskip(NEXT) | instid1(VALU_DEP_1)
	v_mul_f32_e32 v51, v51, v50
	v_and_b32_e32 v50, 0x7f800000, v51
	s_delay_alu instid0(VALU_DEP_1) | instskip(SKIP_1) | instid1(SALU_CYCLE_1)
	v_cmp_ne_u32_e32 vcc_lo, 0x7f800000, v50
                                        ; implicit-def: $vgpr50
	s_and_saveexec_b32 s40, vcc_lo
	s_xor_b32 s40, exec_lo, s40
; %bb.1026:                             ;   in Loop: Header=BB10_985 Depth=3
	v_bfe_u32 v50, v51, 16, 1
	s_delay_alu instid0(VALU_DEP_1)
	v_add3_u32 v50, v51, v50, 0x7fff
                                        ; implicit-def: $vgpr51
; %bb.1027:                             ;   in Loop: Header=BB10_985 Depth=3
	s_and_not1_saveexec_b32 s40, s40
; %bb.1028:                             ;   in Loop: Header=BB10_985 Depth=3
	v_and_b32_e32 v50, 0xffff, v51
	v_or_b32_e32 v96, 0x10000, v51
	s_delay_alu instid0(VALU_DEP_2) | instskip(NEXT) | instid1(VALU_DEP_2)
	v_cmp_eq_u32_e32 vcc_lo, 0, v50
	v_cndmask_b32_e32 v50, v96, v51, vcc_lo
; %bb.1029:                             ;   in Loop: Header=BB10_985 Depth=3
	s_or_b32 exec_lo, exec_lo, s40
	s_wait_loadcnt_dscnt 0x404
	v_dual_lshlrev_b32 v39, 16, v39 :: v_dual_lshlrev_b32 v48, 16, v48
	s_delay_alu instid0(VALU_DEP_1) | instskip(NEXT) | instid1(VALU_DEP_1)
	v_mul_f32_e32 v48, v48, v39
	v_and_b32_e32 v39, 0x7f800000, v48
	s_delay_alu instid0(VALU_DEP_1) | instskip(SKIP_1) | instid1(SALU_CYCLE_1)
	v_cmp_ne_u32_e32 vcc_lo, 0x7f800000, v39
                                        ; implicit-def: $vgpr39
	s_and_saveexec_b32 s40, vcc_lo
	s_xor_b32 s40, exec_lo, s40
; %bb.1030:                             ;   in Loop: Header=BB10_985 Depth=3
	v_bfe_u32 v39, v48, 16, 1
	s_delay_alu instid0(VALU_DEP_1)
	v_add3_u32 v39, v48, v39, 0x7fff
                                        ; implicit-def: $vgpr48
; %bb.1031:                             ;   in Loop: Header=BB10_985 Depth=3
	s_and_not1_saveexec_b32 s40, s40
; %bb.1032:                             ;   in Loop: Header=BB10_985 Depth=3
	v_and_b32_e32 v39, 0xffff, v48
	v_or_b32_e32 v51, 0x10000, v48
	s_delay_alu instid0(VALU_DEP_2) | instskip(NEXT) | instid1(VALU_DEP_2)
	v_cmp_eq_u32_e32 vcc_lo, 0, v39
	v_cndmask_b32_e32 v39, v51, v48, vcc_lo
; %bb.1033:                             ;   in Loop: Header=BB10_985 Depth=3
	s_or_b32 exec_lo, exec_lo, s40
	s_wait_loadcnt_dscnt 0x303
	v_dual_lshlrev_b32 v36, 16, v36 :: v_dual_lshlrev_b32 v37, 16, v37
	s_delay_alu instid0(VALU_DEP_1) | instskip(NEXT) | instid1(VALU_DEP_1)
	v_mul_f32_e32 v37, v37, v36
	v_and_b32_e32 v36, 0x7f800000, v37
	s_delay_alu instid0(VALU_DEP_1) | instskip(SKIP_1) | instid1(SALU_CYCLE_1)
	v_cmp_ne_u32_e32 vcc_lo, 0x7f800000, v36
                                        ; implicit-def: $vgpr36
	s_and_saveexec_b32 s40, vcc_lo
	s_xor_b32 s40, exec_lo, s40
; %bb.1034:                             ;   in Loop: Header=BB10_985 Depth=3
	v_bfe_u32 v36, v37, 16, 1
	s_delay_alu instid0(VALU_DEP_1)
	v_add3_u32 v36, v37, v36, 0x7fff
                                        ; implicit-def: $vgpr37
; %bb.1035:                             ;   in Loop: Header=BB10_985 Depth=3
	s_and_not1_saveexec_b32 s40, s40
; %bb.1036:                             ;   in Loop: Header=BB10_985 Depth=3
	v_and_b32_e32 v36, 0xffff, v37
	v_or_b32_e32 v48, 0x10000, v37
	s_delay_alu instid0(VALU_DEP_2) | instskip(NEXT) | instid1(VALU_DEP_2)
	v_cmp_eq_u32_e32 vcc_lo, 0, v36
	v_cndmask_b32_e32 v36, v48, v37, vcc_lo
; %bb.1037:                             ;   in Loop: Header=BB10_985 Depth=3
	s_or_b32 exec_lo, exec_lo, s40
	s_wait_loadcnt_dscnt 0x202
	v_dual_lshlrev_b32 v33, 16, v33 :: v_dual_lshlrev_b32 v35, 16, v35
	s_delay_alu instid0(VALU_DEP_1) | instskip(NEXT) | instid1(VALU_DEP_1)
	v_mul_f32_e32 v35, v35, v33
	v_and_b32_e32 v33, 0x7f800000, v35
	s_delay_alu instid0(VALU_DEP_1) | instskip(SKIP_1) | instid1(SALU_CYCLE_1)
	v_cmp_ne_u32_e32 vcc_lo, 0x7f800000, v33
                                        ; implicit-def: $vgpr33
	s_and_saveexec_b32 s40, vcc_lo
	s_xor_b32 s40, exec_lo, s40
; %bb.1038:                             ;   in Loop: Header=BB10_985 Depth=3
	v_bfe_u32 v33, v35, 16, 1
	s_delay_alu instid0(VALU_DEP_1)
	v_add3_u32 v33, v35, v33, 0x7fff
                                        ; implicit-def: $vgpr35
; %bb.1039:                             ;   in Loop: Header=BB10_985 Depth=3
	s_and_not1_saveexec_b32 s40, s40
; %bb.1040:                             ;   in Loop: Header=BB10_985 Depth=3
	v_and_b32_e32 v33, 0xffff, v35
	v_or_b32_e32 v37, 0x10000, v35
	s_delay_alu instid0(VALU_DEP_2) | instskip(NEXT) | instid1(VALU_DEP_2)
	v_cmp_eq_u32_e32 vcc_lo, 0, v33
	v_cndmask_b32_e32 v33, v37, v35, vcc_lo
; %bb.1041:                             ;   in Loop: Header=BB10_985 Depth=3
	s_or_b32 exec_lo, exec_lo, s40
	s_wait_loadcnt_dscnt 0x101
	v_dual_lshlrev_b32 v26, 16, v26 :: v_dual_lshlrev_b32 v32, 16, v32
	s_delay_alu instid0(VALU_DEP_1) | instskip(NEXT) | instid1(VALU_DEP_1)
	v_mul_f32_e32 v32, v32, v26
	v_and_b32_e32 v26, 0x7f800000, v32
	s_delay_alu instid0(VALU_DEP_1) | instskip(SKIP_1) | instid1(SALU_CYCLE_1)
	v_cmp_ne_u32_e32 vcc_lo, 0x7f800000, v26
                                        ; implicit-def: $vgpr26
	s_and_saveexec_b32 s40, vcc_lo
	s_xor_b32 s40, exec_lo, s40
; %bb.1042:                             ;   in Loop: Header=BB10_985 Depth=3
	v_bfe_u32 v26, v32, 16, 1
	s_delay_alu instid0(VALU_DEP_1)
	v_add3_u32 v26, v32, v26, 0x7fff
                                        ; implicit-def: $vgpr32
; %bb.1043:                             ;   in Loop: Header=BB10_985 Depth=3
	s_and_not1_saveexec_b32 s40, s40
; %bb.1044:                             ;   in Loop: Header=BB10_985 Depth=3
	v_and_b32_e32 v26, 0xffff, v32
	v_or_b32_e32 v35, 0x10000, v32
	s_delay_alu instid0(VALU_DEP_2) | instskip(NEXT) | instid1(VALU_DEP_2)
	v_cmp_eq_u32_e32 vcc_lo, 0, v26
	v_cndmask_b32_e32 v26, v35, v32, vcc_lo
; %bb.1045:                             ;   in Loop: Header=BB10_985 Depth=3
	s_or_b32 exec_lo, exec_lo, s40
	s_wait_loadcnt_dscnt 0x0
	v_dual_lshlrev_b32 v23, 16, v23 :: v_dual_lshlrev_b32 v25, 16, v25
	s_delay_alu instid0(VALU_DEP_1) | instskip(NEXT) | instid1(VALU_DEP_1)
	v_mul_f32_e32 v25, v25, v23
	v_and_b32_e32 v23, 0x7f800000, v25
	s_delay_alu instid0(VALU_DEP_1) | instskip(SKIP_1) | instid1(SALU_CYCLE_1)
	v_cmp_ne_u32_e32 vcc_lo, 0x7f800000, v23
                                        ; implicit-def: $vgpr23
	s_and_saveexec_b32 s40, vcc_lo
	s_xor_b32 s40, exec_lo, s40
; %bb.1046:                             ;   in Loop: Header=BB10_985 Depth=3
	v_bfe_u32 v23, v25, 16, 1
	s_delay_alu instid0(VALU_DEP_1)
	v_add3_u32 v23, v25, v23, 0x7fff
                                        ; implicit-def: $vgpr25
; %bb.1047:                             ;   in Loop: Header=BB10_985 Depth=3
	s_and_not1_saveexec_b32 s40, s40
	s_cbranch_execz .LBB10_984
; %bb.1048:                             ;   in Loop: Header=BB10_985 Depth=3
	v_and_b32_e32 v23, 0xffff, v25
	v_or_b32_e32 v32, 0x10000, v25
	s_delay_alu instid0(VALU_DEP_2) | instskip(NEXT) | instid1(VALU_DEP_2)
	v_cmp_eq_u32_e32 vcc_lo, 0, v23
	v_cndmask_b32_e32 v23, v32, v25, vcc_lo
	s_branch .LBB10_984
.LBB10_1049:                            ;   in Loop: Header=BB10_727 Depth=2
	s_or_b32 exec_lo, exec_lo, s14
.LBB10_1050:                            ;   in Loop: Header=BB10_727 Depth=2
	s_delay_alu instid0(SALU_CYCLE_1) | instskip(SKIP_1) | instid1(VALU_DEP_1)
	s_or_b32 exec_lo, exec_lo, s13
	v_lshlrev_b32_e32 v8, 10, v21
	v_cmp_ne_u32_e32 vcc_lo, v17, v8
	s_and_b32 exec_lo, exec_lo, vcc_lo
	s_cbranch_execz .LBB10_1060
; %bb.1051:                             ;   in Loop: Header=BB10_727 Depth=2
	v_dual_add_nc_u32 v9, v18, v20 :: v_dual_lshlrev_b32 v10, 5, v19
	s_delay_alu instid0(VALU_DEP_1) | instskip(NEXT) | instid1(VALU_DEP_1)
	v_and_b32_e32 v9, 0xffffffe0, v9
	v_sub_nc_u32_e32 v9, v18, v9
	s_delay_alu instid0(VALU_DEP_1) | instskip(NEXT) | instid1(VALU_DEP_1)
	v_sub_nc_u32_e32 v9, v9, v10
	v_ashrrev_i32_e32 v10, 31, v9
	s_delay_alu instid0(VALU_DEP_1) | instskip(NEXT) | instid1(VALU_DEP_1)
	v_lshrrev_b32_e32 v10, 27, v10
	v_add_nc_u32_e32 v10, v9, v10
	s_delay_alu instid0(VALU_DEP_1) | instskip(NEXT) | instid1(VALU_DEP_1)
	v_and_b32_e32 v11, 0x7fffffe0, v10
	v_dual_lshlrev_b32 v10, 1, v10 :: v_dual_sub_nc_u32 v9, v9, v11
	s_delay_alu instid0(VALU_DEP_1) | instskip(NEXT) | instid1(VALU_DEP_2)
	v_and_b32_e32 v10, 0xffffffc0, v10
	v_lshlrev_b32_e32 v9, 1, v9
	s_delay_alu instid0(VALU_DEP_1) | instskip(NEXT) | instid1(VALU_DEP_1)
	v_add3_u32 v8, v10, v9, v8
	v_sub_nc_u32_e32 v17, v17, v8
	s_delay_alu instid0(VALU_DEP_1)
	v_cmp_lt_i32_e32 vcc_lo, 1, v17
	s_and_b32 exec_lo, exec_lo, vcc_lo
	s_cbranch_execz .LBB10_1060
; %bb.1052:                             ;   in Loop: Header=BB10_727 Depth=2
	s_trap 2
	ds_load_b64 v[14:15], v0
	v_add_nc_u32_e32 v18, v8, v16
	s_mov_b32 s62, 0
	s_delay_alu instid0(VALU_DEP_1) | instskip(NEXT) | instid1(VALU_DEP_1)
	v_ashrrev_i32_e32 v19, 31, v18
	v_add_nc_u64_e32 v[8:9], v[18:19], v[90:91]
	v_add_nc_u64_e32 v[10:11], v[18:19], v[92:93]
	;; [unrolled: 1-line block ×3, first 2 shown]
	s_wait_dscnt 0x0
	v_add_nc_u64_e32 v[14:15], v[14:15], v[18:19]
.LBB10_1053:                            ;   Parent Loop BB10_47 Depth=1
                                        ;     Parent Loop BB10_727 Depth=2
                                        ; =>    This Loop Header: Depth=3
                                        ;         Child Loop BB10_1058 Depth 4
	flat_load_u16 v16, v[12:13] th:TH_LOAD_NT
	flat_load_u16 v18, v[14:15] th:TH_LOAD_NT
	s_wait_loadcnt_dscnt 0x0
	v_dual_lshlrev_b32 v16, 16, v16 :: v_dual_lshlrev_b32 v18, 16, v18
	s_delay_alu instid0(VALU_DEP_1) | instskip(NEXT) | instid1(VALU_DEP_1)
	v_mul_f32_e32 v16, v18, v16
	v_and_b32_e32 v18, 0x7f800000, v16
	s_delay_alu instid0(VALU_DEP_1) | instskip(SKIP_2) | instid1(SALU_CYCLE_1)
	v_cmp_ne_u32_e32 vcc_lo, 0x7f800000, v18
                                        ; implicit-def: $vgpr18
	s_wait_xcnt 0x0
	s_and_saveexec_b32 s13, vcc_lo
	s_xor_b32 s13, exec_lo, s13
; %bb.1054:                             ;   in Loop: Header=BB10_1053 Depth=3
	v_bfe_u32 v18, v16, 16, 1
	s_delay_alu instid0(VALU_DEP_1)
	v_add3_u32 v18, v16, v18, 0x7fff
                                        ; implicit-def: $vgpr16
; %bb.1055:                             ;   in Loop: Header=BB10_1053 Depth=3
	s_and_not1_saveexec_b32 s13, s13
; %bb.1056:                             ;   in Loop: Header=BB10_1053 Depth=3
	v_and_b32_e32 v18, 0xffff, v16
	v_or_b32_e32 v19, 0x10000, v16
	s_delay_alu instid0(VALU_DEP_2) | instskip(NEXT) | instid1(VALU_DEP_2)
	v_cmp_eq_u32_e32 vcc_lo, 0, v18
	v_cndmask_b32_e32 v18, v19, v16, vcc_lo
; %bb.1057:                             ;   in Loop: Header=BB10_1053 Depth=3
	s_or_b32 exec_lo, exec_lo, s13
	s_delay_alu instid0(VALU_DEP_1)
	v_lshrrev_b32_e32 v16, 16, v18
	s_mov_b64 s[40:41], 0
	s_mov_b32 s63, -1
.LBB10_1058:                            ;   Parent Loop BB10_47 Depth=1
                                        ;     Parent Loop BB10_727 Depth=2
                                        ;       Parent Loop BB10_1053 Depth=3
                                        ; =>      This Inner Loop Header: Depth=4
	s_cmp_eq_u32 s40, 1
	s_cselect_b32 vcc_lo, -1, 0
	s_cmp_eq_u32 s40, 0
	s_wait_xcnt 0x0
	v_dual_cndmask_b32 v19, v9, v11 :: v_dual_cndmask_b32 v18, v8, v10
	s_cselect_b32 s13, -1, 0
	s_and_b32 s14, exec_lo, s63
	s_mov_b64 s[40:41], 1
	s_mov_b32 s63, 0
	v_add_nc_u64_e32 v[20:21], 64, v[18:19]
	flat_store_b16 v[18:19], v16 th:TH_STORE_NT
	v_dual_cndmask_b32 v11, v11, v21 :: v_dual_cndmask_b32 v10, v10, v20
	v_dual_cndmask_b32 v9, v9, v21, s13 :: v_dual_cndmask_b32 v8, v8, v20, s13
	s_mov_b32 vcc_lo, s14
	s_cbranch_vccnz .LBB10_1058
; %bb.1059:                             ;   in Loop: Header=BB10_1053 Depth=3
	v_sub_nc_u32_e32 v17, v17, v114
	v_add_nc_u64_e32 v[12:13], v[12:13], v[46:47]
	v_add_nc_u64_e32 v[14:15], v[14:15], v[46:47]
	;; [unrolled: 1-line block ×4, first 2 shown]
	v_cmp_gt_i32_e32 vcc_lo, 2, v17
	s_or_b32 s62, vcc_lo, s62
	s_wait_xcnt 0x0
	s_and_not1_b32 exec_lo, exec_lo, s62
	s_cbranch_execnz .LBB10_1053
.LBB10_1060:                            ;   in Loop: Header=BB10_727 Depth=2
	s_or_b32 exec_lo, exec_lo, s15
	s_mov_b32 s13, 0
.LBB10_1061:                            ;   in Loop: Header=BB10_727 Depth=2
	s_delay_alu instid0(SALU_CYCLE_1)
	s_and_b32 vcc_lo, exec_lo, s13
	s_cbranch_vccz .LBB10_1318
; %bb.1062:                             ;   in Loop: Header=BB10_727 Depth=2
	s_mov_b32 s13, -1
	s_and_saveexec_b32 s14, s12
	s_cbranch_execz .LBB10_1064
; %bb.1063:                             ;   in Loop: Header=BB10_727 Depth=2
	ds_load_b32 v8, v0 offset:720
	s_wait_dscnt 0x0
	v_and_b32_e32 v8, 15, v8
	s_delay_alu instid0(VALU_DEP_1)
	v_cmp_eq_u32_e32 vcc_lo, 0, v8
	s_or_not1_b32 s13, vcc_lo, exec_lo
.LBB10_1064:                            ;   in Loop: Header=BB10_727 Depth=2
	s_or_b32 exec_lo, exec_lo, s14
	s_and_saveexec_b32 s14, s7
	s_cbranch_execz .LBB10_1066
; %bb.1065:                             ;   in Loop: Header=BB10_727 Depth=2
	ds_load_b32 v8, v0 offset:784
	s_wait_dscnt 0x0
	v_and_b32_e32 v8, 15, v8
	s_delay_alu instid0(VALU_DEP_1) | instskip(SKIP_3) | instid1(SALU_CYCLE_1)
	v_cmp_eq_u32_e32 vcc_lo, 0, v8
	s_and_b32 s15, s13, vcc_lo
	s_and_not1_b32 s13, s13, exec_lo
	s_and_b32 s15, s15, exec_lo
	s_or_b32 s13, s13, s15
.LBB10_1066:                            ;   in Loop: Header=BB10_727 Depth=2
	s_or_b32 exec_lo, exec_lo, s14
	s_xor_b32 s13, s13, -1
	v_mov_b32_e32 v14, 0
	v_cndmask_b32_e64 v8, 0, 1, s13
	s_mov_b32 s15, -1
	s_delay_alu instid0(VALU_DEP_1)
	v_cmp_ne_u32_e32 vcc_lo, 0, v8
	s_cbranch_vccz .LBB10_1068
; %bb.1067:                             ;   in Loop: Header=BB10_727 Depth=2
	v_dual_mov_b32 v15, v0 :: v_dual_mov_b32 v8, v124
	s_and_saveexec_b32 s13, s15
	s_cbranch_execnz .LBB10_1241
	s_branch .LBB10_1317
.LBB10_1068:                            ;   in Loop: Header=BB10_727 Depth=2
	v_ashrrev_i32_e32 v8, 31, v75
	s_mov_b32 s13, exec_lo
	s_delay_alu instid0(VALU_DEP_1) | instskip(NEXT) | instid1(VALU_DEP_1)
	v_lshrrev_b32_e32 v8, 21, v8
	v_add_nc_u32_e32 v8, v75, v8
	s_delay_alu instid0(VALU_DEP_1) | instskip(NEXT) | instid1(VALU_DEP_1)
	v_ashrrev_i32_e32 v52, 11, v8
	v_sub_nc_u32_e32 v77, v52, v124
	s_delay_alu instid0(VALU_DEP_1)
	v_cmpx_lt_i32_e32 0, v77
	s_cbranch_execz .LBB10_1200
; %bb.1069:                             ;   in Loop: Header=BB10_727 Depth=2
	s_trap 2
	ds_load_b64 v[8:9], v0
	v_add_nc_u64_e32 v[92:93], v[88:89], v[56:57]
	v_add_nc_u64_e32 v[104:105], v[90:91], v[56:57]
	s_mov_b32 s14, 0
	s_wait_dscnt 0x0
	v_add_nc_u64_e32 v[94:95], v[8:9], v[56:57]
	s_branch .LBB10_1071
.LBB10_1070:                            ;   in Loop: Header=BB10_1071 Depth=3
	s_or_b32 exec_lo, exec_lo, s15
	v_dual_lshrrev_b32 v8, 16, v24 :: v_dual_lshrrev_b32 v9, 16, v35
	v_dual_lshrrev_b32 v15, 16, v25 :: v_dual_lshrrev_b32 v22, 16, v22
	v_lshrrev_b32_e32 v24, 16, v36
	s_delay_alu instid0(VALU_DEP_3) | instskip(SKIP_1) | instid1(VALU_DEP_4)
	v_and_or_b32 v109, 0xffff0000, v21, v8
	v_lshrrev_b32_e32 v8, 16, v51
	v_and_or_b32 v110, 0xffff0000, v18, v15
	v_and_or_b32 v108, 0xffff0000, v20, v9
	v_lshrrev_b32_e32 v15, 16, v106
	v_lshrrev_b32_e32 v9, 16, v34
	v_and_or_b32 v18, 0xffff0000, v32, v8
	v_lshrrev_b32_e32 v8, 16, v37
	v_and_or_b32 v111, 0xffff0000, v19, v22
	v_dual_lshrrev_b32 v22, 16, v53 :: v_dual_lshrrev_b32 v32, 16, v107
	v_and_or_b32 v21, 0xffff0000, v27, v9
	s_delay_alu instid0(VALU_DEP_4)
	v_and_or_b32 v20, 0xffff0000, v26, v8
	v_lshrrev_b32_e32 v8, 16, v50
	v_and_or_b32 v25, 0xffff0000, v49, v15
	v_dual_lshrrev_b32 v9, 16, v16 :: v_dual_lshrrev_b32 v15, 16, v23
	v_dual_lshrrev_b32 v16, 16, v17 :: v_dual_lshrrev_b32 v14, 16, v14
	v_and_or_b32 v19, 0xffff0000, v33, v24
	v_and_or_b32 v24, 0xffff0000, v48, v22
	;; [unrolled: 1-line block ×4, first 2 shown]
	v_sub_nc_u32_e32 v77, v77, v84
	v_and_or_b32 v9, 0xffff0000, v13, v9
	v_and_or_b32 v8, 0xffff0000, v12, v15
	;; [unrolled: 1-line block ×4, first 2 shown]
	s_clause 0x3
	global_store_b128 v[104:105], v[24:27], off th:TH_STORE_NT
	global_store_b128 v[104:105], v[18:21], off offset:512 th:TH_STORE_NT
	global_store_b128 v[104:105], v[108:111], off offset:1024 th:TH_STORE_NT
	;; [unrolled: 1-line block ×3, first 2 shown]
	v_add_nc_u64_e32 v[92:93], v[92:93], v[116:117]
	v_add_nc_u64_e32 v[94:95], v[94:95], v[116:117]
	v_cmp_gt_i32_e32 vcc_lo, 1, v77
	s_wait_xcnt 0x0
	v_add_nc_u64_e32 v[104:105], v[104:105], v[116:117]
	s_or_b32 s14, vcc_lo, s14
	s_delay_alu instid0(SALU_CYCLE_1)
	s_and_not1_b32 exec_lo, exec_lo, s14
	s_cbranch_execz .LBB10_1199
.LBB10_1071:                            ;   Parent Loop BB10_47 Depth=1
                                        ;     Parent Loop BB10_727 Depth=2
                                        ; =>    This Inner Loop Header: Depth=3
	global_load_b128 v[36:39], v[92:93], off th:TH_LOAD_NT
	global_load_b128 v[48:51], v[94:95], off th:TH_LOAD_NT
	s_clause 0x2
	global_load_b128 v[24:27], v[92:93], off offset:512 th:TH_LOAD_NT
	global_load_b128 v[16:19], v[92:93], off offset:1024 th:TH_LOAD_NT
	;; [unrolled: 1-line block ×3, first 2 shown]
	s_clause 0x2
	global_load_b128 v[32:35], v[94:95], off offset:512 th:TH_LOAD_NT
	global_load_b128 v[20:23], v[94:95], off offset:1024 th:TH_LOAD_NT
	;; [unrolled: 1-line block ×3, first 2 shown]
	s_wait_loadcnt 0x7
	v_lshlrev_b32_e32 v53, 16, v36
	s_wait_loadcnt 0x6
	v_lshlrev_b32_e32 v96, 16, v48
	s_delay_alu instid0(VALU_DEP_1) | instskip(NEXT) | instid1(VALU_DEP_1)
	v_mul_f32_e32 v106, v53, v96
	v_and_b32_e32 v53, 0x7f800000, v106
	s_delay_alu instid0(VALU_DEP_1) | instskip(SKIP_2) | instid1(SALU_CYCLE_1)
	v_cmp_ne_u32_e32 vcc_lo, 0x7f800000, v53
                                        ; implicit-def: $vgpr53
	s_wait_xcnt 0x0
	s_and_saveexec_b32 s15, vcc_lo
	s_xor_b32 s15, exec_lo, s15
; %bb.1072:                             ;   in Loop: Header=BB10_1071 Depth=3
	v_bfe_u32 v53, v106, 16, 1
	s_delay_alu instid0(VALU_DEP_1)
	v_add3_u32 v53, v106, v53, 0x7fff
                                        ; implicit-def: $vgpr106
; %bb.1073:                             ;   in Loop: Header=BB10_1071 Depth=3
	s_and_not1_saveexec_b32 s15, s15
; %bb.1074:                             ;   in Loop: Header=BB10_1071 Depth=3
	v_and_b32_e32 v53, 0xffff, v106
	v_or_b32_e32 v96, 0x10000, v106
	s_delay_alu instid0(VALU_DEP_2) | instskip(NEXT) | instid1(VALU_DEP_2)
	v_cmp_eq_u32_e32 vcc_lo, 0, v53
	v_cndmask_b32_e32 v53, v96, v106, vcc_lo
; %bb.1075:                             ;   in Loop: Header=BB10_1071 Depth=3
	s_or_b32 exec_lo, exec_lo, s15
	v_and_b32_e32 v97, 0xffff0000, v48
	v_and_b32_e32 v96, 0xffff0000, v36
	s_mov_b32 s15, exec_lo
                                        ; implicit-def: $vgpr48
	s_delay_alu instid0(VALU_DEP_2) | instskip(NEXT) | instid1(VALU_DEP_1)
	v_mov_b32_e32 v36, v97
	v_pk_mul_f32 v[106:107], v[36:37], v[96:97]
	s_delay_alu instid0(VALU_DEP_1) | instskip(NEXT) | instid1(VALU_DEP_1)
	v_and_b32_e32 v36, 0x7f800000, v106
	v_cmpx_ne_u32_e32 0x7f800000, v36
	s_xor_b32 s15, exec_lo, s15
; %bb.1076:                             ;   in Loop: Header=BB10_1071 Depth=3
	v_bfe_u32 v36, v106, 16, 1
	s_delay_alu instid0(VALU_DEP_1)
	v_add3_u32 v48, v106, v36, 0x7fff
                                        ; implicit-def: $vgpr106_vgpr107
; %bb.1077:                             ;   in Loop: Header=BB10_1071 Depth=3
	s_and_not1_saveexec_b32 s15, s15
; %bb.1078:                             ;   in Loop: Header=BB10_1071 Depth=3
	v_and_b32_e32 v36, 0xffff, v106
	v_or_b32_e32 v48, 0x10000, v106
	s_delay_alu instid0(VALU_DEP_2) | instskip(NEXT) | instid1(VALU_DEP_2)
	v_cmp_eq_u32_e32 vcc_lo, 0, v36
	v_cndmask_b32_e32 v48, v48, v106, vcc_lo
; %bb.1079:                             ;   in Loop: Header=BB10_1071 Depth=3
	s_or_b32 exec_lo, exec_lo, s15
	v_lshlrev_b32_e32 v36, 16, v37
	v_lshlrev_b32_e32 v96, 16, v49
	s_mov_b32 s15, exec_lo
                                        ; implicit-def: $vgpr106
	s_delay_alu instid0(VALU_DEP_1) | instskip(NEXT) | instid1(VALU_DEP_1)
	v_mul_f32_e32 v36, v96, v36
	v_and_b32_e32 v96, 0x7f800000, v36
	s_delay_alu instid0(VALU_DEP_1)
	v_cmpx_ne_u32_e32 0x7f800000, v96
	s_xor_b32 s15, exec_lo, s15
; %bb.1080:                             ;   in Loop: Header=BB10_1071 Depth=3
	v_bfe_u32 v96, v36, 16, 1
	s_delay_alu instid0(VALU_DEP_1)
	v_add3_u32 v106, v36, v96, 0x7fff
                                        ; implicit-def: $vgpr36
; %bb.1081:                             ;   in Loop: Header=BB10_1071 Depth=3
	s_and_not1_saveexec_b32 s15, s15
; %bb.1082:                             ;   in Loop: Header=BB10_1071 Depth=3
	v_and_b32_e32 v96, 0xffff, v36
	v_or_b32_e32 v97, 0x10000, v36
	s_delay_alu instid0(VALU_DEP_2) | instskip(NEXT) | instid1(VALU_DEP_2)
	v_cmp_eq_u32_e32 vcc_lo, 0, v96
	v_cndmask_b32_e32 v106, v97, v36, vcc_lo
; %bb.1083:                             ;   in Loop: Header=BB10_1071 Depth=3
	s_or_b32 exec_lo, exec_lo, s15
	v_and_b32_e32 v97, 0xffff0000, v49
	v_and_b32_e32 v96, 0xffff0000, v37
	s_mov_b32 s15, exec_lo
                                        ; implicit-def: $vgpr49
	s_delay_alu instid0(VALU_DEP_2) | instskip(NEXT) | instid1(VALU_DEP_1)
	v_mov_b32_e32 v36, v97
	v_pk_mul_f32 v[36:37], v[36:37], v[96:97]
	s_delay_alu instid0(VALU_DEP_1) | instskip(NEXT) | instid1(VALU_DEP_1)
	v_and_b32_e32 v37, 0x7f800000, v36
	v_cmpx_ne_u32_e32 0x7f800000, v37
	s_xor_b32 s15, exec_lo, s15
; %bb.1084:                             ;   in Loop: Header=BB10_1071 Depth=3
	v_bfe_u32 v37, v36, 16, 1
	s_delay_alu instid0(VALU_DEP_1)
	v_add3_u32 v49, v36, v37, 0x7fff
                                        ; implicit-def: $vgpr36_vgpr37
; %bb.1085:                             ;   in Loop: Header=BB10_1071 Depth=3
	s_and_not1_saveexec_b32 s15, s15
; %bb.1086:                             ;   in Loop: Header=BB10_1071 Depth=3
	v_and_b32_e32 v37, 0xffff, v36
	v_or_b32_e32 v49, 0x10000, v36
	s_delay_alu instid0(VALU_DEP_2) | instskip(NEXT) | instid1(VALU_DEP_2)
	v_cmp_eq_u32_e32 vcc_lo, 0, v37
	v_cndmask_b32_e32 v49, v49, v36, vcc_lo
; %bb.1087:                             ;   in Loop: Header=BB10_1071 Depth=3
	s_or_b32 exec_lo, exec_lo, s15
	v_lshlrev_b32_e32 v36, 16, v38
	v_lshlrev_b32_e32 v37, 16, v50
	s_mov_b32 s15, exec_lo
                                        ; implicit-def: $vgpr107
	s_delay_alu instid0(VALU_DEP_1) | instskip(NEXT) | instid1(VALU_DEP_1)
	v_mul_f32_e32 v36, v37, v36
	v_and_b32_e32 v37, 0x7f800000, v36
	s_delay_alu instid0(VALU_DEP_1)
	v_cmpx_ne_u32_e32 0x7f800000, v37
	s_xor_b32 s15, exec_lo, s15
; %bb.1088:                             ;   in Loop: Header=BB10_1071 Depth=3
	v_bfe_u32 v37, v36, 16, 1
	s_delay_alu instid0(VALU_DEP_1)
	v_add3_u32 v107, v36, v37, 0x7fff
                                        ; implicit-def: $vgpr36
; %bb.1089:                             ;   in Loop: Header=BB10_1071 Depth=3
	s_and_not1_saveexec_b32 s15, s15
; %bb.1090:                             ;   in Loop: Header=BB10_1071 Depth=3
	v_and_b32_e32 v37, 0xffff, v36
	v_or_b32_e32 v96, 0x10000, v36
	s_delay_alu instid0(VALU_DEP_2) | instskip(NEXT) | instid1(VALU_DEP_2)
	v_cmp_eq_u32_e32 vcc_lo, 0, v37
	v_cndmask_b32_e32 v107, v96, v36, vcc_lo
; %bb.1091:                             ;   in Loop: Header=BB10_1071 Depth=3
	s_or_b32 exec_lo, exec_lo, s15
	v_and_b32_e32 v37, 0xffff0000, v50
	v_and_b32_e32 v36, 0xffff0000, v38
	s_mov_b32 s15, exec_lo
	s_delay_alu instid0(VALU_DEP_2) | instskip(NEXT) | instid1(VALU_DEP_1)
	v_mov_b32_e32 v38, v37
	v_pk_mul_f32 v[36:37], v[38:39], v[36:37]
                                        ; implicit-def: $vgpr38
	s_delay_alu instid0(VALU_DEP_1) | instskip(NEXT) | instid1(VALU_DEP_1)
	v_and_b32_e32 v37, 0x7f800000, v36
	v_cmpx_ne_u32_e32 0x7f800000, v37
	s_xor_b32 s15, exec_lo, s15
; %bb.1092:                             ;   in Loop: Header=BB10_1071 Depth=3
	v_bfe_u32 v37, v36, 16, 1
	s_delay_alu instid0(VALU_DEP_1)
	v_add3_u32 v38, v36, v37, 0x7fff
                                        ; implicit-def: $vgpr36_vgpr37
; %bb.1093:                             ;   in Loop: Header=BB10_1071 Depth=3
	s_and_not1_saveexec_b32 s15, s15
; %bb.1094:                             ;   in Loop: Header=BB10_1071 Depth=3
	v_and_b32_e32 v37, 0xffff, v36
	v_or_b32_e32 v38, 0x10000, v36
	s_delay_alu instid0(VALU_DEP_2) | instskip(NEXT) | instid1(VALU_DEP_2)
	v_cmp_eq_u32_e32 vcc_lo, 0, v37
	v_cndmask_b32_e32 v38, v38, v36, vcc_lo
; %bb.1095:                             ;   in Loop: Header=BB10_1071 Depth=3
	s_or_b32 exec_lo, exec_lo, s15
	v_lshlrev_b32_e32 v36, 16, v39
	v_lshlrev_b32_e32 v37, 16, v51
	s_mov_b32 s15, exec_lo
                                        ; implicit-def: $vgpr50
	s_delay_alu instid0(VALU_DEP_1) | instskip(NEXT) | instid1(VALU_DEP_1)
	v_mul_f32_e32 v36, v37, v36
	v_and_b32_e32 v37, 0x7f800000, v36
	s_delay_alu instid0(VALU_DEP_1)
	v_cmpx_ne_u32_e32 0x7f800000, v37
	s_xor_b32 s15, exec_lo, s15
; %bb.1096:                             ;   in Loop: Header=BB10_1071 Depth=3
	v_bfe_u32 v37, v36, 16, 1
	s_delay_alu instid0(VALU_DEP_1)
	v_add3_u32 v50, v36, v37, 0x7fff
                                        ; implicit-def: $vgpr36
; %bb.1097:                             ;   in Loop: Header=BB10_1071 Depth=3
	s_and_not1_saveexec_b32 s15, s15
; %bb.1098:                             ;   in Loop: Header=BB10_1071 Depth=3
	v_and_b32_e32 v37, 0xffff, v36
	v_or_b32_e32 v50, 0x10000, v36
	s_delay_alu instid0(VALU_DEP_2) | instskip(NEXT) | instid1(VALU_DEP_2)
	v_cmp_eq_u32_e32 vcc_lo, 0, v37
	v_cndmask_b32_e32 v50, v50, v36, vcc_lo
; %bb.1099:                             ;   in Loop: Header=BB10_1071 Depth=3
	s_or_b32 exec_lo, exec_lo, s15
	v_and_b32_e32 v37, 0xffff0000, v51
	v_and_b32_e32 v36, 0xffff0000, v39
	s_mov_b32 s15, exec_lo
                                        ; implicit-def: $vgpr39
	s_delay_alu instid0(VALU_DEP_2) | instskip(NEXT) | instid1(VALU_DEP_1)
	v_mov_b32_e32 v96, v37
	v_pk_mul_f32 v[36:37], v[96:97], v[36:37]
	s_delay_alu instid0(VALU_DEP_1) | instskip(NEXT) | instid1(VALU_DEP_1)
	v_and_b32_e32 v37, 0x7f800000, v36
	v_cmpx_ne_u32_e32 0x7f800000, v37
	s_xor_b32 s15, exec_lo, s15
; %bb.1100:                             ;   in Loop: Header=BB10_1071 Depth=3
	v_bfe_u32 v37, v36, 16, 1
	s_delay_alu instid0(VALU_DEP_1)
	v_add3_u32 v39, v36, v37, 0x7fff
                                        ; implicit-def: $vgpr36_vgpr37
; %bb.1101:                             ;   in Loop: Header=BB10_1071 Depth=3
	s_and_not1_saveexec_b32 s15, s15
; %bb.1102:                             ;   in Loop: Header=BB10_1071 Depth=3
	v_and_b32_e32 v37, 0xffff, v36
	v_or_b32_e32 v39, 0x10000, v36
	s_delay_alu instid0(VALU_DEP_2) | instskip(NEXT) | instid1(VALU_DEP_2)
	v_cmp_eq_u32_e32 vcc_lo, 0, v37
	v_cndmask_b32_e32 v39, v39, v36, vcc_lo
; %bb.1103:                             ;   in Loop: Header=BB10_1071 Depth=3
	s_or_b32 exec_lo, exec_lo, s15
	s_wait_loadcnt 0x5
	v_lshlrev_b32_e32 v36, 16, v24
	s_wait_loadcnt 0x2
	v_lshlrev_b32_e32 v37, 16, v32
	s_mov_b32 s15, exec_lo
                                        ; implicit-def: $vgpr51
	s_delay_alu instid0(VALU_DEP_1) | instskip(NEXT) | instid1(VALU_DEP_1)
	v_mul_f32_e32 v36, v37, v36
	v_and_b32_e32 v37, 0x7f800000, v36
	s_delay_alu instid0(VALU_DEP_1)
	v_cmpx_ne_u32_e32 0x7f800000, v37
	s_xor_b32 s15, exec_lo, s15
; %bb.1104:                             ;   in Loop: Header=BB10_1071 Depth=3
	v_bfe_u32 v37, v36, 16, 1
	s_delay_alu instid0(VALU_DEP_1)
	v_add3_u32 v51, v36, v37, 0x7fff
                                        ; implicit-def: $vgpr36
; %bb.1105:                             ;   in Loop: Header=BB10_1071 Depth=3
	s_and_not1_saveexec_b32 s15, s15
; %bb.1106:                             ;   in Loop: Header=BB10_1071 Depth=3
	v_and_b32_e32 v37, 0xffff, v36
	v_or_b32_e32 v51, 0x10000, v36
	s_delay_alu instid0(VALU_DEP_2) | instskip(NEXT) | instid1(VALU_DEP_2)
	v_cmp_eq_u32_e32 vcc_lo, 0, v37
	v_cndmask_b32_e32 v51, v51, v36, vcc_lo
; %bb.1107:                             ;   in Loop: Header=BB10_1071 Depth=3
	s_or_b32 exec_lo, exec_lo, s15
	v_and_b32_e32 v37, 0xffff0000, v32
	v_and_b32_e32 v36, 0xffff0000, v24
	s_mov_b32 s15, exec_lo
                                        ; implicit-def: $vgpr32
	s_delay_alu instid0(VALU_DEP_2) | instskip(NEXT) | instid1(VALU_DEP_1)
	v_mov_b32_e32 v24, v37
	v_pk_mul_f32 v[36:37], v[24:25], v[36:37]
	s_delay_alu instid0(VALU_DEP_1) | instskip(NEXT) | instid1(VALU_DEP_1)
	v_and_b32_e32 v24, 0x7f800000, v36
	v_cmpx_ne_u32_e32 0x7f800000, v24
	s_xor_b32 s15, exec_lo, s15
; %bb.1108:                             ;   in Loop: Header=BB10_1071 Depth=3
	v_bfe_u32 v24, v36, 16, 1
	s_delay_alu instid0(VALU_DEP_1)
	v_add3_u32 v32, v36, v24, 0x7fff
                                        ; implicit-def: $vgpr36_vgpr37
; %bb.1109:                             ;   in Loop: Header=BB10_1071 Depth=3
	s_and_not1_saveexec_b32 s15, s15
; %bb.1110:                             ;   in Loop: Header=BB10_1071 Depth=3
	v_and_b32_e32 v24, 0xffff, v36
	v_or_b32_e32 v32, 0x10000, v36
	s_delay_alu instid0(VALU_DEP_2) | instskip(NEXT) | instid1(VALU_DEP_2)
	v_cmp_eq_u32_e32 vcc_lo, 0, v24
	v_cndmask_b32_e32 v32, v32, v36, vcc_lo
; %bb.1111:                             ;   in Loop: Header=BB10_1071 Depth=3
	s_or_b32 exec_lo, exec_lo, s15
	v_lshlrev_b32_e32 v24, 16, v25
	v_lshlrev_b32_e32 v36, 16, v33
	s_delay_alu instid0(VALU_DEP_1) | instskip(NEXT) | instid1(VALU_DEP_1)
	v_mul_f32_e32 v24, v36, v24
	v_and_b32_e32 v36, 0x7f800000, v24
	s_delay_alu instid0(VALU_DEP_1) | instskip(SKIP_1) | instid1(SALU_CYCLE_1)
	v_cmp_ne_u32_e32 vcc_lo, 0x7f800000, v36
                                        ; implicit-def: $vgpr36
	s_and_saveexec_b32 s15, vcc_lo
	s_xor_b32 s15, exec_lo, s15
; %bb.1112:                             ;   in Loop: Header=BB10_1071 Depth=3
	v_bfe_u32 v36, v24, 16, 1
	s_delay_alu instid0(VALU_DEP_1)
	v_add3_u32 v36, v24, v36, 0x7fff
                                        ; implicit-def: $vgpr24
; %bb.1113:                             ;   in Loop: Header=BB10_1071 Depth=3
	s_and_not1_saveexec_b32 s15, s15
; %bb.1114:                             ;   in Loop: Header=BB10_1071 Depth=3
	v_and_b32_e32 v36, 0xffff, v24
	v_or_b32_e32 v37, 0x10000, v24
	s_delay_alu instid0(VALU_DEP_2) | instskip(NEXT) | instid1(VALU_DEP_2)
	v_cmp_eq_u32_e32 vcc_lo, 0, v36
	v_cndmask_b32_e32 v36, v37, v24, vcc_lo
; %bb.1115:                             ;   in Loop: Header=BB10_1071 Depth=3
	s_or_b32 exec_lo, exec_lo, s15
	v_and_b32_e32 v97, 0xffff0000, v33
	v_and_b32_e32 v96, 0xffff0000, v25
	s_mov_b32 s15, exec_lo
                                        ; implicit-def: $vgpr33
	s_delay_alu instid0(VALU_DEP_2) | instskip(NEXT) | instid1(VALU_DEP_1)
	v_mov_b32_e32 v24, v97
	v_pk_mul_f32 v[24:25], v[24:25], v[96:97]
	s_delay_alu instid0(VALU_DEP_1) | instskip(NEXT) | instid1(VALU_DEP_1)
	v_and_b32_e32 v25, 0x7f800000, v24
	v_cmpx_ne_u32_e32 0x7f800000, v25
	s_xor_b32 s15, exec_lo, s15
; %bb.1116:                             ;   in Loop: Header=BB10_1071 Depth=3
	v_bfe_u32 v25, v24, 16, 1
	s_delay_alu instid0(VALU_DEP_1)
	v_add3_u32 v33, v24, v25, 0x7fff
                                        ; implicit-def: $vgpr24_vgpr25
; %bb.1117:                             ;   in Loop: Header=BB10_1071 Depth=3
	s_and_not1_saveexec_b32 s15, s15
; %bb.1118:                             ;   in Loop: Header=BB10_1071 Depth=3
	v_and_b32_e32 v25, 0xffff, v24
	v_or_b32_e32 v33, 0x10000, v24
	s_delay_alu instid0(VALU_DEP_2) | instskip(NEXT) | instid1(VALU_DEP_2)
	v_cmp_eq_u32_e32 vcc_lo, 0, v25
	v_cndmask_b32_e32 v33, v33, v24, vcc_lo
; %bb.1119:                             ;   in Loop: Header=BB10_1071 Depth=3
	s_or_b32 exec_lo, exec_lo, s15
	v_lshlrev_b32_e32 v24, 16, v26
	v_lshlrev_b32_e32 v25, 16, v34
	s_mov_b32 s15, exec_lo
                                        ; implicit-def: $vgpr37
	s_delay_alu instid0(VALU_DEP_1) | instskip(NEXT) | instid1(VALU_DEP_1)
	v_mul_f32_e32 v24, v25, v24
	v_and_b32_e32 v25, 0x7f800000, v24
	s_delay_alu instid0(VALU_DEP_1)
	v_cmpx_ne_u32_e32 0x7f800000, v25
	s_xor_b32 s15, exec_lo, s15
; %bb.1120:                             ;   in Loop: Header=BB10_1071 Depth=3
	v_bfe_u32 v25, v24, 16, 1
	s_delay_alu instid0(VALU_DEP_1)
	v_add3_u32 v37, v24, v25, 0x7fff
                                        ; implicit-def: $vgpr24
; %bb.1121:                             ;   in Loop: Header=BB10_1071 Depth=3
	s_and_not1_saveexec_b32 s15, s15
; %bb.1122:                             ;   in Loop: Header=BB10_1071 Depth=3
	v_and_b32_e32 v25, 0xffff, v24
	v_or_b32_e32 v37, 0x10000, v24
	s_delay_alu instid0(VALU_DEP_2) | instskip(NEXT) | instid1(VALU_DEP_2)
	v_cmp_eq_u32_e32 vcc_lo, 0, v25
	v_cndmask_b32_e32 v37, v37, v24, vcc_lo
; %bb.1123:                             ;   in Loop: Header=BB10_1071 Depth=3
	s_or_b32 exec_lo, exec_lo, s15
	v_and_b32_e32 v25, 0xffff0000, v34
	v_and_b32_e32 v24, 0xffff0000, v26
	s_mov_b32 s15, exec_lo
	s_delay_alu instid0(VALU_DEP_2) | instskip(NEXT) | instid1(VALU_DEP_1)
	v_mov_b32_e32 v26, v25
	v_pk_mul_f32 v[24:25], v[26:27], v[24:25]
                                        ; implicit-def: $vgpr26
	s_delay_alu instid0(VALU_DEP_1) | instskip(NEXT) | instid1(VALU_DEP_1)
	v_and_b32_e32 v25, 0x7f800000, v24
	v_cmpx_ne_u32_e32 0x7f800000, v25
	s_xor_b32 s15, exec_lo, s15
; %bb.1124:                             ;   in Loop: Header=BB10_1071 Depth=3
	v_bfe_u32 v25, v24, 16, 1
	s_delay_alu instid0(VALU_DEP_1)
	v_add3_u32 v26, v24, v25, 0x7fff
                                        ; implicit-def: $vgpr24_vgpr25
; %bb.1125:                             ;   in Loop: Header=BB10_1071 Depth=3
	s_and_not1_saveexec_b32 s15, s15
; %bb.1126:                             ;   in Loop: Header=BB10_1071 Depth=3
	v_and_b32_e32 v25, 0xffff, v24
	v_or_b32_e32 v26, 0x10000, v24
	s_delay_alu instid0(VALU_DEP_2) | instskip(NEXT) | instid1(VALU_DEP_2)
	v_cmp_eq_u32_e32 vcc_lo, 0, v25
	v_cndmask_b32_e32 v26, v26, v24, vcc_lo
; %bb.1127:                             ;   in Loop: Header=BB10_1071 Depth=3
	s_or_b32 exec_lo, exec_lo, s15
	v_lshlrev_b32_e32 v24, 16, v27
	v_lshlrev_b32_e32 v25, 16, v35
	s_mov_b32 s15, exec_lo
                                        ; implicit-def: $vgpr34
	s_delay_alu instid0(VALU_DEP_1) | instskip(NEXT) | instid1(VALU_DEP_1)
	v_mul_f32_e32 v24, v25, v24
	v_and_b32_e32 v25, 0x7f800000, v24
	s_delay_alu instid0(VALU_DEP_1)
	v_cmpx_ne_u32_e32 0x7f800000, v25
	s_xor_b32 s15, exec_lo, s15
; %bb.1128:                             ;   in Loop: Header=BB10_1071 Depth=3
	v_bfe_u32 v25, v24, 16, 1
	s_delay_alu instid0(VALU_DEP_1)
	v_add3_u32 v34, v24, v25, 0x7fff
                                        ; implicit-def: $vgpr24
; %bb.1129:                             ;   in Loop: Header=BB10_1071 Depth=3
	s_and_not1_saveexec_b32 s15, s15
; %bb.1130:                             ;   in Loop: Header=BB10_1071 Depth=3
	v_and_b32_e32 v25, 0xffff, v24
	v_or_b32_e32 v34, 0x10000, v24
	s_delay_alu instid0(VALU_DEP_2) | instskip(NEXT) | instid1(VALU_DEP_2)
	v_cmp_eq_u32_e32 vcc_lo, 0, v25
	v_cndmask_b32_e32 v34, v34, v24, vcc_lo
; %bb.1131:                             ;   in Loop: Header=BB10_1071 Depth=3
	s_or_b32 exec_lo, exec_lo, s15
	v_and_b32_e32 v25, 0xffff0000, v35
	v_and_b32_e32 v24, 0xffff0000, v27
	s_mov_b32 s15, exec_lo
                                        ; implicit-def: $vgpr27
	s_delay_alu instid0(VALU_DEP_2) | instskip(NEXT) | instid1(VALU_DEP_1)
	v_mov_b32_e32 v96, v25
	v_pk_mul_f32 v[24:25], v[96:97], v[24:25]
	s_delay_alu instid0(VALU_DEP_1) | instskip(NEXT) | instid1(VALU_DEP_1)
	v_and_b32_e32 v25, 0x7f800000, v24
	v_cmpx_ne_u32_e32 0x7f800000, v25
	s_xor_b32 s15, exec_lo, s15
; %bb.1132:                             ;   in Loop: Header=BB10_1071 Depth=3
	v_bfe_u32 v25, v24, 16, 1
	s_delay_alu instid0(VALU_DEP_1)
	v_add3_u32 v27, v24, v25, 0x7fff
                                        ; implicit-def: $vgpr24_vgpr25
; %bb.1133:                             ;   in Loop: Header=BB10_1071 Depth=3
	s_and_not1_saveexec_b32 s15, s15
; %bb.1134:                             ;   in Loop: Header=BB10_1071 Depth=3
	v_and_b32_e32 v25, 0xffff, v24
	v_or_b32_e32 v27, 0x10000, v24
	s_delay_alu instid0(VALU_DEP_2) | instskip(NEXT) | instid1(VALU_DEP_2)
	v_cmp_eq_u32_e32 vcc_lo, 0, v25
	v_cndmask_b32_e32 v27, v27, v24, vcc_lo
; %bb.1135:                             ;   in Loop: Header=BB10_1071 Depth=3
	s_or_b32 exec_lo, exec_lo, s15
	v_lshlrev_b32_e32 v24, 16, v16
	s_wait_loadcnt 0x1
	v_lshlrev_b32_e32 v25, 16, v20
	s_mov_b32 s15, exec_lo
                                        ; implicit-def: $vgpr35
	s_delay_alu instid0(VALU_DEP_1) | instskip(NEXT) | instid1(VALU_DEP_1)
	v_mul_f32_e32 v24, v25, v24
	v_and_b32_e32 v25, 0x7f800000, v24
	s_delay_alu instid0(VALU_DEP_1)
	v_cmpx_ne_u32_e32 0x7f800000, v25
	s_xor_b32 s15, exec_lo, s15
; %bb.1136:                             ;   in Loop: Header=BB10_1071 Depth=3
	v_bfe_u32 v25, v24, 16, 1
	s_delay_alu instid0(VALU_DEP_1)
	v_add3_u32 v35, v24, v25, 0x7fff
                                        ; implicit-def: $vgpr24
; %bb.1137:                             ;   in Loop: Header=BB10_1071 Depth=3
	s_and_not1_saveexec_b32 s15, s15
; %bb.1138:                             ;   in Loop: Header=BB10_1071 Depth=3
	v_and_b32_e32 v25, 0xffff, v24
	v_or_b32_e32 v35, 0x10000, v24
	s_delay_alu instid0(VALU_DEP_2) | instskip(NEXT) | instid1(VALU_DEP_2)
	v_cmp_eq_u32_e32 vcc_lo, 0, v25
	v_cndmask_b32_e32 v35, v35, v24, vcc_lo
; %bb.1139:                             ;   in Loop: Header=BB10_1071 Depth=3
	s_or_b32 exec_lo, exec_lo, s15
	v_and_b32_e32 v25, 0xffff0000, v20
	v_and_b32_e32 v24, 0xffff0000, v16
	s_mov_b32 s15, exec_lo
                                        ; implicit-def: $vgpr20
	s_delay_alu instid0(VALU_DEP_2) | instskip(NEXT) | instid1(VALU_DEP_1)
	v_mov_b32_e32 v16, v25
	v_pk_mul_f32 v[24:25], v[16:17], v[24:25]
	s_delay_alu instid0(VALU_DEP_1) | instskip(NEXT) | instid1(VALU_DEP_1)
	v_and_b32_e32 v16, 0x7f800000, v24
	v_cmpx_ne_u32_e32 0x7f800000, v16
	s_xor_b32 s15, exec_lo, s15
; %bb.1140:                             ;   in Loop: Header=BB10_1071 Depth=3
	v_bfe_u32 v16, v24, 16, 1
	s_delay_alu instid0(VALU_DEP_1)
	v_add3_u32 v20, v24, v16, 0x7fff
                                        ; implicit-def: $vgpr24_vgpr25
; %bb.1141:                             ;   in Loop: Header=BB10_1071 Depth=3
	s_and_not1_saveexec_b32 s15, s15
; %bb.1142:                             ;   in Loop: Header=BB10_1071 Depth=3
	v_and_b32_e32 v16, 0xffff, v24
	v_or_b32_e32 v20, 0x10000, v24
	s_delay_alu instid0(VALU_DEP_2) | instskip(NEXT) | instid1(VALU_DEP_2)
	v_cmp_eq_u32_e32 vcc_lo, 0, v16
	v_cndmask_b32_e32 v20, v20, v24, vcc_lo
; %bb.1143:                             ;   in Loop: Header=BB10_1071 Depth=3
	s_or_b32 exec_lo, exec_lo, s15
	v_lshlrev_b32_e32 v16, 16, v17
	v_lshlrev_b32_e32 v24, 16, v21
	s_delay_alu instid0(VALU_DEP_1) | instskip(NEXT) | instid1(VALU_DEP_1)
	v_mul_f32_e32 v16, v24, v16
	v_and_b32_e32 v24, 0x7f800000, v16
	s_delay_alu instid0(VALU_DEP_1) | instskip(SKIP_1) | instid1(SALU_CYCLE_1)
	v_cmp_ne_u32_e32 vcc_lo, 0x7f800000, v24
                                        ; implicit-def: $vgpr24
	s_and_saveexec_b32 s15, vcc_lo
	s_xor_b32 s15, exec_lo, s15
; %bb.1144:                             ;   in Loop: Header=BB10_1071 Depth=3
	v_bfe_u32 v24, v16, 16, 1
	s_delay_alu instid0(VALU_DEP_1)
	v_add3_u32 v24, v16, v24, 0x7fff
                                        ; implicit-def: $vgpr16
; %bb.1145:                             ;   in Loop: Header=BB10_1071 Depth=3
	s_and_not1_saveexec_b32 s15, s15
; %bb.1146:                             ;   in Loop: Header=BB10_1071 Depth=3
	v_and_b32_e32 v24, 0xffff, v16
	v_or_b32_e32 v25, 0x10000, v16
	s_delay_alu instid0(VALU_DEP_2) | instskip(NEXT) | instid1(VALU_DEP_2)
	v_cmp_eq_u32_e32 vcc_lo, 0, v24
	v_cndmask_b32_e32 v24, v25, v16, vcc_lo
; %bb.1147:                             ;   in Loop: Header=BB10_1071 Depth=3
	s_or_b32 exec_lo, exec_lo, s15
	v_and_b32_e32 v97, 0xffff0000, v21
	v_and_b32_e32 v96, 0xffff0000, v17
	s_mov_b32 s15, exec_lo
                                        ; implicit-def: $vgpr21
	s_delay_alu instid0(VALU_DEP_2) | instskip(NEXT) | instid1(VALU_DEP_1)
	v_mov_b32_e32 v16, v97
	v_pk_mul_f32 v[16:17], v[16:17], v[96:97]
	s_delay_alu instid0(VALU_DEP_1) | instskip(NEXT) | instid1(VALU_DEP_1)
	v_and_b32_e32 v17, 0x7f800000, v16
	v_cmpx_ne_u32_e32 0x7f800000, v17
	s_xor_b32 s15, exec_lo, s15
; %bb.1148:                             ;   in Loop: Header=BB10_1071 Depth=3
	v_bfe_u32 v17, v16, 16, 1
	s_delay_alu instid0(VALU_DEP_1)
	v_add3_u32 v21, v16, v17, 0x7fff
                                        ; implicit-def: $vgpr16_vgpr17
; %bb.1149:                             ;   in Loop: Header=BB10_1071 Depth=3
	s_and_not1_saveexec_b32 s15, s15
; %bb.1150:                             ;   in Loop: Header=BB10_1071 Depth=3
	v_and_b32_e32 v17, 0xffff, v16
	v_or_b32_e32 v21, 0x10000, v16
	s_delay_alu instid0(VALU_DEP_2) | instskip(NEXT) | instid1(VALU_DEP_2)
	v_cmp_eq_u32_e32 vcc_lo, 0, v17
	v_cndmask_b32_e32 v21, v21, v16, vcc_lo
; %bb.1151:                             ;   in Loop: Header=BB10_1071 Depth=3
	s_or_b32 exec_lo, exec_lo, s15
	v_lshlrev_b32_e32 v16, 16, v18
	v_lshlrev_b32_e32 v17, 16, v22
	s_mov_b32 s15, exec_lo
                                        ; implicit-def: $vgpr25
	s_delay_alu instid0(VALU_DEP_1) | instskip(NEXT) | instid1(VALU_DEP_1)
	v_mul_f32_e32 v16, v17, v16
	v_and_b32_e32 v17, 0x7f800000, v16
	s_delay_alu instid0(VALU_DEP_1)
	v_cmpx_ne_u32_e32 0x7f800000, v17
	s_xor_b32 s15, exec_lo, s15
; %bb.1152:                             ;   in Loop: Header=BB10_1071 Depth=3
	v_bfe_u32 v17, v16, 16, 1
	s_delay_alu instid0(VALU_DEP_1)
	v_add3_u32 v25, v16, v17, 0x7fff
                                        ; implicit-def: $vgpr16
; %bb.1153:                             ;   in Loop: Header=BB10_1071 Depth=3
	s_and_not1_saveexec_b32 s15, s15
; %bb.1154:                             ;   in Loop: Header=BB10_1071 Depth=3
	v_and_b32_e32 v17, 0xffff, v16
	v_or_b32_e32 v25, 0x10000, v16
	s_delay_alu instid0(VALU_DEP_2) | instskip(NEXT) | instid1(VALU_DEP_2)
	v_cmp_eq_u32_e32 vcc_lo, 0, v17
	v_cndmask_b32_e32 v25, v25, v16, vcc_lo
; %bb.1155:                             ;   in Loop: Header=BB10_1071 Depth=3
	s_or_b32 exec_lo, exec_lo, s15
	v_and_b32_e32 v17, 0xffff0000, v22
	v_and_b32_e32 v16, 0xffff0000, v18
	s_mov_b32 s15, exec_lo
	s_delay_alu instid0(VALU_DEP_2) | instskip(NEXT) | instid1(VALU_DEP_1)
	v_mov_b32_e32 v18, v17
	v_pk_mul_f32 v[16:17], v[18:19], v[16:17]
                                        ; implicit-def: $vgpr18
	s_delay_alu instid0(VALU_DEP_1) | instskip(NEXT) | instid1(VALU_DEP_1)
	v_and_b32_e32 v17, 0x7f800000, v16
	v_cmpx_ne_u32_e32 0x7f800000, v17
	s_xor_b32 s15, exec_lo, s15
; %bb.1156:                             ;   in Loop: Header=BB10_1071 Depth=3
	v_bfe_u32 v17, v16, 16, 1
	s_delay_alu instid0(VALU_DEP_1)
	v_add3_u32 v18, v16, v17, 0x7fff
                                        ; implicit-def: $vgpr16_vgpr17
; %bb.1157:                             ;   in Loop: Header=BB10_1071 Depth=3
	s_and_not1_saveexec_b32 s15, s15
; %bb.1158:                             ;   in Loop: Header=BB10_1071 Depth=3
	v_and_b32_e32 v17, 0xffff, v16
	v_or_b32_e32 v18, 0x10000, v16
	s_delay_alu instid0(VALU_DEP_2) | instskip(NEXT) | instid1(VALU_DEP_2)
	v_cmp_eq_u32_e32 vcc_lo, 0, v17
	v_cndmask_b32_e32 v18, v18, v16, vcc_lo
; %bb.1159:                             ;   in Loop: Header=BB10_1071 Depth=3
	s_or_b32 exec_lo, exec_lo, s15
	v_lshlrev_b32_e32 v16, 16, v19
	v_lshlrev_b32_e32 v17, 16, v23
	s_mov_b32 s15, exec_lo
                                        ; implicit-def: $vgpr22
	s_delay_alu instid0(VALU_DEP_1) | instskip(NEXT) | instid1(VALU_DEP_1)
	v_mul_f32_e32 v16, v17, v16
	v_and_b32_e32 v17, 0x7f800000, v16
	s_delay_alu instid0(VALU_DEP_1)
	v_cmpx_ne_u32_e32 0x7f800000, v17
	s_xor_b32 s15, exec_lo, s15
; %bb.1160:                             ;   in Loop: Header=BB10_1071 Depth=3
	v_bfe_u32 v17, v16, 16, 1
	s_delay_alu instid0(VALU_DEP_1)
	v_add3_u32 v22, v16, v17, 0x7fff
                                        ; implicit-def: $vgpr16
; %bb.1161:                             ;   in Loop: Header=BB10_1071 Depth=3
	s_and_not1_saveexec_b32 s15, s15
; %bb.1162:                             ;   in Loop: Header=BB10_1071 Depth=3
	v_and_b32_e32 v17, 0xffff, v16
	v_or_b32_e32 v22, 0x10000, v16
	s_delay_alu instid0(VALU_DEP_2) | instskip(NEXT) | instid1(VALU_DEP_2)
	v_cmp_eq_u32_e32 vcc_lo, 0, v17
	v_cndmask_b32_e32 v22, v22, v16, vcc_lo
; %bb.1163:                             ;   in Loop: Header=BB10_1071 Depth=3
	s_or_b32 exec_lo, exec_lo, s15
	v_and_b32_e32 v17, 0xffff0000, v23
	v_and_b32_e32 v16, 0xffff0000, v19
	s_mov_b32 s15, exec_lo
                                        ; implicit-def: $vgpr19
	s_delay_alu instid0(VALU_DEP_2) | instskip(NEXT) | instid1(VALU_DEP_1)
	v_mov_b32_e32 v96, v17
	v_pk_mul_f32 v[16:17], v[96:97], v[16:17]
	s_delay_alu instid0(VALU_DEP_1) | instskip(NEXT) | instid1(VALU_DEP_1)
	v_and_b32_e32 v17, 0x7f800000, v16
	v_cmpx_ne_u32_e32 0x7f800000, v17
	s_xor_b32 s15, exec_lo, s15
; %bb.1164:                             ;   in Loop: Header=BB10_1071 Depth=3
	v_bfe_u32 v17, v16, 16, 1
	s_delay_alu instid0(VALU_DEP_1)
	v_add3_u32 v19, v16, v17, 0x7fff
                                        ; implicit-def: $vgpr16_vgpr17
; %bb.1165:                             ;   in Loop: Header=BB10_1071 Depth=3
	s_and_not1_saveexec_b32 s15, s15
; %bb.1166:                             ;   in Loop: Header=BB10_1071 Depth=3
	v_and_b32_e32 v17, 0xffff, v16
	v_or_b32_e32 v19, 0x10000, v16
	s_delay_alu instid0(VALU_DEP_2) | instskip(NEXT) | instid1(VALU_DEP_2)
	v_cmp_eq_u32_e32 vcc_lo, 0, v17
	v_cndmask_b32_e32 v19, v19, v16, vcc_lo
; %bb.1167:                             ;   in Loop: Header=BB10_1071 Depth=3
	s_or_b32 exec_lo, exec_lo, s15
	v_lshlrev_b32_e32 v16, 16, v8
	s_wait_loadcnt 0x0
	v_lshlrev_b32_e32 v17, 16, v12
	s_mov_b32 s15, exec_lo
                                        ; implicit-def: $vgpr23
	s_delay_alu instid0(VALU_DEP_1) | instskip(NEXT) | instid1(VALU_DEP_1)
	v_mul_f32_e32 v16, v17, v16
	v_and_b32_e32 v17, 0x7f800000, v16
	s_delay_alu instid0(VALU_DEP_1)
	v_cmpx_ne_u32_e32 0x7f800000, v17
	s_xor_b32 s15, exec_lo, s15
; %bb.1168:                             ;   in Loop: Header=BB10_1071 Depth=3
	v_bfe_u32 v17, v16, 16, 1
	s_delay_alu instid0(VALU_DEP_1)
	v_add3_u32 v23, v16, v17, 0x7fff
                                        ; implicit-def: $vgpr16
; %bb.1169:                             ;   in Loop: Header=BB10_1071 Depth=3
	s_and_not1_saveexec_b32 s15, s15
; %bb.1170:                             ;   in Loop: Header=BB10_1071 Depth=3
	v_and_b32_e32 v17, 0xffff, v16
	v_or_b32_e32 v23, 0x10000, v16
	s_delay_alu instid0(VALU_DEP_2) | instskip(NEXT) | instid1(VALU_DEP_2)
	v_cmp_eq_u32_e32 vcc_lo, 0, v17
	v_cndmask_b32_e32 v23, v23, v16, vcc_lo
; %bb.1171:                             ;   in Loop: Header=BB10_1071 Depth=3
	s_or_b32 exec_lo, exec_lo, s15
	v_and_b32_e32 v17, 0xffff0000, v12
	v_and_b32_e32 v16, 0xffff0000, v8
	s_mov_b32 s15, exec_lo
                                        ; implicit-def: $vgpr12
	s_delay_alu instid0(VALU_DEP_2) | instskip(NEXT) | instid1(VALU_DEP_1)
	v_mov_b32_e32 v8, v17
	v_pk_mul_f32 v[16:17], v[8:9], v[16:17]
	s_delay_alu instid0(VALU_DEP_1) | instskip(NEXT) | instid1(VALU_DEP_1)
	v_and_b32_e32 v8, 0x7f800000, v16
	v_cmpx_ne_u32_e32 0x7f800000, v8
	s_xor_b32 s15, exec_lo, s15
; %bb.1172:                             ;   in Loop: Header=BB10_1071 Depth=3
	v_bfe_u32 v8, v16, 16, 1
	s_delay_alu instid0(VALU_DEP_1)
	v_add3_u32 v12, v16, v8, 0x7fff
                                        ; implicit-def: $vgpr16_vgpr17
; %bb.1173:                             ;   in Loop: Header=BB10_1071 Depth=3
	s_and_not1_saveexec_b32 s15, s15
; %bb.1174:                             ;   in Loop: Header=BB10_1071 Depth=3
	v_and_b32_e32 v8, 0xffff, v16
	v_or_b32_e32 v12, 0x10000, v16
	s_delay_alu instid0(VALU_DEP_2) | instskip(NEXT) | instid1(VALU_DEP_2)
	v_cmp_eq_u32_e32 vcc_lo, 0, v8
	v_cndmask_b32_e32 v12, v12, v16, vcc_lo
; %bb.1175:                             ;   in Loop: Header=BB10_1071 Depth=3
	s_or_b32 exec_lo, exec_lo, s15
	v_lshlrev_b32_e32 v8, 16, v9
	v_lshlrev_b32_e32 v16, 16, v13
	s_delay_alu instid0(VALU_DEP_1) | instskip(NEXT) | instid1(VALU_DEP_1)
	v_mul_f32_e32 v8, v16, v8
	v_and_b32_e32 v16, 0x7f800000, v8
	s_delay_alu instid0(VALU_DEP_1) | instskip(SKIP_1) | instid1(SALU_CYCLE_1)
	v_cmp_ne_u32_e32 vcc_lo, 0x7f800000, v16
                                        ; implicit-def: $vgpr16
	s_and_saveexec_b32 s15, vcc_lo
	s_xor_b32 s15, exec_lo, s15
; %bb.1176:                             ;   in Loop: Header=BB10_1071 Depth=3
	v_bfe_u32 v16, v8, 16, 1
	s_delay_alu instid0(VALU_DEP_1)
	v_add3_u32 v16, v8, v16, 0x7fff
                                        ; implicit-def: $vgpr8
; %bb.1177:                             ;   in Loop: Header=BB10_1071 Depth=3
	s_and_not1_saveexec_b32 s15, s15
; %bb.1178:                             ;   in Loop: Header=BB10_1071 Depth=3
	v_and_b32_e32 v16, 0xffff, v8
	v_or_b32_e32 v17, 0x10000, v8
	s_delay_alu instid0(VALU_DEP_2) | instskip(NEXT) | instid1(VALU_DEP_2)
	v_cmp_eq_u32_e32 vcc_lo, 0, v16
	v_cndmask_b32_e32 v16, v17, v8, vcc_lo
; %bb.1179:                             ;   in Loop: Header=BB10_1071 Depth=3
	s_or_b32 exec_lo, exec_lo, s15
	v_and_b32_e32 v97, 0xffff0000, v13
	v_and_b32_e32 v96, 0xffff0000, v9
	s_mov_b32 s15, exec_lo
                                        ; implicit-def: $vgpr13
	s_delay_alu instid0(VALU_DEP_2) | instskip(NEXT) | instid1(VALU_DEP_1)
	v_mov_b32_e32 v8, v97
	v_pk_mul_f32 v[8:9], v[8:9], v[96:97]
	s_delay_alu instid0(VALU_DEP_1) | instskip(NEXT) | instid1(VALU_DEP_1)
	v_and_b32_e32 v9, 0x7f800000, v8
	v_cmpx_ne_u32_e32 0x7f800000, v9
	s_xor_b32 s15, exec_lo, s15
; %bb.1180:                             ;   in Loop: Header=BB10_1071 Depth=3
	v_bfe_u32 v9, v8, 16, 1
	s_delay_alu instid0(VALU_DEP_1)
	v_add3_u32 v13, v8, v9, 0x7fff
                                        ; implicit-def: $vgpr8_vgpr9
; %bb.1181:                             ;   in Loop: Header=BB10_1071 Depth=3
	s_and_not1_saveexec_b32 s15, s15
; %bb.1182:                             ;   in Loop: Header=BB10_1071 Depth=3
	v_and_b32_e32 v9, 0xffff, v8
	v_or_b32_e32 v13, 0x10000, v8
	s_delay_alu instid0(VALU_DEP_2) | instskip(NEXT) | instid1(VALU_DEP_2)
	v_cmp_eq_u32_e32 vcc_lo, 0, v9
	v_cndmask_b32_e32 v13, v13, v8, vcc_lo
; %bb.1183:                             ;   in Loop: Header=BB10_1071 Depth=3
	s_or_b32 exec_lo, exec_lo, s15
	v_lshlrev_b32_e32 v8, 16, v10
	v_lshlrev_b32_e32 v9, 16, v14
	s_mov_b32 s15, exec_lo
                                        ; implicit-def: $vgpr17
	s_delay_alu instid0(VALU_DEP_1) | instskip(NEXT) | instid1(VALU_DEP_1)
	v_mul_f32_e32 v8, v9, v8
	v_and_b32_e32 v9, 0x7f800000, v8
	s_delay_alu instid0(VALU_DEP_1)
	v_cmpx_ne_u32_e32 0x7f800000, v9
	s_xor_b32 s15, exec_lo, s15
; %bb.1184:                             ;   in Loop: Header=BB10_1071 Depth=3
	v_bfe_u32 v9, v8, 16, 1
	s_delay_alu instid0(VALU_DEP_1)
	v_add3_u32 v17, v8, v9, 0x7fff
                                        ; implicit-def: $vgpr8
; %bb.1185:                             ;   in Loop: Header=BB10_1071 Depth=3
	s_and_not1_saveexec_b32 s15, s15
; %bb.1186:                             ;   in Loop: Header=BB10_1071 Depth=3
	v_and_b32_e32 v9, 0xffff, v8
	v_or_b32_e32 v17, 0x10000, v8
	s_delay_alu instid0(VALU_DEP_2) | instskip(NEXT) | instid1(VALU_DEP_2)
	v_cmp_eq_u32_e32 vcc_lo, 0, v9
	v_cndmask_b32_e32 v17, v17, v8, vcc_lo
; %bb.1187:                             ;   in Loop: Header=BB10_1071 Depth=3
	s_or_b32 exec_lo, exec_lo, s15
	v_and_b32_e32 v9, 0xffff0000, v14
	v_and_b32_e32 v8, 0xffff0000, v10
	s_mov_b32 s15, exec_lo
	s_delay_alu instid0(VALU_DEP_2) | instskip(NEXT) | instid1(VALU_DEP_1)
	v_mov_b32_e32 v10, v9
	v_pk_mul_f32 v[8:9], v[10:11], v[8:9]
                                        ; implicit-def: $vgpr10
	s_delay_alu instid0(VALU_DEP_1) | instskip(NEXT) | instid1(VALU_DEP_1)
	v_and_b32_e32 v9, 0x7f800000, v8
	v_cmpx_ne_u32_e32 0x7f800000, v9
	s_xor_b32 s15, exec_lo, s15
; %bb.1188:                             ;   in Loop: Header=BB10_1071 Depth=3
	v_bfe_u32 v9, v8, 16, 1
	s_delay_alu instid0(VALU_DEP_1)
	v_add3_u32 v10, v8, v9, 0x7fff
                                        ; implicit-def: $vgpr8_vgpr9
; %bb.1189:                             ;   in Loop: Header=BB10_1071 Depth=3
	s_and_not1_saveexec_b32 s15, s15
; %bb.1190:                             ;   in Loop: Header=BB10_1071 Depth=3
	v_and_b32_e32 v9, 0xffff, v8
	v_or_b32_e32 v10, 0x10000, v8
	s_delay_alu instid0(VALU_DEP_2) | instskip(NEXT) | instid1(VALU_DEP_2)
	v_cmp_eq_u32_e32 vcc_lo, 0, v9
	v_cndmask_b32_e32 v10, v10, v8, vcc_lo
; %bb.1191:                             ;   in Loop: Header=BB10_1071 Depth=3
	s_or_b32 exec_lo, exec_lo, s15
	v_lshlrev_b32_e32 v8, 16, v11
	v_lshlrev_b32_e32 v9, 16, v15
	s_mov_b32 s15, exec_lo
                                        ; implicit-def: $vgpr14
	s_delay_alu instid0(VALU_DEP_1) | instskip(NEXT) | instid1(VALU_DEP_1)
	v_mul_f32_e32 v8, v9, v8
	v_and_b32_e32 v9, 0x7f800000, v8
	s_delay_alu instid0(VALU_DEP_1)
	v_cmpx_ne_u32_e32 0x7f800000, v9
	s_xor_b32 s15, exec_lo, s15
; %bb.1192:                             ;   in Loop: Header=BB10_1071 Depth=3
	v_bfe_u32 v9, v8, 16, 1
	s_delay_alu instid0(VALU_DEP_1)
	v_add3_u32 v14, v8, v9, 0x7fff
                                        ; implicit-def: $vgpr8
; %bb.1193:                             ;   in Loop: Header=BB10_1071 Depth=3
	s_and_not1_saveexec_b32 s15, s15
; %bb.1194:                             ;   in Loop: Header=BB10_1071 Depth=3
	v_and_b32_e32 v9, 0xffff, v8
	v_or_b32_e32 v14, 0x10000, v8
	s_delay_alu instid0(VALU_DEP_2) | instskip(NEXT) | instid1(VALU_DEP_2)
	v_cmp_eq_u32_e32 vcc_lo, 0, v9
	v_cndmask_b32_e32 v14, v14, v8, vcc_lo
; %bb.1195:                             ;   in Loop: Header=BB10_1071 Depth=3
	s_or_b32 exec_lo, exec_lo, s15
	v_and_b32_e32 v9, 0xffff0000, v15
	v_and_b32_e32 v8, 0xffff0000, v11
	s_mov_b32 s15, exec_lo
                                        ; implicit-def: $vgpr11
	s_delay_alu instid0(VALU_DEP_2) | instskip(NEXT) | instid1(VALU_DEP_1)
	v_mov_b32_e32 v96, v9
	v_pk_mul_f32 v[8:9], v[96:97], v[8:9]
	s_delay_alu instid0(VALU_DEP_1) | instskip(NEXT) | instid1(VALU_DEP_1)
	v_and_b32_e32 v9, 0x7f800000, v8
	v_cmpx_ne_u32_e32 0x7f800000, v9
	s_xor_b32 s15, exec_lo, s15
; %bb.1196:                             ;   in Loop: Header=BB10_1071 Depth=3
	v_bfe_u32 v9, v8, 16, 1
	s_delay_alu instid0(VALU_DEP_1)
	v_add3_u32 v11, v8, v9, 0x7fff
                                        ; implicit-def: $vgpr8_vgpr9
; %bb.1197:                             ;   in Loop: Header=BB10_1071 Depth=3
	s_and_not1_saveexec_b32 s15, s15
	s_cbranch_execz .LBB10_1070
; %bb.1198:                             ;   in Loop: Header=BB10_1071 Depth=3
	v_and_b32_e32 v9, 0xffff, v8
	v_or_b32_e32 v11, 0x10000, v8
	s_delay_alu instid0(VALU_DEP_2) | instskip(NEXT) | instid1(VALU_DEP_2)
	v_cmp_eq_u32_e32 vcc_lo, 0, v9
	v_cndmask_b32_e32 v11, v11, v8, vcc_lo
	s_branch .LBB10_1070
.LBB10_1199:                            ;   in Loop: Header=BB10_727 Depth=2
	s_or_b32 exec_lo, exec_lo, s14
.LBB10_1200:                            ;   in Loop: Header=BB10_727 Depth=2
	s_delay_alu instid0(SALU_CYCLE_1) | instskip(SKIP_3) | instid1(VALU_DEP_1)
	s_or_b32 exec_lo, exec_lo, s13
	v_dual_lshlrev_b32 v22, 11, v52 :: v_dual_mov_b32 v14, 0
	s_mov_b32 s15, 0
	s_mov_b32 s14, exec_lo
                                        ; implicit-def: $vgpr15
                                        ; implicit-def: $vgpr8
	v_cmpx_ne_u32_e64 v75, v22
	s_cbranch_execz .LBB10_1240
; %bb.1201:                             ;   in Loop: Header=BB10_727 Depth=2
	v_dual_lshlrev_b32 v8, 5, v77 :: v_dual_sub_nc_u32 v10, v75, v22
	s_mov_b32 s15, exec_lo
	s_delay_alu instid0(VALU_DEP_1) | instskip(NEXT) | instid1(VALU_DEP_1)
	v_dual_sub_nc_u32 v8, v125, v8 :: v_dual_ashrrev_i32 v11, 31, v10
	v_dual_ashrrev_i32 v9, 31, v8 :: v_dual_lshrrev_b32 v11, 23, v11
	s_delay_alu instid0(VALU_DEP_1) | instskip(NEXT) | instid1(VALU_DEP_1)
	v_lshrrev_b32_e32 v9, 27, v9
	v_add_nc_u32_e32 v9, v8, v9
	s_delay_alu instid0(VALU_DEP_1) | instskip(NEXT) | instid1(VALU_DEP_1)
	v_and_b32_e32 v12, 0xffffffe0, v9
	v_dual_add_nc_u32 v11, v10, v11 :: v_dual_sub_nc_u32 v24, v8, v12
	s_delay_alu instid0(VALU_DEP_1) | instskip(SKIP_1) | instid1(VALU_DEP_3)
	v_and_b32_e32 v23, 0xfffffe00, v11
	v_dual_ashrrev_i32 v9, 5, v9 :: v_dual_ashrrev_i32 v11, 9, v11
	v_lshlrev_b32_e32 v8, 4, v24
	s_delay_alu instid0(VALU_DEP_1) | instskip(NEXT) | instid1(VALU_DEP_1)
	v_lshl_add_u32 v8, v9, 9, v8
	v_dual_sub_nc_u32 v25, v10, v23 :: v_dual_sub_nc_u32 v27, v10, v8
	s_delay_alu instid0(VALU_DEP_1) | instskip(SKIP_1) | instid1(VALU_DEP_1)
	v_cmp_lt_i32_e32 vcc_lo, 15, v25
	v_add_co_ci_u32_e64 v11, null, 0, v11, vcc_lo
	v_sub_nc_u32_e32 v26, v11, v9
	s_delay_alu instid0(VALU_DEP_4)
	v_cmpx_lt_i32_e32 15, v27
	s_cbranch_execz .LBB10_1237
; %bb.1202:                             ;   in Loop: Header=BB10_727 Depth=2
	s_trap 2
	ds_load_b64 v[10:11], v0
	v_add_nc_u32_e32 v8, v8, v22
	s_mov_b32 s40, 0
	s_delay_alu instid0(VALU_DEP_1) | instskip(NEXT) | instid1(VALU_DEP_1)
	v_ashrrev_i32_e32 v9, 31, v8
	v_add_nc_u64_e32 v[16:17], v[8:9], v[88:89]
	v_add_nc_u64_e32 v[20:21], v[8:9], v[90:91]
	s_wait_dscnt 0x0
	v_add_nc_u64_e32 v[18:19], v[10:11], v[8:9]
	s_branch .LBB10_1204
.LBB10_1203:                            ;   in Loop: Header=BB10_1204 Depth=3
	s_or_b32 exec_lo, exec_lo, s41
	v_dual_lshrrev_b32 v12, 16, v12 :: v_dual_lshrrev_b32 v13, 16, v13
	v_dual_lshrrev_b32 v15, 16, v32 :: v_dual_lshrrev_b32 v14, 16, v14
	v_dual_sub_nc_u32 v27, v27, v102 :: v_dual_sub_nc_u32 v26, v26, v84
	s_delay_alu instid0(VALU_DEP_3) | instskip(NEXT) | instid1(VALU_DEP_3)
	v_and_or_b32 v9, 0xffff0000, v9, v12
	v_and_or_b32 v8, 0xffff0000, v8, v15
	;; [unrolled: 1-line block ×4, first 2 shown]
	v_add_nc_u64_e32 v[16:17], v[16:17], v[102:103]
	v_add_nc_u64_e32 v[18:19], v[18:19], v[102:103]
	v_cmp_gt_i32_e64 s13, 16, v27
	global_store_b128 v[20:21], v[8:11], off th:TH_STORE_NT
	s_wait_xcnt 0x0
	v_add_nc_u64_e32 v[20:21], v[20:21], v[102:103]
	s_or_b32 s40, s13, s40
	s_delay_alu instid0(SALU_CYCLE_1)
	s_and_not1_b32 exec_lo, exec_lo, s40
	s_cbranch_execz .LBB10_1236
.LBB10_1204:                            ;   Parent Loop BB10_47 Depth=1
                                        ;     Parent Loop BB10_727 Depth=2
                                        ; =>    This Inner Loop Header: Depth=3
	global_load_b128 v[8:11], v[18:19], off th:TH_LOAD_NT
	global_load_b128 v[12:15], v[16:17], off th:TH_LOAD_NT
	s_wait_loadcnt 0x1
	v_lshlrev_b32_e32 v32, 16, v8
	s_wait_loadcnt 0x0
	v_lshlrev_b32_e32 v33, 16, v12
	s_delay_alu instid0(VALU_DEP_1) | instskip(NEXT) | instid1(VALU_DEP_1)
	v_mul_f32_e32 v33, v33, v32
	v_and_b32_e32 v32, 0x7f800000, v33
	s_delay_alu instid0(VALU_DEP_1) | instskip(SKIP_2) | instid1(SALU_CYCLE_1)
	v_cmp_ne_u32_e64 s13, 0x7f800000, v32
                                        ; implicit-def: $vgpr32
	s_wait_xcnt 0x0
	s_and_saveexec_b32 s41, s13
	s_xor_b32 s13, exec_lo, s41
; %bb.1205:                             ;   in Loop: Header=BB10_1204 Depth=3
	v_bfe_u32 v32, v33, 16, 1
	s_delay_alu instid0(VALU_DEP_1)
	v_add3_u32 v32, v33, v32, 0x7fff
                                        ; implicit-def: $vgpr33
; %bb.1206:                             ;   in Loop: Header=BB10_1204 Depth=3
	s_and_not1_saveexec_b32 s41, s13
; %bb.1207:                             ;   in Loop: Header=BB10_1204 Depth=3
	v_and_b32_e32 v32, 0xffff, v33
	v_or_b32_e32 v34, 0x10000, v33
	s_delay_alu instid0(VALU_DEP_2) | instskip(NEXT) | instid1(VALU_DEP_1)
	v_cmp_eq_u32_e64 s13, 0, v32
	v_cndmask_b32_e64 v32, v34, v33, s13
; %bb.1208:                             ;   in Loop: Header=BB10_1204 Depth=3
	s_or_b32 exec_lo, exec_lo, s41
	v_and_b32_e32 v8, 0xffff0000, v8
	v_and_b32_e32 v12, 0xffff0000, v12
	s_delay_alu instid0(VALU_DEP_1) | instskip(NEXT) | instid1(VALU_DEP_1)
	v_mul_f32_e32 v12, v12, v8
	v_and_b32_e32 v8, 0x7f800000, v12
	s_delay_alu instid0(VALU_DEP_1) | instskip(SKIP_1) | instid1(SALU_CYCLE_1)
	v_cmp_ne_u32_e64 s13, 0x7f800000, v8
                                        ; implicit-def: $vgpr8
	s_and_saveexec_b32 s41, s13
	s_xor_b32 s13, exec_lo, s41
; %bb.1209:                             ;   in Loop: Header=BB10_1204 Depth=3
	v_bfe_u32 v8, v12, 16, 1
	s_delay_alu instid0(VALU_DEP_1)
	v_add3_u32 v8, v12, v8, 0x7fff
                                        ; implicit-def: $vgpr12
; %bb.1210:                             ;   in Loop: Header=BB10_1204 Depth=3
	s_and_not1_saveexec_b32 s41, s13
; %bb.1211:                             ;   in Loop: Header=BB10_1204 Depth=3
	v_and_b32_e32 v8, 0xffff, v12
	v_or_b32_e32 v33, 0x10000, v12
	s_delay_alu instid0(VALU_DEP_2) | instskip(NEXT) | instid1(VALU_DEP_1)
	v_cmp_eq_u32_e64 s13, 0, v8
	v_cndmask_b32_e64 v8, v33, v12, s13
; %bb.1212:                             ;   in Loop: Header=BB10_1204 Depth=3
	s_or_b32 exec_lo, exec_lo, s41
	v_lshlrev_b32_e32 v12, 16, v9
	v_lshlrev_b32_e32 v33, 16, v13
	s_delay_alu instid0(VALU_DEP_1) | instskip(NEXT) | instid1(VALU_DEP_1)
	v_mul_f32_e32 v33, v33, v12
	v_and_b32_e32 v12, 0x7f800000, v33
	s_delay_alu instid0(VALU_DEP_1) | instskip(SKIP_1) | instid1(SALU_CYCLE_1)
	v_cmp_ne_u32_e64 s13, 0x7f800000, v12
                                        ; implicit-def: $vgpr12
	s_and_saveexec_b32 s41, s13
	s_xor_b32 s13, exec_lo, s41
; %bb.1213:                             ;   in Loop: Header=BB10_1204 Depth=3
	v_bfe_u32 v12, v33, 16, 1
	s_delay_alu instid0(VALU_DEP_1)
	v_add3_u32 v12, v33, v12, 0x7fff
                                        ; implicit-def: $vgpr33
; %bb.1214:                             ;   in Loop: Header=BB10_1204 Depth=3
	s_and_not1_saveexec_b32 s41, s13
; %bb.1215:                             ;   in Loop: Header=BB10_1204 Depth=3
	v_and_b32_e32 v12, 0xffff, v33
	v_or_b32_e32 v34, 0x10000, v33
	s_delay_alu instid0(VALU_DEP_2) | instskip(NEXT) | instid1(VALU_DEP_1)
	v_cmp_eq_u32_e64 s13, 0, v12
	v_cndmask_b32_e64 v12, v34, v33, s13
; %bb.1216:                             ;   in Loop: Header=BB10_1204 Depth=3
	s_or_b32 exec_lo, exec_lo, s41
	v_and_b32_e32 v13, 0xffff0000, v13
	v_and_b32_e32 v9, 0xffff0000, v9
	s_delay_alu instid0(VALU_DEP_1) | instskip(NEXT) | instid1(VALU_DEP_1)
	v_mul_f32_e32 v13, v13, v9
	v_and_b32_e32 v9, 0x7f800000, v13
	s_delay_alu instid0(VALU_DEP_1) | instskip(SKIP_1) | instid1(SALU_CYCLE_1)
	v_cmp_ne_u32_e64 s13, 0x7f800000, v9
                                        ; implicit-def: $vgpr9
	s_and_saveexec_b32 s41, s13
	s_xor_b32 s13, exec_lo, s41
; %bb.1217:                             ;   in Loop: Header=BB10_1204 Depth=3
	v_bfe_u32 v9, v13, 16, 1
	s_delay_alu instid0(VALU_DEP_1)
	v_add3_u32 v9, v13, v9, 0x7fff
                                        ; implicit-def: $vgpr13
; %bb.1218:                             ;   in Loop: Header=BB10_1204 Depth=3
	s_and_not1_saveexec_b32 s41, s13
; %bb.1219:                             ;   in Loop: Header=BB10_1204 Depth=3
	v_and_b32_e32 v9, 0xffff, v13
	v_or_b32_e32 v33, 0x10000, v13
	s_delay_alu instid0(VALU_DEP_2) | instskip(NEXT) | instid1(VALU_DEP_1)
	v_cmp_eq_u32_e64 s13, 0, v9
	v_cndmask_b32_e64 v9, v33, v13, s13
; %bb.1220:                             ;   in Loop: Header=BB10_1204 Depth=3
	s_or_b32 exec_lo, exec_lo, s41
	v_lshlrev_b32_e32 v13, 16, v10
	v_lshlrev_b32_e32 v33, 16, v14
	s_delay_alu instid0(VALU_DEP_1) | instskip(NEXT) | instid1(VALU_DEP_1)
	v_mul_f32_e32 v33, v33, v13
	v_and_b32_e32 v13, 0x7f800000, v33
	s_delay_alu instid0(VALU_DEP_1) | instskip(SKIP_1) | instid1(SALU_CYCLE_1)
	v_cmp_ne_u32_e64 s13, 0x7f800000, v13
                                        ; implicit-def: $vgpr13
	s_and_saveexec_b32 s41, s13
	s_xor_b32 s13, exec_lo, s41
; %bb.1221:                             ;   in Loop: Header=BB10_1204 Depth=3
	v_bfe_u32 v13, v33, 16, 1
	s_delay_alu instid0(VALU_DEP_1)
	v_add3_u32 v13, v33, v13, 0x7fff
                                        ; implicit-def: $vgpr33
; %bb.1222:                             ;   in Loop: Header=BB10_1204 Depth=3
	s_and_not1_saveexec_b32 s41, s13
; %bb.1223:                             ;   in Loop: Header=BB10_1204 Depth=3
	v_and_b32_e32 v13, 0xffff, v33
	v_or_b32_e32 v34, 0x10000, v33
	s_delay_alu instid0(VALU_DEP_2) | instskip(NEXT) | instid1(VALU_DEP_1)
	v_cmp_eq_u32_e64 s13, 0, v13
	v_cndmask_b32_e64 v13, v34, v33, s13
; %bb.1224:                             ;   in Loop: Header=BB10_1204 Depth=3
	s_or_b32 exec_lo, exec_lo, s41
	v_and_b32_e32 v14, 0xffff0000, v14
	v_and_b32_e32 v10, 0xffff0000, v10
	s_delay_alu instid0(VALU_DEP_1) | instskip(NEXT) | instid1(VALU_DEP_1)
	v_mul_f32_e32 v14, v14, v10
	v_and_b32_e32 v10, 0x7f800000, v14
	s_delay_alu instid0(VALU_DEP_1) | instskip(SKIP_1) | instid1(SALU_CYCLE_1)
	v_cmp_ne_u32_e64 s13, 0x7f800000, v10
                                        ; implicit-def: $vgpr10
	s_and_saveexec_b32 s41, s13
	s_xor_b32 s13, exec_lo, s41
; %bb.1225:                             ;   in Loop: Header=BB10_1204 Depth=3
	v_bfe_u32 v10, v14, 16, 1
	s_delay_alu instid0(VALU_DEP_1)
	v_add3_u32 v10, v14, v10, 0x7fff
                                        ; implicit-def: $vgpr14
; %bb.1226:                             ;   in Loop: Header=BB10_1204 Depth=3
	s_and_not1_saveexec_b32 s41, s13
; %bb.1227:                             ;   in Loop: Header=BB10_1204 Depth=3
	v_and_b32_e32 v10, 0xffff, v14
	v_or_b32_e32 v33, 0x10000, v14
	s_delay_alu instid0(VALU_DEP_2) | instskip(NEXT) | instid1(VALU_DEP_1)
	v_cmp_eq_u32_e64 s13, 0, v10
	v_cndmask_b32_e64 v10, v33, v14, s13
; %bb.1228:                             ;   in Loop: Header=BB10_1204 Depth=3
	s_or_b32 exec_lo, exec_lo, s41
	v_lshlrev_b32_e32 v14, 16, v11
	v_lshlrev_b32_e32 v33, 16, v15
	s_delay_alu instid0(VALU_DEP_1) | instskip(NEXT) | instid1(VALU_DEP_1)
	v_mul_f32_e32 v33, v33, v14
	v_and_b32_e32 v14, 0x7f800000, v33
	s_delay_alu instid0(VALU_DEP_1) | instskip(SKIP_1) | instid1(SALU_CYCLE_1)
	v_cmp_ne_u32_e64 s13, 0x7f800000, v14
                                        ; implicit-def: $vgpr14
	s_and_saveexec_b32 s41, s13
	s_xor_b32 s13, exec_lo, s41
; %bb.1229:                             ;   in Loop: Header=BB10_1204 Depth=3
	v_bfe_u32 v14, v33, 16, 1
	s_delay_alu instid0(VALU_DEP_1)
	v_add3_u32 v14, v33, v14, 0x7fff
                                        ; implicit-def: $vgpr33
; %bb.1230:                             ;   in Loop: Header=BB10_1204 Depth=3
	s_and_not1_saveexec_b32 s41, s13
; %bb.1231:                             ;   in Loop: Header=BB10_1204 Depth=3
	v_and_b32_e32 v14, 0xffff, v33
	v_or_b32_e32 v34, 0x10000, v33
	s_delay_alu instid0(VALU_DEP_2) | instskip(NEXT) | instid1(VALU_DEP_1)
	v_cmp_eq_u32_e64 s13, 0, v14
	v_cndmask_b32_e64 v14, v34, v33, s13
; %bb.1232:                             ;   in Loop: Header=BB10_1204 Depth=3
	s_or_b32 exec_lo, exec_lo, s41
	v_and_b32_e32 v15, 0xffff0000, v15
	v_and_b32_e32 v11, 0xffff0000, v11
	s_delay_alu instid0(VALU_DEP_1) | instskip(NEXT) | instid1(VALU_DEP_1)
	v_mul_f32_e32 v15, v15, v11
	v_and_b32_e32 v11, 0x7f800000, v15
	s_delay_alu instid0(VALU_DEP_1) | instskip(SKIP_1) | instid1(SALU_CYCLE_1)
	v_cmp_ne_u32_e64 s13, 0x7f800000, v11
                                        ; implicit-def: $vgpr11
	s_and_saveexec_b32 s41, s13
	s_xor_b32 s13, exec_lo, s41
; %bb.1233:                             ;   in Loop: Header=BB10_1204 Depth=3
	v_bfe_u32 v11, v15, 16, 1
	s_delay_alu instid0(VALU_DEP_1)
	v_add3_u32 v11, v15, v11, 0x7fff
                                        ; implicit-def: $vgpr15
; %bb.1234:                             ;   in Loop: Header=BB10_1204 Depth=3
	s_and_not1_saveexec_b32 s41, s13
	s_cbranch_execz .LBB10_1203
; %bb.1235:                             ;   in Loop: Header=BB10_1204 Depth=3
	v_and_b32_e32 v11, 0xffff, v15
	v_or_b32_e32 v33, 0x10000, v15
	s_delay_alu instid0(VALU_DEP_2) | instskip(NEXT) | instid1(VALU_DEP_1)
	v_cmp_eq_u32_e64 s13, 0, v11
	v_cndmask_b32_e64 v11, v33, v15, s13
	s_branch .LBB10_1203
.LBB10_1236:                            ;   in Loop: Header=BB10_727 Depth=2
	s_or_b32 exec_lo, exec_lo, s40
.LBB10_1237:                            ;   in Loop: Header=BB10_727 Depth=2
	s_delay_alu instid0(SALU_CYCLE_1) | instskip(SKIP_3) | instid1(VALU_DEP_1)
	s_or_b32 exec_lo, exec_lo, s15
	v_dual_mov_b32 v14, 0 :: v_dual_bitop2_b32 v9, 14, v75 bitop3:0x40
	s_mov_b32 s15, 0
	s_mov_b32 s40, exec_lo
                                        ; implicit-def: $vgpr15
                                        ; implicit-def: $vgpr8
	v_cndmask_b32_e32 v75, v25, v9, vcc_lo
	s_delay_alu instid0(VALU_DEP_1)
	v_cmpx_ne_u32_e32 0, v75
	s_cbranch_execz .LBB10_1239
; %bb.1238:                             ;   in Loop: Header=BB10_727 Depth=2
	v_cmp_lt_i32_e64 s13, 0, v26
	s_mov_b32 s15, exec_lo
	v_dual_sub_nc_u32 v9, v25, v9 :: v_dual_cndmask_b32 v8, 0, v84, s13
	s_delay_alu instid0(VALU_DEP_1) | instskip(NEXT) | instid1(VALU_DEP_1)
	v_dual_cndmask_b32 v9, 0, v9 :: v_dual_sub_nc_u32 v8, v8, v26
	v_add3_u32 v14, v23, v22, v9
	s_delay_alu instid0(VALU_DEP_2) | instskip(NEXT) | instid1(VALU_DEP_1)
	v_lshl_add_u32 v15, v8, 5, v24
	v_ashrrev_i32_e32 v8, 31, v15
	s_delay_alu instid0(VALU_DEP_1) | instskip(NEXT) | instid1(VALU_DEP_1)
	v_lshrrev_b32_e32 v8, 27, v8
	v_add_nc_u32_e32 v8, v15, v8
	s_delay_alu instid0(VALU_DEP_1)
	v_ashrrev_i32_e32 v8, 5, v8
.LBB10_1239:                            ;   in Loop: Header=BB10_727 Depth=2
	s_or_b32 exec_lo, exec_lo, s40
	s_delay_alu instid0(SALU_CYCLE_1)
	s_and_b32 s15, s15, exec_lo
.LBB10_1240:                            ;   in Loop: Header=BB10_727 Depth=2
	s_or_b32 exec_lo, exec_lo, s14
	s_and_saveexec_b32 s13, s15
	s_cbranch_execz .LBB10_1317
.LBB10_1241:                            ;   in Loop: Header=BB10_727 Depth=2
	v_ashrrev_i32_e32 v9, 31, v75
	s_mov_b32 s14, exec_lo
	s_delay_alu instid0(VALU_DEP_1) | instskip(NEXT) | instid1(VALU_DEP_1)
	v_lshrrev_b32_e32 v9, 22, v9
	v_add_nc_u32_e32 v9, v75, v9
	s_delay_alu instid0(VALU_DEP_1) | instskip(NEXT) | instid1(VALU_DEP_1)
	v_ashrrev_i32_e32 v17, 10, v9
	v_sub_nc_u32_e32 v16, v17, v8
	s_delay_alu instid0(VALU_DEP_1)
	v_cmpx_lt_i32_e32 0, v16
	s_cbranch_execz .LBB10_1309
; %bb.1242:                             ;   in Loop: Header=BB10_727 Depth=2
	v_dual_ashrrev_i32 v9, 31, v15 :: v_dual_lshlrev_b32 v8, 10, v8
	s_trap 2
	ds_load_b64 v[10:11], v0
	v_add_nc_u64_e32 v[18:19], 0x3c0, v[90:91]
	v_lshrrev_b32_e32 v9, 27, v9
	s_mov_b32 s15, 0
	s_delay_alu instid0(VALU_DEP_1) | instskip(NEXT) | instid1(VALU_DEP_1)
	v_add_nc_u32_e32 v9, v15, v9
	v_and_b32_e32 v9, 0x7fffffe0, v9
	s_delay_alu instid0(VALU_DEP_1) | instskip(NEXT) | instid1(VALU_DEP_1)
	v_sub_nc_u32_e32 v9, v15, v9
	v_lshlrev_b32_e32 v9, 1, v9
	s_delay_alu instid0(VALU_DEP_1) | instskip(NEXT) | instid1(VALU_DEP_1)
	v_add3_u32 v12, v9, v14, v8
	v_ashrrev_i32_e32 v13, 31, v12
	s_delay_alu instid0(VALU_DEP_1)
	v_add_nc_u64_e32 v[8:9], v[12:13], v[88:89]
	s_wait_dscnt 0x0
	v_add_nc_u64_e32 v[10:11], v[10:11], v[12:13]
	v_add_nc_u64_e32 v[12:13], v[18:19], v[12:13]
	s_branch .LBB10_1244
.LBB10_1243:                            ;   in Loop: Header=BB10_1244 Depth=3
	s_or_b32 exec_lo, exec_lo, s40
	v_sub_nc_u32_e32 v16, v16, v84
	s_clause 0xf
	flat_store_d16_hi_b16 v[12:13], v18 offset:-960 th:TH_STORE_NT
	flat_store_d16_hi_b16 v[12:13], v21 offset:-896 th:TH_STORE_NT
	flat_store_d16_hi_b16 v[12:13], v24 offset:-832 th:TH_STORE_NT
	flat_store_d16_hi_b16 v[12:13], v27 offset:-768 th:TH_STORE_NT
	flat_store_d16_hi_b16 v[12:13], v34 offset:-704 th:TH_STORE_NT
	flat_store_d16_hi_b16 v[12:13], v37 offset:-640 th:TH_STORE_NT
	flat_store_d16_hi_b16 v[12:13], v48 offset:-576 th:TH_STORE_NT
	flat_store_d16_hi_b16 v[12:13], v51 offset:-512 th:TH_STORE_NT
	flat_store_d16_hi_b16 v[12:13], v52 offset:-448 th:TH_STORE_NT
	flat_store_d16_hi_b16 v[12:13], v49 offset:-384 th:TH_STORE_NT
	flat_store_d16_hi_b16 v[12:13], v38 offset:-320 th:TH_STORE_NT
	flat_store_d16_hi_b16 v[12:13], v35 offset:-256 th:TH_STORE_NT
	flat_store_d16_hi_b16 v[12:13], v32 offset:-192 th:TH_STORE_NT
	flat_store_d16_hi_b16 v[12:13], v25 offset:-128 th:TH_STORE_NT
	flat_store_d16_hi_b16 v[12:13], v22 offset:-64 th:TH_STORE_NT
	flat_store_d16_hi_b16 v[12:13], v19 th:TH_STORE_NT
	v_add_nc_u64_e32 v[8:9], v[8:9], v[112:113]
	v_add_nc_u64_e32 v[10:11], v[10:11], v[112:113]
	v_cmp_gt_i32_e32 vcc_lo, 1, v16
	s_wait_xcnt 0x0
	v_add_nc_u64_e32 v[12:13], v[12:13], v[112:113]
	s_or_b32 s15, vcc_lo, s15
	s_delay_alu instid0(SALU_CYCLE_1)
	s_and_not1_b32 exec_lo, exec_lo, s15
	s_cbranch_execz .LBB10_1308
.LBB10_1244:                            ;   Parent Loop BB10_47 Depth=1
                                        ;     Parent Loop BB10_727 Depth=2
                                        ; =>    This Inner Loop Header: Depth=3
	s_clause 0x6
	flat_load_u16 v24, v[8:9] offset:128 th:TH_LOAD_NT
	flat_load_u16 v27, v[8:9] offset:192 th:TH_LOAD_NT
	;; [unrolled: 1-line block ×6, first 2 shown]
	flat_load_u16 v18, v[8:9] th:TH_LOAD_NT
	s_clause 0x6
	flat_load_u16 v104, v[10:11] offset:128 th:TH_LOAD_NT
	flat_load_u16 v95, v[10:11] offset:192 th:TH_LOAD_NT
	;; [unrolled: 1-line block ×6, first 2 shown]
	flat_load_u16 v96, v[10:11] th:TH_LOAD_NT
	flat_load_u16 v21, v[8:9] offset:64 th:TH_LOAD_NT
	flat_load_u16 v105, v[10:11] offset:64 th:TH_LOAD_NT
	s_clause 0x7
	flat_load_u16 v52, v[8:9] offset:512 th:TH_LOAD_NT
	flat_load_u16 v49, v[8:9] offset:576 th:TH_LOAD_NT
	;; [unrolled: 1-line block ×8, first 2 shown]
	s_clause 0x7
	flat_load_u16 v53, v[10:11] offset:512 th:TH_LOAD_NT
	flat_load_u16 v50, v[10:11] offset:576 th:TH_LOAD_NT
	flat_load_u16 v39, v[10:11] offset:640 th:TH_LOAD_NT
	flat_load_u16 v36, v[10:11] offset:704 th:TH_LOAD_NT
	flat_load_u16 v33, v[10:11] offset:768 th:TH_LOAD_NT
	flat_load_u16 v26, v[10:11] offset:832 th:TH_LOAD_NT
	flat_load_u16 v23, v[10:11] offset:896 th:TH_LOAD_NT
	flat_load_u16 v20, v[10:11] offset:960 th:TH_LOAD_NT
	s_wait_loadcnt_dscnt 0x1212
	v_dual_lshlrev_b32 v18, 16, v18 :: v_dual_lshlrev_b32 v96, 16, v96
	s_delay_alu instid0(VALU_DEP_1) | instskip(NEXT) | instid1(VALU_DEP_1)
	v_mul_f32_e32 v106, v96, v18
	v_and_b32_e32 v18, 0x7f800000, v106
	s_delay_alu instid0(VALU_DEP_1) | instskip(SKIP_2) | instid1(SALU_CYCLE_1)
	v_cmp_ne_u32_e32 vcc_lo, 0x7f800000, v18
                                        ; implicit-def: $vgpr18
	s_wait_xcnt 0x0
	s_and_saveexec_b32 s40, vcc_lo
	s_xor_b32 s40, exec_lo, s40
; %bb.1245:                             ;   in Loop: Header=BB10_1244 Depth=3
	v_bfe_u32 v18, v106, 16, 1
	s_delay_alu instid0(VALU_DEP_1)
	v_add3_u32 v18, v106, v18, 0x7fff
                                        ; implicit-def: $vgpr106
; %bb.1246:                             ;   in Loop: Header=BB10_1244 Depth=3
	s_and_not1_saveexec_b32 s40, s40
; %bb.1247:                             ;   in Loop: Header=BB10_1244 Depth=3
	v_and_b32_e32 v18, 0xffff, v106
	v_or_b32_e32 v96, 0x10000, v106
	s_delay_alu instid0(VALU_DEP_2) | instskip(NEXT) | instid1(VALU_DEP_2)
	v_cmp_eq_u32_e32 vcc_lo, 0, v18
	v_cndmask_b32_e32 v18, v96, v106, vcc_lo
; %bb.1248:                             ;   in Loop: Header=BB10_1244 Depth=3
	s_or_b32 exec_lo, exec_lo, s40
	s_wait_loadcnt_dscnt 0x1111
	v_lshlrev_b32_e32 v21, 16, v21
	s_wait_loadcnt_dscnt 0x1010
	v_lshlrev_b32_e32 v96, 16, v105
	s_delay_alu instid0(VALU_DEP_1) | instskip(NEXT) | instid1(VALU_DEP_1)
	v_mul_f32_e32 v105, v96, v21
	v_and_b32_e32 v21, 0x7f800000, v105
	s_delay_alu instid0(VALU_DEP_1) | instskip(SKIP_1) | instid1(SALU_CYCLE_1)
	v_cmp_ne_u32_e32 vcc_lo, 0x7f800000, v21
                                        ; implicit-def: $vgpr21
	s_and_saveexec_b32 s40, vcc_lo
	s_xor_b32 s40, exec_lo, s40
; %bb.1249:                             ;   in Loop: Header=BB10_1244 Depth=3
	v_bfe_u32 v21, v105, 16, 1
	s_delay_alu instid0(VALU_DEP_1)
	v_add3_u32 v21, v105, v21, 0x7fff
                                        ; implicit-def: $vgpr105
; %bb.1250:                             ;   in Loop: Header=BB10_1244 Depth=3
	s_and_not1_saveexec_b32 s40, s40
; %bb.1251:                             ;   in Loop: Header=BB10_1244 Depth=3
	v_and_b32_e32 v21, 0xffff, v105
	v_or_b32_e32 v96, 0x10000, v105
	s_delay_alu instid0(VALU_DEP_2) | instskip(NEXT) | instid1(VALU_DEP_2)
	v_cmp_eq_u32_e32 vcc_lo, 0, v21
	v_cndmask_b32_e32 v21, v96, v105, vcc_lo
; %bb.1252:                             ;   in Loop: Header=BB10_1244 Depth=3
	s_or_b32 exec_lo, exec_lo, s40
	v_lshlrev_b32_e32 v24, 16, v24
	v_lshlrev_b32_e32 v96, 16, v104
	s_delay_alu instid0(VALU_DEP_1) | instskip(NEXT) | instid1(VALU_DEP_1)
	v_mul_f32_e32 v104, v96, v24
	v_and_b32_e32 v24, 0x7f800000, v104
	s_delay_alu instid0(VALU_DEP_1) | instskip(SKIP_1) | instid1(SALU_CYCLE_1)
	v_cmp_ne_u32_e32 vcc_lo, 0x7f800000, v24
                                        ; implicit-def: $vgpr24
	s_and_saveexec_b32 s40, vcc_lo
	s_xor_b32 s40, exec_lo, s40
; %bb.1253:                             ;   in Loop: Header=BB10_1244 Depth=3
	v_bfe_u32 v24, v104, 16, 1
	s_delay_alu instid0(VALU_DEP_1)
	v_add3_u32 v24, v104, v24, 0x7fff
                                        ; implicit-def: $vgpr104
; %bb.1254:                             ;   in Loop: Header=BB10_1244 Depth=3
	s_and_not1_saveexec_b32 s40, s40
; %bb.1255:                             ;   in Loop: Header=BB10_1244 Depth=3
	v_and_b32_e32 v24, 0xffff, v104
	v_or_b32_e32 v96, 0x10000, v104
	s_delay_alu instid0(VALU_DEP_2) | instskip(NEXT) | instid1(VALU_DEP_2)
	v_cmp_eq_u32_e32 vcc_lo, 0, v24
	v_cndmask_b32_e32 v24, v96, v104, vcc_lo
; %bb.1256:                             ;   in Loop: Header=BB10_1244 Depth=3
	s_or_b32 exec_lo, exec_lo, s40
	v_lshlrev_b32_e32 v27, 16, v27
	v_lshlrev_b32_e32 v96, 16, v95
	s_delay_alu instid0(VALU_DEP_1) | instskip(NEXT) | instid1(VALU_DEP_1)
	v_mul_f32_e32 v95, v96, v27
	v_and_b32_e32 v27, 0x7f800000, v95
	s_delay_alu instid0(VALU_DEP_1) | instskip(SKIP_1) | instid1(SALU_CYCLE_1)
	v_cmp_ne_u32_e32 vcc_lo, 0x7f800000, v27
                                        ; implicit-def: $vgpr27
	s_and_saveexec_b32 s40, vcc_lo
	s_xor_b32 s40, exec_lo, s40
; %bb.1257:                             ;   in Loop: Header=BB10_1244 Depth=3
	v_bfe_u32 v27, v95, 16, 1
	s_delay_alu instid0(VALU_DEP_1)
	v_add3_u32 v27, v95, v27, 0x7fff
                                        ; implicit-def: $vgpr95
; %bb.1258:                             ;   in Loop: Header=BB10_1244 Depth=3
	s_and_not1_saveexec_b32 s40, s40
; %bb.1259:                             ;   in Loop: Header=BB10_1244 Depth=3
	v_and_b32_e32 v27, 0xffff, v95
	v_or_b32_e32 v96, 0x10000, v95
	s_delay_alu instid0(VALU_DEP_2) | instskip(NEXT) | instid1(VALU_DEP_2)
	v_cmp_eq_u32_e32 vcc_lo, 0, v27
	v_cndmask_b32_e32 v27, v96, v95, vcc_lo
; %bb.1260:                             ;   in Loop: Header=BB10_1244 Depth=3
	s_or_b32 exec_lo, exec_lo, s40
	v_lshlrev_b32_e32 v34, 16, v34
	v_lshlrev_b32_e32 v96, 16, v94
	s_delay_alu instid0(VALU_DEP_1) | instskip(NEXT) | instid1(VALU_DEP_1)
	v_mul_f32_e32 v94, v96, v34
	v_and_b32_e32 v34, 0x7f800000, v94
	s_delay_alu instid0(VALU_DEP_1) | instskip(SKIP_1) | instid1(SALU_CYCLE_1)
	v_cmp_ne_u32_e32 vcc_lo, 0x7f800000, v34
                                        ; implicit-def: $vgpr34
	s_and_saveexec_b32 s40, vcc_lo
	s_xor_b32 s40, exec_lo, s40
; %bb.1261:                             ;   in Loop: Header=BB10_1244 Depth=3
	v_bfe_u32 v34, v94, 16, 1
	s_delay_alu instid0(VALU_DEP_1)
	v_add3_u32 v34, v94, v34, 0x7fff
                                        ; implicit-def: $vgpr94
; %bb.1262:                             ;   in Loop: Header=BB10_1244 Depth=3
	s_and_not1_saveexec_b32 s40, s40
; %bb.1263:                             ;   in Loop: Header=BB10_1244 Depth=3
	v_and_b32_e32 v34, 0xffff, v94
	v_or_b32_e32 v96, 0x10000, v94
	s_delay_alu instid0(VALU_DEP_2) | instskip(NEXT) | instid1(VALU_DEP_2)
	v_cmp_eq_u32_e32 vcc_lo, 0, v34
	v_cndmask_b32_e32 v34, v96, v94, vcc_lo
; %bb.1264:                             ;   in Loop: Header=BB10_1244 Depth=3
	s_or_b32 exec_lo, exec_lo, s40
	v_lshlrev_b32_e32 v37, 16, v37
	v_lshlrev_b32_e32 v96, 16, v93
	s_delay_alu instid0(VALU_DEP_1) | instskip(NEXT) | instid1(VALU_DEP_1)
	v_mul_f32_e32 v93, v96, v37
	v_and_b32_e32 v37, 0x7f800000, v93
	s_delay_alu instid0(VALU_DEP_1) | instskip(SKIP_1) | instid1(SALU_CYCLE_1)
	v_cmp_ne_u32_e32 vcc_lo, 0x7f800000, v37
                                        ; implicit-def: $vgpr37
	s_and_saveexec_b32 s40, vcc_lo
	s_xor_b32 s40, exec_lo, s40
; %bb.1265:                             ;   in Loop: Header=BB10_1244 Depth=3
	v_bfe_u32 v37, v93, 16, 1
	s_delay_alu instid0(VALU_DEP_1)
	v_add3_u32 v37, v93, v37, 0x7fff
                                        ; implicit-def: $vgpr93
; %bb.1266:                             ;   in Loop: Header=BB10_1244 Depth=3
	s_and_not1_saveexec_b32 s40, s40
; %bb.1267:                             ;   in Loop: Header=BB10_1244 Depth=3
	v_and_b32_e32 v37, 0xffff, v93
	v_or_b32_e32 v96, 0x10000, v93
	s_delay_alu instid0(VALU_DEP_2) | instskip(NEXT) | instid1(VALU_DEP_2)
	v_cmp_eq_u32_e32 vcc_lo, 0, v37
	v_cndmask_b32_e32 v37, v96, v93, vcc_lo
; %bb.1268:                             ;   in Loop: Header=BB10_1244 Depth=3
	s_or_b32 exec_lo, exec_lo, s40
	v_lshlrev_b32_e32 v48, 16, v48
	v_lshlrev_b32_e32 v96, 16, v92
	s_delay_alu instid0(VALU_DEP_1) | instskip(NEXT) | instid1(VALU_DEP_1)
	v_mul_f32_e32 v92, v96, v48
	v_and_b32_e32 v48, 0x7f800000, v92
	s_delay_alu instid0(VALU_DEP_1) | instskip(SKIP_1) | instid1(SALU_CYCLE_1)
	v_cmp_ne_u32_e32 vcc_lo, 0x7f800000, v48
                                        ; implicit-def: $vgpr48
	s_and_saveexec_b32 s40, vcc_lo
	s_xor_b32 s40, exec_lo, s40
; %bb.1269:                             ;   in Loop: Header=BB10_1244 Depth=3
	v_bfe_u32 v48, v92, 16, 1
	s_delay_alu instid0(VALU_DEP_1)
	v_add3_u32 v48, v92, v48, 0x7fff
                                        ; implicit-def: $vgpr92
; %bb.1270:                             ;   in Loop: Header=BB10_1244 Depth=3
	s_and_not1_saveexec_b32 s40, s40
; %bb.1271:                             ;   in Loop: Header=BB10_1244 Depth=3
	v_and_b32_e32 v48, 0xffff, v92
	v_or_b32_e32 v96, 0x10000, v92
	s_delay_alu instid0(VALU_DEP_2) | instskip(NEXT) | instid1(VALU_DEP_2)
	v_cmp_eq_u32_e32 vcc_lo, 0, v48
	v_cndmask_b32_e32 v48, v96, v92, vcc_lo
; %bb.1272:                             ;   in Loop: Header=BB10_1244 Depth=3
	s_or_b32 exec_lo, exec_lo, s40
	v_dual_lshlrev_b32 v51, 16, v51 :: v_dual_lshlrev_b32 v96, 16, v77
	s_delay_alu instid0(VALU_DEP_1) | instskip(NEXT) | instid1(VALU_DEP_1)
	v_mul_f32_e32 v77, v96, v51
	v_and_b32_e32 v51, 0x7f800000, v77
	s_delay_alu instid0(VALU_DEP_1) | instskip(SKIP_1) | instid1(SALU_CYCLE_1)
	v_cmp_ne_u32_e32 vcc_lo, 0x7f800000, v51
                                        ; implicit-def: $vgpr51
	s_and_saveexec_b32 s40, vcc_lo
	s_xor_b32 s40, exec_lo, s40
; %bb.1273:                             ;   in Loop: Header=BB10_1244 Depth=3
	v_bfe_u32 v51, v77, 16, 1
	s_delay_alu instid0(VALU_DEP_1)
	v_add3_u32 v51, v77, v51, 0x7fff
                                        ; implicit-def: $vgpr77
; %bb.1274:                             ;   in Loop: Header=BB10_1244 Depth=3
	s_and_not1_saveexec_b32 s40, s40
; %bb.1275:                             ;   in Loop: Header=BB10_1244 Depth=3
	v_and_b32_e32 v51, 0xffff, v77
	v_or_b32_e32 v96, 0x10000, v77
	s_delay_alu instid0(VALU_DEP_2) | instskip(NEXT) | instid1(VALU_DEP_2)
	v_cmp_eq_u32_e32 vcc_lo, 0, v51
	v_cndmask_b32_e32 v51, v96, v77, vcc_lo
; %bb.1276:                             ;   in Loop: Header=BB10_1244 Depth=3
	s_or_b32 exec_lo, exec_lo, s40
	s_wait_loadcnt_dscnt 0x707
	v_dual_lshlrev_b32 v52, 16, v52 :: v_dual_lshlrev_b32 v53, 16, v53
	s_delay_alu instid0(VALU_DEP_1) | instskip(NEXT) | instid1(VALU_DEP_1)
	v_mul_f32_e32 v53, v53, v52
	v_and_b32_e32 v52, 0x7f800000, v53
	s_delay_alu instid0(VALU_DEP_1) | instskip(SKIP_1) | instid1(SALU_CYCLE_1)
	v_cmp_ne_u32_e32 vcc_lo, 0x7f800000, v52
                                        ; implicit-def: $vgpr52
	s_and_saveexec_b32 s40, vcc_lo
	s_xor_b32 s40, exec_lo, s40
; %bb.1277:                             ;   in Loop: Header=BB10_1244 Depth=3
	v_bfe_u32 v52, v53, 16, 1
	s_delay_alu instid0(VALU_DEP_1)
	v_add3_u32 v52, v53, v52, 0x7fff
                                        ; implicit-def: $vgpr53
; %bb.1278:                             ;   in Loop: Header=BB10_1244 Depth=3
	s_and_not1_saveexec_b32 s40, s40
; %bb.1279:                             ;   in Loop: Header=BB10_1244 Depth=3
	v_and_b32_e32 v52, 0xffff, v53
	v_or_b32_e32 v96, 0x10000, v53
	s_delay_alu instid0(VALU_DEP_2) | instskip(NEXT) | instid1(VALU_DEP_2)
	v_cmp_eq_u32_e32 vcc_lo, 0, v52
	v_cndmask_b32_e32 v52, v96, v53, vcc_lo
; %bb.1280:                             ;   in Loop: Header=BB10_1244 Depth=3
	s_or_b32 exec_lo, exec_lo, s40
	s_wait_loadcnt_dscnt 0x606
	v_dual_lshlrev_b32 v49, 16, v49 :: v_dual_lshlrev_b32 v50, 16, v50
	s_delay_alu instid0(VALU_DEP_1) | instskip(NEXT) | instid1(VALU_DEP_1)
	v_mul_f32_e32 v50, v50, v49
	v_and_b32_e32 v49, 0x7f800000, v50
	s_delay_alu instid0(VALU_DEP_1) | instskip(SKIP_1) | instid1(SALU_CYCLE_1)
	v_cmp_ne_u32_e32 vcc_lo, 0x7f800000, v49
                                        ; implicit-def: $vgpr49
	s_and_saveexec_b32 s40, vcc_lo
	s_xor_b32 s40, exec_lo, s40
; %bb.1281:                             ;   in Loop: Header=BB10_1244 Depth=3
	v_bfe_u32 v49, v50, 16, 1
	s_delay_alu instid0(VALU_DEP_1)
	v_add3_u32 v49, v50, v49, 0x7fff
                                        ; implicit-def: $vgpr50
; %bb.1282:                             ;   in Loop: Header=BB10_1244 Depth=3
	s_and_not1_saveexec_b32 s40, s40
; %bb.1283:                             ;   in Loop: Header=BB10_1244 Depth=3
	v_and_b32_e32 v49, 0xffff, v50
	v_or_b32_e32 v53, 0x10000, v50
	s_delay_alu instid0(VALU_DEP_2) | instskip(NEXT) | instid1(VALU_DEP_2)
	v_cmp_eq_u32_e32 vcc_lo, 0, v49
	v_cndmask_b32_e32 v49, v53, v50, vcc_lo
; %bb.1284:                             ;   in Loop: Header=BB10_1244 Depth=3
	s_or_b32 exec_lo, exec_lo, s40
	s_wait_loadcnt_dscnt 0x505
	v_dual_lshlrev_b32 v38, 16, v38 :: v_dual_lshlrev_b32 v39, 16, v39
	s_delay_alu instid0(VALU_DEP_1) | instskip(NEXT) | instid1(VALU_DEP_1)
	v_mul_f32_e32 v39, v39, v38
	v_and_b32_e32 v38, 0x7f800000, v39
	s_delay_alu instid0(VALU_DEP_1) | instskip(SKIP_1) | instid1(SALU_CYCLE_1)
	v_cmp_ne_u32_e32 vcc_lo, 0x7f800000, v38
                                        ; implicit-def: $vgpr38
	s_and_saveexec_b32 s40, vcc_lo
	s_xor_b32 s40, exec_lo, s40
; %bb.1285:                             ;   in Loop: Header=BB10_1244 Depth=3
	v_bfe_u32 v38, v39, 16, 1
	s_delay_alu instid0(VALU_DEP_1)
	v_add3_u32 v38, v39, v38, 0x7fff
                                        ; implicit-def: $vgpr39
; %bb.1286:                             ;   in Loop: Header=BB10_1244 Depth=3
	s_and_not1_saveexec_b32 s40, s40
; %bb.1287:                             ;   in Loop: Header=BB10_1244 Depth=3
	v_and_b32_e32 v38, 0xffff, v39
	v_or_b32_e32 v50, 0x10000, v39
	s_delay_alu instid0(VALU_DEP_2) | instskip(NEXT) | instid1(VALU_DEP_2)
	v_cmp_eq_u32_e32 vcc_lo, 0, v38
	v_cndmask_b32_e32 v38, v50, v39, vcc_lo
; %bb.1288:                             ;   in Loop: Header=BB10_1244 Depth=3
	s_or_b32 exec_lo, exec_lo, s40
	s_wait_loadcnt_dscnt 0x404
	v_dual_lshlrev_b32 v35, 16, v35 :: v_dual_lshlrev_b32 v36, 16, v36
	s_delay_alu instid0(VALU_DEP_1) | instskip(NEXT) | instid1(VALU_DEP_1)
	v_mul_f32_e32 v36, v36, v35
	v_and_b32_e32 v35, 0x7f800000, v36
	s_delay_alu instid0(VALU_DEP_1) | instskip(SKIP_1) | instid1(SALU_CYCLE_1)
	v_cmp_ne_u32_e32 vcc_lo, 0x7f800000, v35
                                        ; implicit-def: $vgpr35
	s_and_saveexec_b32 s40, vcc_lo
	s_xor_b32 s40, exec_lo, s40
; %bb.1289:                             ;   in Loop: Header=BB10_1244 Depth=3
	v_bfe_u32 v35, v36, 16, 1
	s_delay_alu instid0(VALU_DEP_1)
	v_add3_u32 v35, v36, v35, 0x7fff
                                        ; implicit-def: $vgpr36
; %bb.1290:                             ;   in Loop: Header=BB10_1244 Depth=3
	s_and_not1_saveexec_b32 s40, s40
; %bb.1291:                             ;   in Loop: Header=BB10_1244 Depth=3
	v_and_b32_e32 v35, 0xffff, v36
	v_or_b32_e32 v39, 0x10000, v36
	s_delay_alu instid0(VALU_DEP_2) | instskip(NEXT) | instid1(VALU_DEP_2)
	v_cmp_eq_u32_e32 vcc_lo, 0, v35
	v_cndmask_b32_e32 v35, v39, v36, vcc_lo
; %bb.1292:                             ;   in Loop: Header=BB10_1244 Depth=3
	s_or_b32 exec_lo, exec_lo, s40
	s_wait_loadcnt_dscnt 0x303
	v_dual_lshlrev_b32 v32, 16, v32 :: v_dual_lshlrev_b32 v33, 16, v33
	s_delay_alu instid0(VALU_DEP_1) | instskip(NEXT) | instid1(VALU_DEP_1)
	v_mul_f32_e32 v33, v33, v32
	v_and_b32_e32 v32, 0x7f800000, v33
	s_delay_alu instid0(VALU_DEP_1) | instskip(SKIP_1) | instid1(SALU_CYCLE_1)
	v_cmp_ne_u32_e32 vcc_lo, 0x7f800000, v32
                                        ; implicit-def: $vgpr32
	s_and_saveexec_b32 s40, vcc_lo
	s_xor_b32 s40, exec_lo, s40
; %bb.1293:                             ;   in Loop: Header=BB10_1244 Depth=3
	v_bfe_u32 v32, v33, 16, 1
	s_delay_alu instid0(VALU_DEP_1)
	v_add3_u32 v32, v33, v32, 0x7fff
                                        ; implicit-def: $vgpr33
; %bb.1294:                             ;   in Loop: Header=BB10_1244 Depth=3
	s_and_not1_saveexec_b32 s40, s40
; %bb.1295:                             ;   in Loop: Header=BB10_1244 Depth=3
	v_and_b32_e32 v32, 0xffff, v33
	v_or_b32_e32 v36, 0x10000, v33
	s_delay_alu instid0(VALU_DEP_2) | instskip(NEXT) | instid1(VALU_DEP_2)
	v_cmp_eq_u32_e32 vcc_lo, 0, v32
	v_cndmask_b32_e32 v32, v36, v33, vcc_lo
; %bb.1296:                             ;   in Loop: Header=BB10_1244 Depth=3
	s_or_b32 exec_lo, exec_lo, s40
	s_wait_loadcnt_dscnt 0x202
	v_dual_lshlrev_b32 v25, 16, v25 :: v_dual_lshlrev_b32 v26, 16, v26
	s_delay_alu instid0(VALU_DEP_1) | instskip(NEXT) | instid1(VALU_DEP_1)
	v_mul_f32_e32 v26, v26, v25
	v_and_b32_e32 v25, 0x7f800000, v26
	s_delay_alu instid0(VALU_DEP_1) | instskip(SKIP_1) | instid1(SALU_CYCLE_1)
	v_cmp_ne_u32_e32 vcc_lo, 0x7f800000, v25
                                        ; implicit-def: $vgpr25
	s_and_saveexec_b32 s40, vcc_lo
	s_xor_b32 s40, exec_lo, s40
; %bb.1297:                             ;   in Loop: Header=BB10_1244 Depth=3
	v_bfe_u32 v25, v26, 16, 1
	s_delay_alu instid0(VALU_DEP_1)
	v_add3_u32 v25, v26, v25, 0x7fff
                                        ; implicit-def: $vgpr26
; %bb.1298:                             ;   in Loop: Header=BB10_1244 Depth=3
	s_and_not1_saveexec_b32 s40, s40
; %bb.1299:                             ;   in Loop: Header=BB10_1244 Depth=3
	v_and_b32_e32 v25, 0xffff, v26
	v_or_b32_e32 v33, 0x10000, v26
	s_delay_alu instid0(VALU_DEP_2) | instskip(NEXT) | instid1(VALU_DEP_2)
	v_cmp_eq_u32_e32 vcc_lo, 0, v25
	v_cndmask_b32_e32 v25, v33, v26, vcc_lo
; %bb.1300:                             ;   in Loop: Header=BB10_1244 Depth=3
	s_or_b32 exec_lo, exec_lo, s40
	s_wait_loadcnt_dscnt 0x101
	v_dual_lshlrev_b32 v22, 16, v22 :: v_dual_lshlrev_b32 v23, 16, v23
	s_delay_alu instid0(VALU_DEP_1) | instskip(NEXT) | instid1(VALU_DEP_1)
	v_mul_f32_e32 v23, v23, v22
	v_and_b32_e32 v22, 0x7f800000, v23
	s_delay_alu instid0(VALU_DEP_1) | instskip(SKIP_1) | instid1(SALU_CYCLE_1)
	v_cmp_ne_u32_e32 vcc_lo, 0x7f800000, v22
                                        ; implicit-def: $vgpr22
	s_and_saveexec_b32 s40, vcc_lo
	s_xor_b32 s40, exec_lo, s40
; %bb.1301:                             ;   in Loop: Header=BB10_1244 Depth=3
	v_bfe_u32 v22, v23, 16, 1
	s_delay_alu instid0(VALU_DEP_1)
	v_add3_u32 v22, v23, v22, 0x7fff
                                        ; implicit-def: $vgpr23
; %bb.1302:                             ;   in Loop: Header=BB10_1244 Depth=3
	s_and_not1_saveexec_b32 s40, s40
; %bb.1303:                             ;   in Loop: Header=BB10_1244 Depth=3
	v_and_b32_e32 v22, 0xffff, v23
	v_or_b32_e32 v26, 0x10000, v23
	s_delay_alu instid0(VALU_DEP_2) | instskip(NEXT) | instid1(VALU_DEP_2)
	v_cmp_eq_u32_e32 vcc_lo, 0, v22
	v_cndmask_b32_e32 v22, v26, v23, vcc_lo
; %bb.1304:                             ;   in Loop: Header=BB10_1244 Depth=3
	s_or_b32 exec_lo, exec_lo, s40
	s_wait_loadcnt_dscnt 0x0
	v_dual_lshlrev_b32 v19, 16, v19 :: v_dual_lshlrev_b32 v20, 16, v20
	s_delay_alu instid0(VALU_DEP_1) | instskip(NEXT) | instid1(VALU_DEP_1)
	v_mul_f32_e32 v20, v20, v19
	v_and_b32_e32 v19, 0x7f800000, v20
	s_delay_alu instid0(VALU_DEP_1) | instskip(SKIP_1) | instid1(SALU_CYCLE_1)
	v_cmp_ne_u32_e32 vcc_lo, 0x7f800000, v19
                                        ; implicit-def: $vgpr19
	s_and_saveexec_b32 s40, vcc_lo
	s_xor_b32 s40, exec_lo, s40
; %bb.1305:                             ;   in Loop: Header=BB10_1244 Depth=3
	v_bfe_u32 v19, v20, 16, 1
	s_delay_alu instid0(VALU_DEP_1)
	v_add3_u32 v19, v20, v19, 0x7fff
                                        ; implicit-def: $vgpr20
; %bb.1306:                             ;   in Loop: Header=BB10_1244 Depth=3
	s_and_not1_saveexec_b32 s40, s40
	s_cbranch_execz .LBB10_1243
; %bb.1307:                             ;   in Loop: Header=BB10_1244 Depth=3
	v_and_b32_e32 v19, 0xffff, v20
	v_or_b32_e32 v23, 0x10000, v20
	s_delay_alu instid0(VALU_DEP_2) | instskip(NEXT) | instid1(VALU_DEP_2)
	v_cmp_eq_u32_e32 vcc_lo, 0, v19
	v_cndmask_b32_e32 v19, v23, v20, vcc_lo
	s_branch .LBB10_1243
.LBB10_1308:                            ;   in Loop: Header=BB10_727 Depth=2
	s_or_b32 exec_lo, exec_lo, s15
.LBB10_1309:                            ;   in Loop: Header=BB10_727 Depth=2
	s_delay_alu instid0(SALU_CYCLE_1) | instskip(SKIP_1) | instid1(VALU_DEP_1)
	s_or_b32 exec_lo, exec_lo, s14
	v_lshlrev_b32_e32 v8, 10, v17
	v_cmp_ne_u32_e32 vcc_lo, v75, v8
	s_and_b32 exec_lo, exec_lo, vcc_lo
	s_cbranch_execz .LBB10_1317
; %bb.1310:                             ;   in Loop: Header=BB10_727 Depth=2
	v_dual_ashrrev_i32 v9, 31, v15 :: v_dual_lshlrev_b32 v10, 5, v16
	s_delay_alu instid0(VALU_DEP_1) | instskip(NEXT) | instid1(VALU_DEP_1)
	v_lshrrev_b32_e32 v9, 27, v9
	v_add_nc_u32_e32 v9, v15, v9
	s_delay_alu instid0(VALU_DEP_1) | instskip(NEXT) | instid1(VALU_DEP_1)
	v_and_b32_e32 v9, 0xffffffe0, v9
	v_sub_nc_u32_e32 v9, v15, v9
	s_delay_alu instid0(VALU_DEP_1) | instskip(NEXT) | instid1(VALU_DEP_1)
	v_sub_nc_u32_e32 v9, v9, v10
	v_ashrrev_i32_e32 v10, 31, v9
	s_delay_alu instid0(VALU_DEP_1) | instskip(NEXT) | instid1(VALU_DEP_1)
	v_lshrrev_b32_e32 v10, 27, v10
	v_add_nc_u32_e32 v10, v9, v10
	s_delay_alu instid0(VALU_DEP_1) | instskip(NEXT) | instid1(VALU_DEP_1)
	v_and_b32_e32 v11, 0x7fffffe0, v10
	v_sub_nc_u32_e32 v9, v9, v11
	s_delay_alu instid0(VALU_DEP_1) | instskip(NEXT) | instid1(VALU_DEP_1)
	v_dual_lshlrev_b32 v9, 1, v9 :: v_dual_lshlrev_b32 v10, 1, v10
	v_and_b32_e32 v10, 0xffffffc0, v10
	s_delay_alu instid0(VALU_DEP_1) | instskip(NEXT) | instid1(VALU_DEP_1)
	v_add3_u32 v8, v10, v9, v8
	v_sub_nc_u32_e32 v15, v75, v8
	s_delay_alu instid0(VALU_DEP_1)
	v_cmp_lt_i32_e32 vcc_lo, 1, v15
	s_and_b32 exec_lo, exec_lo, vcc_lo
	s_cbranch_execz .LBB10_1317
; %bb.1311:                             ;   in Loop: Header=BB10_727 Depth=2
	s_trap 2
	ds_load_b64 v[10:11], v0
	v_add_nc_u32_e32 v12, v8, v14
	s_mov_b32 s14, 0
	s_delay_alu instid0(VALU_DEP_1) | instskip(NEXT) | instid1(VALU_DEP_1)
	v_ashrrev_i32_e32 v13, 31, v12
	v_add_nc_u64_e32 v[8:9], v[12:13], v[88:89]
	s_wait_dscnt 0x0
	v_add_nc_u64_e32 v[10:11], v[10:11], v[12:13]
	v_add_nc_u64_e32 v[12:13], v[12:13], v[90:91]
	s_branch .LBB10_1313
.LBB10_1312:                            ;   in Loop: Header=BB10_1313 Depth=3
	s_or_b32 exec_lo, exec_lo, s15
	v_sub_nc_u32_e32 v15, v15, v114
	flat_store_d16_hi_b16 v[12:13], v14 th:TH_STORE_NT
	v_add_nc_u64_e32 v[8:9], v[8:9], v[114:115]
	v_add_nc_u64_e32 v[10:11], v[10:11], v[114:115]
	s_wait_xcnt 0x0
	v_add_nc_u64_e32 v[12:13], v[12:13], v[114:115]
	v_cmp_gt_i32_e32 vcc_lo, 2, v15
	s_or_b32 s14, vcc_lo, s14
	s_delay_alu instid0(SALU_CYCLE_1)
	s_and_not1_b32 exec_lo, exec_lo, s14
	s_cbranch_execz .LBB10_1317
.LBB10_1313:                            ;   Parent Loop BB10_47 Depth=1
                                        ;     Parent Loop BB10_727 Depth=2
                                        ; =>    This Inner Loop Header: Depth=3
	flat_load_u16 v14, v[8:9] th:TH_LOAD_NT
	flat_load_u16 v16, v[10:11] th:TH_LOAD_NT
	s_wait_loadcnt_dscnt 0x0
	v_dual_lshlrev_b32 v14, 16, v14 :: v_dual_lshlrev_b32 v16, 16, v16
	s_delay_alu instid0(VALU_DEP_1) | instskip(NEXT) | instid1(VALU_DEP_1)
	v_mul_f32_e32 v16, v16, v14
	v_and_b32_e32 v14, 0x7f800000, v16
	s_delay_alu instid0(VALU_DEP_1) | instskip(SKIP_2) | instid1(SALU_CYCLE_1)
	v_cmp_ne_u32_e32 vcc_lo, 0x7f800000, v14
                                        ; implicit-def: $vgpr14
	s_wait_xcnt 0x0
	s_and_saveexec_b32 s15, vcc_lo
	s_xor_b32 s15, exec_lo, s15
; %bb.1314:                             ;   in Loop: Header=BB10_1313 Depth=3
	v_bfe_u32 v14, v16, 16, 1
	s_delay_alu instid0(VALU_DEP_1)
	v_add3_u32 v14, v16, v14, 0x7fff
                                        ; implicit-def: $vgpr16
; %bb.1315:                             ;   in Loop: Header=BB10_1313 Depth=3
	s_and_not1_saveexec_b32 s15, s15
	s_cbranch_execz .LBB10_1312
; %bb.1316:                             ;   in Loop: Header=BB10_1313 Depth=3
	v_and_b32_e32 v14, 0xffff, v16
	v_or_b32_e32 v17, 0x10000, v16
	s_delay_alu instid0(VALU_DEP_2) | instskip(NEXT) | instid1(VALU_DEP_2)
	v_cmp_eq_u32_e32 vcc_lo, 0, v14
	v_cndmask_b32_e32 v14, v17, v16, vcc_lo
	s_branch .LBB10_1312
.LBB10_1317:                            ;   in Loop: Header=BB10_727 Depth=2
	s_or_b32 exec_lo, exec_lo, s13
.LBB10_1318:                            ;   in Loop: Header=BB10_727 Depth=2
	v_cmp_lt_i32_e64 s13, 0, v2
	s_and_saveexec_b32 s14, s2
	s_cbranch_execz .LBB10_803
.LBB10_1319:                            ;   in Loop: Header=BB10_727 Depth=2
	s_and_saveexec_b32 s15, s3
	s_delay_alu instid0(SALU_CYCLE_1)
	s_xor_b32 s15, exec_lo, s15
	s_cbranch_execz .LBB10_1334
; %bb.1320:                             ;   in Loop: Header=BB10_727 Depth=2
	s_and_saveexec_b32 s40, s6
	s_cbranch_execz .LBB10_1333
; %bb.1321:                             ;   in Loop: Header=BB10_727 Depth=2
	s_mov_b32 s62, exec_lo
	s_mov_b32 s41, exec_lo
	v_mbcnt_lo_u32_b32 v2, s62, 0
	global_wb scope:SCOPE_DEV
	s_wait_storecnt 0x0
	s_wait_loadcnt_dscnt 0x0
	global_inv scope:SCOPE_DEV
	v_cmpx_eq_u32_e32 0, v2
	s_cbranch_execz .LBB10_1323
; %bb.1322:                             ;   in Loop: Header=BB10_727 Depth=2
	s_bcnt1_i32_b32 s62, s62
	s_delay_alu instid0(SALU_CYCLE_1)
	v_mov_b32_e32 v2, s62
	s_wait_loadcnt 0x0
	ds_add_u64 v0, v[2:3]
	s_trap 2
.LBB10_1323:                            ;   in Loop: Header=BB10_727 Depth=2
	s_or_b32 exec_lo, exec_lo, s41
	s_trap 2
	ds_load_b64 v[8:9], v0
	s_wait_dscnt 0x0
	v_add_nc_u64_e32 v[80:81], v[80:81], v[84:85]
	s_mov_b32 s41, exec_lo
	s_delay_alu instid0(VALU_DEP_1)
	v_cmpx_lt_u64_e64 v[8:9], v[80:81]
	s_cbranch_execz .LBB10_1332
; %bb.1324:                             ;   in Loop: Header=BB10_727 Depth=2
	s_mov_b32 s62, 0
	s_mov_b32 s73, 0
                                        ; implicit-def: $sgpr63
                                        ; implicit-def: $sgpr72
	s_branch .LBB10_1326
.LBB10_1325:                            ;   in Loop: Header=BB10_1326 Depth=3
	s_or_b32 exec_lo, exec_lo, s75
	s_delay_alu instid0(SALU_CYCLE_1) | instskip(NEXT) | instid1(SALU_CYCLE_1)
	s_and_b32 s74, exec_lo, s76
	s_or_b32 s62, s74, s62
	s_and_not1_b32 s63, s63, exec_lo
	s_and_b32 s74, s72, exec_lo
	s_delay_alu instid0(SALU_CYCLE_1)
	s_or_b32 s63, s63, s74
	s_and_not1_b32 exec_lo, exec_lo, s62
	s_cbranch_execz .LBB10_1330
.LBB10_1326:                            ;   Parent Loop BB10_47 Depth=1
                                        ;     Parent Loop BB10_727 Depth=2
                                        ; =>    This Inner Loop Header: Depth=3
	s_add_co_i32 s73, s73, 1
	s_delay_alu instid0(SALU_CYCLE_1) | instskip(SKIP_1) | instid1(SALU_CYCLE_1)
	s_cmp_lg_u32 s73, 0x2710
	s_cselect_b32 s74, -1, 0
	s_and_b32 vcc_lo, exec_lo, s74
	s_cbranch_vccz .LBB10_1328
; %bb.1327:                             ;   in Loop: Header=BB10_1326 Depth=3
	s_mov_b32 s76, -1
	s_or_b32 s72, s72, exec_lo
	s_and_saveexec_b32 s75, s74
	s_cbranch_execz .LBB10_1325
	s_branch .LBB10_1329
.LBB10_1328:                            ;   in Loop: Header=BB10_1326 Depth=3
	s_trap 2
	ds_load_b64 v[8:9], v0
	s_and_not1_b32 s74, s74, exec_lo
	s_mov_b32 s73, 0
	s_wait_loadcnt_dscnt 0x0
	flat_load_b32 v2, v[8:9] scope:SCOPE_SYS
	s_wait_loadcnt_dscnt 0x0
	global_inv scope:SCOPE_SYS
	v_cmp_eq_u32_e32 vcc_lo, 0, v2
	s_and_b32 s75, vcc_lo, exec_lo
	s_delay_alu instid0(SALU_CYCLE_1)
	s_or_b32 s74, s74, s75
	s_mov_b32 s76, -1
	s_or_b32 s72, s72, exec_lo
	s_and_saveexec_b32 s75, s74
	s_cbranch_execz .LBB10_1325
.LBB10_1329:                            ;   in Loop: Header=BB10_1326 Depth=3
	s_sleep 1
	s_trap 2
	ds_load_b64 v[8:9], v0
	s_wait_dscnt 0x0
	s_and_not1_b32 s72, s72, exec_lo
	v_cmp_ge_u64_e32 vcc_lo, v[8:9], v[80:81]
	s_or_not1_b32 s76, vcc_lo, exec_lo
	s_branch .LBB10_1325
.LBB10_1330:                            ;   in Loop: Header=BB10_727 Depth=2
	s_or_b32 exec_lo, exec_lo, s62
	s_and_saveexec_b32 s62, s63
	s_delay_alu instid0(SALU_CYCLE_1)
	s_xor_b32 s62, exec_lo, s62
	s_cbranch_execz .LBB10_1332
; %bb.1331:                             ;   in Loop: Header=BB10_727 Depth=2
	ds_store_b32 v0, v121
	s_trap 2
.LBB10_1332:                            ;   in Loop: Header=BB10_727 Depth=2
	s_or_b32 exec_lo, exec_lo, s41
	;;#ASMSTART
	s_wakeup
	;;#ASMEND
.LBB10_1333:                            ;   in Loop: Header=BB10_727 Depth=2
	s_or_b32 exec_lo, exec_lo, s40
.LBB10_1334:                            ;   in Loop: Header=BB10_727 Depth=2
	s_and_not1_saveexec_b32 s15, s15
	s_cbranch_execz .LBB10_1336
; %bb.1335:                             ;   in Loop: Header=BB10_727 Depth=2
	global_wb scope:SCOPE_DEV
	s_wait_storecnt 0x0
	s_wait_loadcnt_dscnt 0x0
	global_inv scope:SCOPE_DEV
	s_barrier_signal -1
	s_barrier_wait -1
.LBB10_1336:                            ;   in Loop: Header=BB10_727 Depth=2
	s_or_b32 exec_lo, exec_lo, s15
	s_delay_alu instid0(SALU_CYCLE_1) | instskip(SKIP_1) | instid1(SALU_CYCLE_1)
	s_or_b32 exec_lo, exec_lo, s14
                                        ; implicit-def: $vgpr2
	s_and_saveexec_b32 s14, s10
	s_xor_b32 s14, exec_lo, s14
	s_cbranch_execnz .LBB10_804
.LBB10_1337:                            ;   in Loop: Header=BB10_727 Depth=2
	s_and_not1_saveexec_b32 s13, s14
	s_cbranch_execz .LBB10_1356
.LBB10_1338:                            ;   in Loop: Header=BB10_727 Depth=2
	s_and_saveexec_b32 s14, s3
	s_delay_alu instid0(SALU_CYCLE_1)
	s_xor_b32 s14, exec_lo, s14
	s_cbranch_execz .LBB10_1353
; %bb.1339:                             ;   in Loop: Header=BB10_727 Depth=2
	s_and_saveexec_b32 s15, s6
	s_cbranch_execz .LBB10_1352
; %bb.1340:                             ;   in Loop: Header=BB10_727 Depth=2
	s_mov_b32 s41, exec_lo
	s_mov_b32 s40, exec_lo
	v_mbcnt_lo_u32_b32 v2, s41, 0
	;;#ASMSTART
	s_waitcnt lgkmcnt(0) vmcnt(0)
	;;#ASMEND
	s_delay_alu instid0(VALU_DEP_1)
	v_cmpx_eq_u32_e32 0, v2
	s_cbranch_execz .LBB10_1342
; %bb.1341:                             ;   in Loop: Header=BB10_727 Depth=2
	s_bcnt1_i32_b32 s41, s41
	s_delay_alu instid0(SALU_CYCLE_1)
	v_mov_b32_e32 v2, s41
	s_wait_storecnt 0x0
	s_wait_loadcnt_dscnt 0x0
	ds_add_u64 v0, v[2:3]
	s_trap 2
.LBB10_1342:                            ;   in Loop: Header=BB10_727 Depth=2
	s_or_b32 exec_lo, exec_lo, s40
	s_trap 2
	ds_load_b64 v[8:9], v0
	s_wait_dscnt 0x0
	v_add_nc_u64_e32 v[80:81], v[80:81], v[84:85]
	s_mov_b32 s40, exec_lo
	s_delay_alu instid0(VALU_DEP_1)
	v_cmpx_lt_u64_e64 v[8:9], v[80:81]
	s_cbranch_execz .LBB10_1351
; %bb.1343:                             ;   in Loop: Header=BB10_727 Depth=2
	s_mov_b32 s41, 0
	s_mov_b32 s72, 0
                                        ; implicit-def: $sgpr62
                                        ; implicit-def: $sgpr63
	s_branch .LBB10_1345
.LBB10_1344:                            ;   in Loop: Header=BB10_1345 Depth=3
	s_or_b32 exec_lo, exec_lo, s74
	s_delay_alu instid0(SALU_CYCLE_1) | instskip(NEXT) | instid1(SALU_CYCLE_1)
	s_and_b32 s73, exec_lo, s75
	s_or_b32 s41, s73, s41
	s_and_not1_b32 s62, s62, exec_lo
	s_and_b32 s73, s63, exec_lo
	s_delay_alu instid0(SALU_CYCLE_1)
	s_or_b32 s62, s62, s73
	s_and_not1_b32 exec_lo, exec_lo, s41
	s_cbranch_execz .LBB10_1349
.LBB10_1345:                            ;   Parent Loop BB10_47 Depth=1
                                        ;     Parent Loop BB10_727 Depth=2
                                        ; =>    This Inner Loop Header: Depth=3
	s_add_co_i32 s72, s72, 1
	s_delay_alu instid0(SALU_CYCLE_1) | instskip(SKIP_1) | instid1(SALU_CYCLE_1)
	s_cmp_lg_u32 s72, 0x2710
	s_cselect_b32 s73, -1, 0
	s_and_b32 vcc_lo, exec_lo, s73
	s_cbranch_vccz .LBB10_1347
; %bb.1346:                             ;   in Loop: Header=BB10_1345 Depth=3
	s_mov_b32 s75, -1
	s_or_b32 s63, s63, exec_lo
	s_and_saveexec_b32 s74, s73
	s_cbranch_execz .LBB10_1344
	s_branch .LBB10_1348
.LBB10_1347:                            ;   in Loop: Header=BB10_1345 Depth=3
	s_trap 2
	ds_load_b64 v[8:9], v0
	s_and_not1_b32 s73, s73, exec_lo
	s_mov_b32 s72, 0
	s_wait_storecnt 0x0
	s_wait_loadcnt_dscnt 0x0
	flat_load_b32 v2, v[8:9] scope:SCOPE_SYS
	s_wait_loadcnt_dscnt 0x0
	global_inv scope:SCOPE_SYS
	v_cmp_eq_u32_e32 vcc_lo, 0, v2
	s_and_b32 s74, vcc_lo, exec_lo
	s_delay_alu instid0(SALU_CYCLE_1)
	s_or_b32 s73, s73, s74
	s_mov_b32 s75, -1
	s_or_b32 s63, s63, exec_lo
	s_and_saveexec_b32 s74, s73
	s_cbranch_execz .LBB10_1344
.LBB10_1348:                            ;   in Loop: Header=BB10_1345 Depth=3
	s_sleep 1
	s_trap 2
	ds_load_b64 v[8:9], v0
	s_wait_dscnt 0x0
	s_and_not1_b32 s63, s63, exec_lo
	v_cmp_ge_u64_e32 vcc_lo, v[8:9], v[80:81]
	s_or_not1_b32 s75, vcc_lo, exec_lo
	s_branch .LBB10_1344
.LBB10_1349:                            ;   in Loop: Header=BB10_727 Depth=2
	s_or_b32 exec_lo, exec_lo, s41
	s_and_saveexec_b32 s41, s62
	s_delay_alu instid0(SALU_CYCLE_1)
	s_xor_b32 s41, exec_lo, s41
	s_cbranch_execz .LBB10_1351
; %bb.1350:                             ;   in Loop: Header=BB10_727 Depth=2
	ds_store_b32 v0, v121
	s_trap 2
.LBB10_1351:                            ;   in Loop: Header=BB10_727 Depth=2
	s_or_b32 exec_lo, exec_lo, s40
	;;#ASMSTART
	s_wakeup
	;;#ASMEND
.LBB10_1352:                            ;   in Loop: Header=BB10_727 Depth=2
	s_or_b32 exec_lo, exec_lo, s15
.LBB10_1353:                            ;   in Loop: Header=BB10_727 Depth=2
	s_and_not1_saveexec_b32 s14, s14
	s_cbranch_execz .LBB10_1355
; %bb.1354:                             ;   in Loop: Header=BB10_727 Depth=2
	;;#ASMSTART
	s_waitcnt lgkmcnt(0) vmcnt(0)
	;;#ASMEND
	s_barrier_signal -1
	s_barrier_wait -1
.LBB10_1355:                            ;   in Loop: Header=BB10_727 Depth=2
	s_or_b32 exec_lo, exec_lo, s14
	v_and_b32_e32 v2, 16, v30
.LBB10_1356:                            ;   in Loop: Header=BB10_727 Depth=2
	s_or_b32 exec_lo, exec_lo, s13
	s_delay_alu instid0(VALU_DEP_1) | instskip(SKIP_1) | instid1(SALU_CYCLE_1)
	v_cmp_ne_u32_e32 vcc_lo, 0, v2
	s_xor_b32 s13, s4, -1
	s_and_b32 s14, vcc_lo, s13
	s_delay_alu instid0(SALU_CYCLE_1)
	s_and_saveexec_b32 s13, s14
	s_cbranch_execz .LBB10_1358
; %bb.1357:                             ;   in Loop: Header=BB10_727 Depth=2
	global_wb scope:SCOPE_SYS
	s_wait_storecnt 0x0
	s_wait_loadcnt_dscnt 0x0
	flat_store_b32 v[70:71], v121 scope:SCOPE_SYS
.LBB10_1358:                            ;   in Loop: Header=BB10_727 Depth=2
	s_wait_xcnt 0x0
	s_or_b32 exec_lo, exec_lo, s13
	v_and_b32_e32 v2, 48, v30
	s_mov_b32 s13, exec_lo
	s_delay_alu instid0(VALU_DEP_1)
	v_cmpx_ne_u32_e32 0, v2
	s_cbranch_execz .LBB10_726
; %bb.1359:                             ;   in Loop: Header=BB10_727 Depth=2
	v_add_nc_u64_e32 v[60:61], 2, v[60:61]
	global_wb scope:SCOPE_SYS
	s_wait_storecnt 0x0
	s_wait_loadcnt_dscnt 0x0
	flat_store_b64 v[64:65], v[60:61] scope:SCOPE_SYS
	s_branch .LBB10_726
.LBB10_1360:                            ;   in Loop: Header=BB10_47 Depth=1
	s_or_b32 exec_lo, exec_lo, s27
.LBB10_1361:                            ;   in Loop: Header=BB10_47 Depth=1
	s_delay_alu instid0(SALU_CYCLE_1) | instskip(NEXT) | instid1(SALU_CYCLE_1)
	s_or_b32 exec_lo, exec_lo, s18
	s_mov_b32 s14, exec_lo
	v_cmpx_gt_i32_e32 2, v2
	s_cbranch_execz .LBB10_1437
; %bb.1362:                             ;   in Loop: Header=BB10_47 Depth=1
	v_cmp_eq_u32_e64 s18, 0, v2
	s_mov_b32 s15, 0
	s_branch .LBB10_1364
.LBB10_1363:                            ;   in Loop: Header=BB10_1364 Depth=2
	s_wait_xcnt 0x0
	s_or_b32 exec_lo, exec_lo, s13
	v_add_nc_u32_e32 v76, v74, v76
	s_mov_b32 s18, 0
	s_and_not1_b32 exec_lo, exec_lo, s15
	s_cbranch_execz .LBB10_1436
.LBB10_1364:                            ;   Parent Loop BB10_47 Depth=1
                                        ; =>  This Loop Header: Depth=2
                                        ;       Child Loop BB10_1370 Depth 3
                                        ;       Child Loop BB10_1398 Depth 3
	;; [unrolled: 1-line block ×3, first 2 shown]
	s_delay_alu instid0(VALU_DEP_1) | instskip(SKIP_1) | instid1(VALU_DEP_1)
	v_dual_sub_nc_u32 v2, v126, v76 :: v_dual_bitop2_b32 v8, 12, v30 bitop3:0x40
	s_mov_b32 s27, exec_lo
	v_min_i32_e32 v74, v74, v2
	s_delay_alu instid0(VALU_DEP_2)
	v_cmpx_ne_u32_e32 0, v8
	s_cbranch_execz .LBB10_1390
; %bb.1365:                             ;   in Loop: Header=BB10_1364 Depth=2
	v_and_b32_e32 v2, 8, v30
	v_add_nc_u64_e32 v[8:9], 2, v[60:61]
	s_mov_b32 s40, exec_lo
	s_wait_loadcnt_dscnt 0x1
	s_delay_alu instid0(VALU_DEP_2) | instskip(NEXT) | instid1(VALU_DEP_1)
	v_add_nc_u64_e32 v[10:11], v[82:83], v[2:3]
	v_cmpx_lt_u64_e64 v[10:11], v[8:9]
	s_cbranch_execz .LBB10_1377
; %bb.1366:                             ;   in Loop: Header=BB10_1364 Depth=2
	v_and_b32_e32 v10, 64, v30
	s_mov_b32 s41, 0
	s_mov_b32 s63, 0
                                        ; implicit-def: $sgpr60
                                        ; implicit-def: $sgpr61
                                        ; implicit-def: $sgpr62
	s_delay_alu instid0(VALU_DEP_1)
	v_cmp_eq_u32_e32 vcc_lo, 0, v10
	s_branch .LBB10_1370
.LBB10_1367:                            ;   in Loop: Header=BB10_1370 Depth=3
	s_wait_loadcnt_dscnt 0x0
	v_add_nc_u64_e32 v[12:13], v[82:83], v[2:3]
	s_or_b32 s74, s74, exec_lo
	s_delay_alu instid0(VALU_DEP_1)
	v_cmp_ge_u64_e64 s13, v[12:13], v[8:9]
	s_or_not1_b32 s73, s13, exec_lo
.LBB10_1368:                            ;   in Loop: Header=BB10_1370 Depth=3
	s_or_b32 exec_lo, exec_lo, s76
	s_delay_alu instid0(SALU_CYCLE_1)
	s_and_not1_b32 s13, s62, exec_lo
	s_and_b32 s62, s74, exec_lo
	s_and_not1_b32 s61, s61, exec_lo
	s_and_b32 s73, s73, exec_lo
	s_or_b32 s62, s13, s62
	s_or_b32 s61, s61, s73
.LBB10_1369:                            ;   in Loop: Header=BB10_1370 Depth=3
	s_or_b32 exec_lo, exec_lo, s72
	s_delay_alu instid0(SALU_CYCLE_1) | instskip(NEXT) | instid1(SALU_CYCLE_1)
	s_and_b32 s13, exec_lo, s61
	s_or_b32 s41, s13, s41
	s_and_not1_b32 s13, s60, exec_lo
	s_and_b32 s60, s62, exec_lo
	s_delay_alu instid0(SALU_CYCLE_1)
	s_or_b32 s60, s13, s60
	s_and_not1_b32 exec_lo, exec_lo, s41
	s_cbranch_execz .LBB10_1374
.LBB10_1370:                            ;   Parent Loop BB10_47 Depth=1
                                        ;     Parent Loop BB10_1364 Depth=2
                                        ; =>    This Inner Loop Header: Depth=3
	s_sleep 1
	s_wait_loadcnt_dscnt 0x0
	flat_load_b64 v[82:83], v[64:65] scope:SCOPE_SYS
	s_or_b32 s62, s62, exec_lo
	s_or_b32 s61, s61, exec_lo
                                        ; implicit-def: $vgpr10
	s_wait_xcnt 0x0
	s_and_saveexec_b32 s72, vcc_lo
	s_cbranch_execz .LBB10_1369
; %bb.1371:                             ;   in Loop: Header=BB10_1370 Depth=3
	s_cmp_lt_i32 s63, 0x270f
	s_mov_b32 s73, -1
	s_cselect_b32 s75, -1, 0
	s_cmp_gt_i32 s63, 0x270e
	s_cbranch_scc0 .LBB10_1373
; %bb.1372:                             ;   in Loop: Header=BB10_1370 Depth=3
	s_trap 2
	ds_load_b64 v[10:11], v0
	s_and_not1_b32 s63, s75, exec_lo
	s_mov_b32 s74, 0
	s_wait_storecnt 0x0
	s_wait_loadcnt_dscnt 0x0
	flat_load_b32 v10, v[10:11] scope:SCOPE_SYS
	s_wait_loadcnt_dscnt 0x0
	global_inv scope:SCOPE_SYS
	v_cmp_eq_u32_e64 s13, 0, v10
	s_and_b32 s13, s13, exec_lo
	s_delay_alu instid0(SALU_CYCLE_1)
	s_or_b32 s75, s63, s13
	s_mov_b32 s63, 0
	s_and_saveexec_b32 s76, s75
	s_cbranch_execz .LBB10_1368
	s_branch .LBB10_1367
.LBB10_1373:                            ;   in Loop: Header=BB10_1370 Depth=3
	s_add_co_i32 s63, s63, 1
	s_mov_b32 s74, -1
                                        ; implicit-def: $vgpr10
	s_and_saveexec_b32 s76, s75
	s_cbranch_execz .LBB10_1368
	s_branch .LBB10_1367
.LBB10_1374:                            ;   in Loop: Header=BB10_1364 Depth=2
	s_or_b32 exec_lo, exec_lo, s41
	s_xor_b32 s13, s60, -1
	s_delay_alu instid0(SALU_CYCLE_1) | instskip(NEXT) | instid1(SALU_CYCLE_1)
	s_and_saveexec_b32 s41, s13
	s_xor_b32 s13, exec_lo, s41
	s_cbranch_execz .LBB10_1376
; %bb.1375:                             ;   in Loop: Header=BB10_1364 Depth=2
	v_or_b32_e32 v30, 64, v30
	s_wait_storecnt 0x0
	s_wait_loadcnt_dscnt 0x0
	ds_store_b32 v0, v10
	s_trap 2
.LBB10_1376:                            ;   in Loop: Header=BB10_1364 Depth=2
	s_or_b32 exec_lo, exec_lo, s13
.LBB10_1377:                            ;   in Loop: Header=BB10_1364 Depth=2
	s_delay_alu instid0(SALU_CYCLE_1) | instskip(SKIP_2) | instid1(VALU_DEP_1)
	s_or_b32 exec_lo, exec_lo, s40
	v_and_b32_e32 v10, 0x108, v30
	;;#ASMSTART
	s_wakeup
	;;#ASMEND
	v_cmp_ne_u32_e32 vcc_lo, 0x108, v10
                                        ; implicit-def: $vgpr10_vgpr11
	s_and_saveexec_b32 s13, vcc_lo
	s_delay_alu instid0(SALU_CYCLE_1)
	s_xor_b32 s13, exec_lo, s13
; %bb.1378:                             ;   in Loop: Header=BB10_1364 Depth=2
	v_dual_mov_b32 v11, v3 :: v_dual_bitop2_b32 v10, 7, v60 bitop3:0x40
                                        ; implicit-def: $vgpr60_vgpr61
; %bb.1379:                             ;   in Loop: Header=BB10_1364 Depth=2
	s_and_not1_saveexec_b32 s13, s13
	s_cbranch_execz .LBB10_1381
; %bb.1380:                             ;   in Loop: Header=BB10_1364 Depth=2
	v_dual_ashrrev_i32 v75, 31, v74 :: v_dual_bitop2_b32 v10, 7, v60 bitop3:0x40
	v_mov_b32_e32 v11, v3
	s_delay_alu instid0(VALU_DEP_2) | instskip(NEXT) | instid1(VALU_DEP_3)
	v_mad_nc_u64_u32 v[12:13], v10, 24, v[6:7]
	v_lshlrev_b64_e32 v[14:15], 1, v[74:75]
	flat_store_b64 v[12:13], v[14:15] offset:8
.LBB10_1381:                            ;   in Loop: Header=BB10_1364 Depth=2
	s_wait_xcnt 0x0
	s_or_b32 exec_lo, exec_lo, s13
	v_and_b32_e32 v12, 0x100, v30
	s_mov_b32 s13, -1
	s_delay_alu instid0(VALU_DEP_1)
	v_cmp_ne_u32_e32 vcc_lo, 0, v12
                                        ; implicit-def: $vgpr12_vgpr13
	s_and_saveexec_b32 s40, vcc_lo
	s_cbranch_execz .LBB10_1385
; %bb.1382:                             ;   in Loop: Header=BB10_1364 Depth=2
	v_mad_nc_u64_u32 v[14:15], v10, 24, v[6:7]
	s_delay_alu instid0(VALU_DEP_1)
	v_mad_u32 v15, v11, 24, v15
	flat_load_b32 v12, v[14:15]
	s_wait_loadcnt_dscnt 0x0
	v_cmp_eq_u32_e64 s13, 1, v12
	v_cmp_ne_u32_e32 vcc_lo, 1, v12
                                        ; implicit-def: $vgpr12_vgpr13
	s_wait_xcnt 0x0
	s_and_saveexec_b32 s41, s13
	s_cbranch_execz .LBB10_1384
; %bb.1383:                             ;   in Loop: Header=BB10_1364 Depth=2
	flat_load_b32 v12, v[14:15] offset:4 scope:SCOPE_SYS
	s_wait_loadcnt_dscnt 0x0
	v_ashrrev_i32_e32 v13, 31, v12
	s_delay_alu instid0(VALU_DEP_1)
	v_lshrrev_b64 v[12:13], 1, v[12:13]
.LBB10_1384:                            ;   in Loop: Header=BB10_1364 Depth=2
	s_wait_xcnt 0x0
	s_or_b32 exec_lo, exec_lo, s41
	s_delay_alu instid0(SALU_CYCLE_1)
	s_or_not1_b32 s13, vcc_lo, exec_lo
.LBB10_1385:                            ;   in Loop: Header=BB10_1364 Depth=2
	s_or_b32 exec_lo, exec_lo, s40
	s_and_saveexec_b32 s40, s13
; %bb.1386:                             ;   in Loop: Header=BB10_1364 Depth=2
	v_mul_u64_e32 v[12:13], v[10:11], v[66:67]
; %bb.1387:                             ;   in Loop: Header=BB10_1364 Depth=2
	s_or_b32 exec_lo, exec_lo, s40
	v_cmp_eq_u32_e32 vcc_lo, 0, v2
	v_and_b32_e32 v14, 0x2000, v30
	s_delay_alu instid0(VALU_DEP_3) | instskip(SKIP_2) | instid1(VALU_DEP_1)
	v_lshl_add_u64 v[10:11], v[12:13], 1, v[68:69]
	s_mov_b32 s13, exec_lo
	v_cndmask_b32_e32 v2, 0xd0, v122, vcc_lo
	v_add_nc_u32_e32 v2, v0, v2
	ds_store_b64 v2, v[10:11] offset:584
	v_cmpx_ne_u32_e32 0, v14
	s_cbranch_execz .LBB10_1389
; %bb.1388:                             ;   in Loop: Header=BB10_1364 Depth=2
	ds_load_b64 v[10:11], v0 offset:872
	s_wait_dscnt 0x0
	v_add_nc_u64_e32 v[10:11], 1, v[10:11]
	ds_store_b64 v0, v[10:11] offset:872
.LBB10_1389:                            ;   in Loop: Header=BB10_1364 Depth=2
	s_or_b32 exec_lo, exec_lo, s13
	v_mov_b64_e32 v[60:61], v[8:9]
.LBB10_1390:                            ;   in Loop: Header=BB10_1364 Depth=2
	s_or_b32 exec_lo, exec_lo, s27
	s_xor_b32 s13, s18, -1
	s_delay_alu instid0(SALU_CYCLE_1) | instskip(NEXT) | instid1(SALU_CYCLE_1)
	s_and_b32 s13, exec_lo, s13
	s_or_b32 s15, s13, s15
	s_and_saveexec_b32 s13, s2
	s_cbranch_execz .LBB10_1409
; %bb.1391:                             ;   in Loop: Header=BB10_1364 Depth=2
	s_and_saveexec_b32 s18, s3
	s_delay_alu instid0(SALU_CYCLE_1)
	s_xor_b32 s18, exec_lo, s18
	s_cbranch_execz .LBB10_1406
; %bb.1392:                             ;   in Loop: Header=BB10_1364 Depth=2
	s_and_saveexec_b32 s27, s6
	s_cbranch_execz .LBB10_1405
; %bb.1393:                             ;   in Loop: Header=BB10_1364 Depth=2
	s_mov_b32 s41, exec_lo
	s_mov_b32 s40, exec_lo
	v_mbcnt_lo_u32_b32 v2, s41, 0
	global_wb scope:SCOPE_DEV
	s_wait_storecnt 0x0
	s_wait_loadcnt_dscnt 0x0
	global_inv scope:SCOPE_DEV
	v_cmpx_eq_u32_e32 0, v2
	s_cbranch_execz .LBB10_1395
; %bb.1394:                             ;   in Loop: Header=BB10_1364 Depth=2
	s_bcnt1_i32_b32 s41, s41
	s_delay_alu instid0(SALU_CYCLE_1)
	v_mov_b32_e32 v2, s41
	s_wait_loadcnt 0x0
	ds_add_u64 v0, v[2:3]
	s_trap 2
.LBB10_1395:                            ;   in Loop: Header=BB10_1364 Depth=2
	s_or_b32 exec_lo, exec_lo, s40
	s_trap 2
	ds_load_b64 v[8:9], v0
	s_wait_dscnt 0x0
	v_add_nc_u64_e32 v[80:81], v[80:81], v[84:85]
	s_mov_b32 s40, exec_lo
	s_delay_alu instid0(VALU_DEP_1)
	v_cmpx_lt_u64_e64 v[8:9], v[80:81]
	s_cbranch_execz .LBB10_1404
; %bb.1396:                             ;   in Loop: Header=BB10_1364 Depth=2
	s_mov_b32 s41, 0
	s_mov_b32 s62, 0
                                        ; implicit-def: $sgpr60
                                        ; implicit-def: $sgpr61
	s_branch .LBB10_1398
.LBB10_1397:                            ;   in Loop: Header=BB10_1398 Depth=3
	s_or_b32 exec_lo, exec_lo, s72
	s_delay_alu instid0(SALU_CYCLE_1) | instskip(NEXT) | instid1(SALU_CYCLE_1)
	s_and_b32 s63, exec_lo, s73
	s_or_b32 s41, s63, s41
	s_and_not1_b32 s60, s60, exec_lo
	s_and_b32 s63, s61, exec_lo
	s_delay_alu instid0(SALU_CYCLE_1)
	s_or_b32 s60, s60, s63
	s_and_not1_b32 exec_lo, exec_lo, s41
	s_cbranch_execz .LBB10_1402
.LBB10_1398:                            ;   Parent Loop BB10_47 Depth=1
                                        ;     Parent Loop BB10_1364 Depth=2
                                        ; =>    This Inner Loop Header: Depth=3
	s_add_co_i32 s62, s62, 1
	s_delay_alu instid0(SALU_CYCLE_1) | instskip(SKIP_1) | instid1(SALU_CYCLE_1)
	s_cmp_lg_u32 s62, 0x2710
	s_cselect_b32 s63, -1, 0
	s_and_b32 vcc_lo, exec_lo, s63
	s_cbranch_vccz .LBB10_1400
; %bb.1399:                             ;   in Loop: Header=BB10_1398 Depth=3
	s_mov_b32 s73, -1
	s_or_b32 s61, s61, exec_lo
	s_and_saveexec_b32 s72, s63
	s_cbranch_execz .LBB10_1397
	s_branch .LBB10_1401
.LBB10_1400:                            ;   in Loop: Header=BB10_1398 Depth=3
	s_trap 2
	ds_load_b64 v[8:9], v0
	s_and_not1_b32 s63, s63, exec_lo
	s_mov_b32 s62, 0
	s_wait_loadcnt_dscnt 0x0
	flat_load_b32 v2, v[8:9] scope:SCOPE_SYS
	s_wait_loadcnt_dscnt 0x0
	global_inv scope:SCOPE_SYS
	v_cmp_eq_u32_e32 vcc_lo, 0, v2
	s_and_b32 s72, vcc_lo, exec_lo
	s_delay_alu instid0(SALU_CYCLE_1)
	s_or_b32 s63, s63, s72
	s_mov_b32 s73, -1
	s_or_b32 s61, s61, exec_lo
	s_and_saveexec_b32 s72, s63
	s_cbranch_execz .LBB10_1397
.LBB10_1401:                            ;   in Loop: Header=BB10_1398 Depth=3
	s_sleep 1
	s_trap 2
	ds_load_b64 v[8:9], v0
	s_wait_dscnt 0x0
	s_and_not1_b32 s61, s61, exec_lo
	v_cmp_ge_u64_e32 vcc_lo, v[8:9], v[80:81]
	s_or_not1_b32 s73, vcc_lo, exec_lo
	s_branch .LBB10_1397
.LBB10_1402:                            ;   in Loop: Header=BB10_1364 Depth=2
	s_or_b32 exec_lo, exec_lo, s41
	s_and_saveexec_b32 s41, s60
	s_delay_alu instid0(SALU_CYCLE_1)
	s_xor_b32 s41, exec_lo, s41
	s_cbranch_execz .LBB10_1404
; %bb.1403:                             ;   in Loop: Header=BB10_1364 Depth=2
	ds_store_b32 v0, v121
	s_trap 2
.LBB10_1404:                            ;   in Loop: Header=BB10_1364 Depth=2
	s_or_b32 exec_lo, exec_lo, s40
	;;#ASMSTART
	s_wakeup
	;;#ASMEND
.LBB10_1405:                            ;   in Loop: Header=BB10_1364 Depth=2
	s_or_b32 exec_lo, exec_lo, s27
.LBB10_1406:                            ;   in Loop: Header=BB10_1364 Depth=2
	s_and_not1_saveexec_b32 s18, s18
	s_cbranch_execz .LBB10_1408
; %bb.1407:                             ;   in Loop: Header=BB10_1364 Depth=2
	global_wb scope:SCOPE_DEV
	s_wait_storecnt 0x0
	s_wait_loadcnt_dscnt 0x0
	global_inv scope:SCOPE_DEV
	s_barrier_signal -1
	s_barrier_wait -1
.LBB10_1408:                            ;   in Loop: Header=BB10_1364 Depth=2
	s_or_b32 exec_lo, exec_lo, s18
.LBB10_1409:                            ;   in Loop: Header=BB10_1364 Depth=2
	s_delay_alu instid0(SALU_CYCLE_1) | instskip(SKIP_1) | instid1(SALU_CYCLE_1)
	s_or_b32 exec_lo, exec_lo, s13
                                        ; implicit-def: $vgpr2
	s_and_saveexec_b32 s13, s10
	s_xor_b32 s18, exec_lo, s13
	s_cbranch_execz .LBB10_1413
; %bb.1410:                             ;   in Loop: Header=BB10_1364 Depth=2
	s_trap 2
	ds_load_b32 v2, v0
	v_cmp_lt_i32_e32 vcc_lo, 0, v74
	s_wait_dscnt 0x0
	v_readfirstlane_b32 s13, v2
	v_and_b32_e32 v2, 16, v30
	s_cmp_eq_u32 s13, 0
	s_delay_alu instid0(VALU_DEP_1) | instskip(SKIP_3) | instid1(SALU_CYCLE_1)
	v_cmp_ne_u32_e64 s13, 0, v2
	s_cselect_b32 s27, -1, 0
	v_and_b32_e32 v2, 16, v30
	s_and_b32 s27, vcc_lo, s27
	s_and_b32 s27, s13, s27
	s_delay_alu instid0(SALU_CYCLE_1)
	s_and_saveexec_b32 s13, s27
	s_cbranch_execz .LBB10_1412
; %bb.1411:                             ;   in Loop: Header=BB10_1364 Depth=2
	v_mov_b32_e32 v2, 1
	global_wb scope:SCOPE_SYS
	s_wait_loadcnt 0x0
	s_wait_storecnt 0x0
	global_inv scope:SCOPE_SYS
.LBB10_1412:                            ;   in Loop: Header=BB10_1364 Depth=2
	s_or_b32 exec_lo, exec_lo, s13
	s_and_not1_saveexec_b32 s13, s18
	s_cbranch_execz .LBB10_1432
	s_branch .LBB10_1414
.LBB10_1413:                            ;   in Loop: Header=BB10_1364 Depth=2
	s_and_not1_saveexec_b32 s13, s18
	s_cbranch_execz .LBB10_1432
.LBB10_1414:                            ;   in Loop: Header=BB10_1364 Depth=2
	s_and_saveexec_b32 s18, s3
	s_delay_alu instid0(SALU_CYCLE_1)
	s_xor_b32 s18, exec_lo, s18
	s_cbranch_execz .LBB10_1429
; %bb.1415:                             ;   in Loop: Header=BB10_1364 Depth=2
	s_and_saveexec_b32 s27, s6
	s_cbranch_execz .LBB10_1428
; %bb.1416:                             ;   in Loop: Header=BB10_1364 Depth=2
	s_mov_b32 s41, exec_lo
	s_mov_b32 s40, exec_lo
	v_mbcnt_lo_u32_b32 v2, s41, 0
	;;#ASMSTART
	s_waitcnt lgkmcnt(0) vmcnt(0)
	;;#ASMEND
	s_delay_alu instid0(VALU_DEP_1)
	v_cmpx_eq_u32_e32 0, v2
	s_cbranch_execz .LBB10_1418
; %bb.1417:                             ;   in Loop: Header=BB10_1364 Depth=2
	s_bcnt1_i32_b32 s41, s41
	s_delay_alu instid0(SALU_CYCLE_1)
	v_mov_b32_e32 v2, s41
	s_wait_storecnt 0x0
	s_wait_loadcnt_dscnt 0x0
	ds_add_u64 v0, v[2:3]
	s_trap 2
.LBB10_1418:                            ;   in Loop: Header=BB10_1364 Depth=2
	s_or_b32 exec_lo, exec_lo, s40
	s_trap 2
	ds_load_b64 v[8:9], v0
	s_wait_dscnt 0x0
	v_add_nc_u64_e32 v[80:81], v[80:81], v[84:85]
	s_mov_b32 s40, exec_lo
	s_delay_alu instid0(VALU_DEP_1)
	v_cmpx_lt_u64_e64 v[8:9], v[80:81]
	s_cbranch_execz .LBB10_1427
; %bb.1419:                             ;   in Loop: Header=BB10_1364 Depth=2
	s_mov_b32 s41, 0
	s_mov_b32 s62, 0
                                        ; implicit-def: $sgpr60
                                        ; implicit-def: $sgpr61
	s_branch .LBB10_1421
.LBB10_1420:                            ;   in Loop: Header=BB10_1421 Depth=3
	s_or_b32 exec_lo, exec_lo, s72
	s_delay_alu instid0(SALU_CYCLE_1) | instskip(NEXT) | instid1(SALU_CYCLE_1)
	s_and_b32 s63, exec_lo, s73
	s_or_b32 s41, s63, s41
	s_and_not1_b32 s60, s60, exec_lo
	s_and_b32 s63, s61, exec_lo
	s_delay_alu instid0(SALU_CYCLE_1)
	s_or_b32 s60, s60, s63
	s_and_not1_b32 exec_lo, exec_lo, s41
	s_cbranch_execz .LBB10_1425
.LBB10_1421:                            ;   Parent Loop BB10_47 Depth=1
                                        ;     Parent Loop BB10_1364 Depth=2
                                        ; =>    This Inner Loop Header: Depth=3
	s_add_co_i32 s62, s62, 1
	s_delay_alu instid0(SALU_CYCLE_1) | instskip(SKIP_1) | instid1(SALU_CYCLE_1)
	s_cmp_lg_u32 s62, 0x2710
	s_cselect_b32 s63, -1, 0
	s_and_b32 vcc_lo, exec_lo, s63
	s_cbranch_vccz .LBB10_1423
; %bb.1422:                             ;   in Loop: Header=BB10_1421 Depth=3
	s_mov_b32 s73, -1
	s_or_b32 s61, s61, exec_lo
	s_and_saveexec_b32 s72, s63
	s_cbranch_execz .LBB10_1420
	s_branch .LBB10_1424
.LBB10_1423:                            ;   in Loop: Header=BB10_1421 Depth=3
	s_trap 2
	ds_load_b64 v[8:9], v0
	s_and_not1_b32 s63, s63, exec_lo
	s_mov_b32 s62, 0
	s_wait_storecnt 0x0
	s_wait_loadcnt_dscnt 0x0
	flat_load_b32 v2, v[8:9] scope:SCOPE_SYS
	s_wait_loadcnt_dscnt 0x0
	global_inv scope:SCOPE_SYS
	v_cmp_eq_u32_e32 vcc_lo, 0, v2
	s_and_b32 s72, vcc_lo, exec_lo
	s_delay_alu instid0(SALU_CYCLE_1)
	s_or_b32 s63, s63, s72
	s_mov_b32 s73, -1
	s_or_b32 s61, s61, exec_lo
	s_and_saveexec_b32 s72, s63
	s_cbranch_execz .LBB10_1420
.LBB10_1424:                            ;   in Loop: Header=BB10_1421 Depth=3
	s_sleep 1
	s_trap 2
	ds_load_b64 v[8:9], v0
	s_wait_dscnt 0x0
	s_and_not1_b32 s61, s61, exec_lo
	v_cmp_ge_u64_e32 vcc_lo, v[8:9], v[80:81]
	s_or_not1_b32 s73, vcc_lo, exec_lo
	s_branch .LBB10_1420
.LBB10_1425:                            ;   in Loop: Header=BB10_1364 Depth=2
	s_or_b32 exec_lo, exec_lo, s41
	s_and_saveexec_b32 s41, s60
	s_delay_alu instid0(SALU_CYCLE_1)
	s_xor_b32 s41, exec_lo, s41
	s_cbranch_execz .LBB10_1427
; %bb.1426:                             ;   in Loop: Header=BB10_1364 Depth=2
	ds_store_b32 v0, v121
	s_trap 2
.LBB10_1427:                            ;   in Loop: Header=BB10_1364 Depth=2
	s_or_b32 exec_lo, exec_lo, s40
	;;#ASMSTART
	s_wakeup
	;;#ASMEND
.LBB10_1428:                            ;   in Loop: Header=BB10_1364 Depth=2
	s_or_b32 exec_lo, exec_lo, s27
.LBB10_1429:                            ;   in Loop: Header=BB10_1364 Depth=2
	s_and_not1_saveexec_b32 s18, s18
	s_cbranch_execz .LBB10_1431
; %bb.1430:                             ;   in Loop: Header=BB10_1364 Depth=2
	;;#ASMSTART
	s_waitcnt lgkmcnt(0) vmcnt(0)
	;;#ASMEND
	s_barrier_signal -1
	s_barrier_wait -1
.LBB10_1431:                            ;   in Loop: Header=BB10_1364 Depth=2
	s_or_b32 exec_lo, exec_lo, s18
	v_and_b32_e32 v2, 16, v30
.LBB10_1432:                            ;   in Loop: Header=BB10_1364 Depth=2
	s_or_b32 exec_lo, exec_lo, s13
	s_delay_alu instid0(VALU_DEP_1) | instskip(SKIP_1) | instid1(SALU_CYCLE_1)
	v_cmp_ne_u32_e32 vcc_lo, 0, v2
	s_xor_b32 s13, s4, -1
	s_and_b32 s18, vcc_lo, s13
	s_delay_alu instid0(SALU_CYCLE_1)
	s_and_saveexec_b32 s13, s18
	s_cbranch_execz .LBB10_1434
; %bb.1433:                             ;   in Loop: Header=BB10_1364 Depth=2
	global_wb scope:SCOPE_SYS
	s_wait_storecnt 0x0
	s_wait_loadcnt_dscnt 0x0
	flat_store_b32 v[70:71], v121 scope:SCOPE_SYS
.LBB10_1434:                            ;   in Loop: Header=BB10_1364 Depth=2
	s_wait_xcnt 0x0
	s_or_b32 exec_lo, exec_lo, s13
	v_and_b32_e32 v2, 48, v30
	s_mov_b32 s13, exec_lo
	s_delay_alu instid0(VALU_DEP_1)
	v_cmpx_ne_u32_e32 0, v2
	s_cbranch_execz .LBB10_1363
; %bb.1435:                             ;   in Loop: Header=BB10_1364 Depth=2
	v_add_nc_u64_e32 v[60:61], 2, v[60:61]
	global_wb scope:SCOPE_SYS
	s_wait_storecnt 0x0
	s_wait_loadcnt_dscnt 0x0
	flat_store_b64 v[64:65], v[60:61] scope:SCOPE_SYS
	s_branch .LBB10_1363
.LBB10_1436:                            ;   in Loop: Header=BB10_47 Depth=1
	s_or_b32 exec_lo, exec_lo, s15
.LBB10_1437:                            ;   in Loop: Header=BB10_47 Depth=1
	s_delay_alu instid0(SALU_CYCLE_1) | instskip(NEXT) | instid1(SALU_CYCLE_1)
	s_or_b32 exec_lo, exec_lo, s14
	s_and_not1_b32 vcc_lo, exec_lo, s46
	s_cbranch_vccnz .LBB10_1698
; %bb.1438:                             ;   in Loop: Header=BB10_47 Depth=1
	s_mov_b32 s18, 1
.LBB10_1439:                            ;   Parent Loop BB10_47 Depth=1
                                        ; =>  This Loop Header: Depth=2
                                        ;       Child Loop BB10_1442 Depth 3
                                        ;         Child Loop BB10_1450 Depth 4
                                        ;         Child Loop BB10_1478 Depth 4
	;; [unrolled: 1-line block ×5, first 2 shown]
                                        ;           Child Loop BB10_1530 Depth 5
                                        ;         Child Loop BB10_1539 Depth 4
                                        ;         Child Loop BB10_1544 Depth 4
                                        ;           Child Loop BB10_1545 Depth 5
                                        ;         Child Loop BB10_1557 Depth 4
                                        ;         Child Loop BB10_1562 Depth 4
	;; [unrolled: 1-line block ×6, first 2 shown]
                                        ;       Child Loop BB10_1623 Depth 3
                                        ;         Child Loop BB10_1629 Depth 4
                                        ;         Child Loop BB10_1657 Depth 4
	;; [unrolled: 1-line block ×3, first 2 shown]
	s_delay_alu instid0(SALU_CYCLE_1) | instskip(SKIP_4) | instid1(SALU_CYCLE_1)
	s_sub_co_i32 s13, s44, s18
	s_mov_b32 s60, 0
	s_cmp_ge_i32 s13, s16
	v_mov_b32_e32 v14, 0
	s_cselect_b32 s14, s16, 0
	s_sub_co_i32 s14, s13, s14
	s_delay_alu instid0(SALU_CYCLE_1) | instskip(NEXT) | instid1(SALU_CYCLE_1)
	s_ashr_i32 s15, s14, 31
	v_mul_u64_e32 v[8:9], s[14:15], v[58:59]
	s_delay_alu instid0(VALU_DEP_1) | instskip(NEXT) | instid1(VALU_DEP_1)
	v_sub_nc_u64_e32 v[10:11], v[62:63], v[8:9]
	v_min_i64 v[10:11], v[58:59], v[10:11]
	s_delay_alu instid0(VALU_DEP_1) | instskip(SKIP_1) | instid1(VALU_DEP_2)
	v_max_i32_e32 v34, 0, v10
	v_cmp_lt_i32_e32 vcc_lo, 0, v10
	v_add_nc_u32_e32 v2, 31, v34
	s_and_b32 s13, s57, vcc_lo
	s_delay_alu instid0(VALU_DEP_1) | instskip(NEXT) | instid1(VALU_DEP_1)
	v_lshrrev_b32_e32 v2, 1, v2
	v_and_b32_e32 v11, 0x3ffffff0, v2
	s_delay_alu instid0(VALU_DEP_1)
	v_dual_mov_b32 v2, 0 :: v_dual_max_i32 v12, s45, v11
	s_and_saveexec_b32 s27, s13
	s_cbranch_execz .LBB10_1620
; %bb.1440:                             ;   in Loop: Header=BB10_1439 Depth=2
	v_add_nc_u64_e32 v[8:9], v[8:9], v[72:73]
	v_mov_b32_e32 v14, 0
	s_mov_b32 s62, 1
	s_mov_b32 s61, -1
	s_delay_alu instid0(VALU_DEP_2)
	v_lshlrev_b64_e32 v[16:17], 1, v[8:9]
	s_branch .LBB10_1442
.LBB10_1441:                            ;   in Loop: Header=BB10_1442 Depth=3
	s_wait_xcnt 0x0
	s_or_b32 exec_lo, exec_lo, s13
	v_dual_add_nc_u32 v14, v12, v14 :: v_dual_mov_b32 v2, s62
	s_xor_b32 s13, s61, -1
	s_mov_b32 s61, 0
	s_mov_b32 s62, 2
	s_delay_alu instid0(VALU_DEP_1) | instskip(SKIP_1) | instid1(SALU_CYCLE_1)
	v_cmp_ge_i32_e32 vcc_lo, v14, v34
	s_or_b32 s13, s13, vcc_lo
	s_and_b32 s13, exec_lo, s13
	s_delay_alu instid0(SALU_CYCLE_1) | instskip(NEXT) | instid1(SALU_CYCLE_1)
	s_or_b32 s60, s13, s60
	s_and_not1_b32 exec_lo, exec_lo, s60
	s_cbranch_execz .LBB10_1619
.LBB10_1442:                            ;   Parent Loop BB10_47 Depth=1
                                        ;     Parent Loop BB10_1439 Depth=2
                                        ; =>    This Loop Header: Depth=3
                                        ;         Child Loop BB10_1450 Depth 4
                                        ;         Child Loop BB10_1478 Depth 4
                                        ;         Child Loop BB10_1497 Depth 4
                                        ;         Child Loop BB10_1524 Depth 4
                                        ;         Child Loop BB10_1529 Depth 4
                                        ;           Child Loop BB10_1530 Depth 5
                                        ;         Child Loop BB10_1539 Depth 4
                                        ;         Child Loop BB10_1544 Depth 4
                                        ;           Child Loop BB10_1545 Depth 5
                                        ;         Child Loop BB10_1557 Depth 4
                                        ;         Child Loop BB10_1562 Depth 4
	;; [unrolled: 1-line block ×6, first 2 shown]
	s_and_saveexec_b32 s13, s0
	s_cbranch_execz .LBB10_1444
; %bb.1443:                             ;   in Loop: Header=BB10_1442 Depth=3
	s_trap 2
	ds_load_b128 v[8:11], v0
	s_wait_dscnt 0x0
	v_cmp_ne_u64_e32 vcc_lo, 0, v[10:11]
	v_ashrrev_i32_e32 v15, 31, v14
	v_add_nc_u64_e32 v[20:21], v[10:11], v[16:17]
	v_add_nc_u64_e32 v[8:9], v[8:9], v[16:17]
	s_delay_alu instid0(VALU_DEP_3) | instskip(NEXT) | instid1(VALU_DEP_1)
	v_lshlrev_b64_e32 v[18:19], 1, v[14:15]
	v_add_nc_u64_e32 v[20:21], v[20:21], v[18:19]
	s_delay_alu instid0(VALU_DEP_3) | instskip(NEXT) | instid1(VALU_DEP_2)
	v_add_nc_u64_e32 v[8:9], v[8:9], v[18:19]
	v_dual_cndmask_b32 v11, 0, v21 :: v_dual_cndmask_b32 v10, 0, v20
	ds_store_b64 v0, v[8:9]
	ds_store_b64 v0, v[10:11]
.LBB10_1444:                            ;   in Loop: Header=BB10_1442 Depth=3
	s_or_b32 exec_lo, exec_lo, s13
	v_sub_nc_u32_e32 v2, v34, v14
	v_and_b32_e32 v8, 12, v30
	s_mov_b32 s14, exec_lo
	s_delay_alu instid0(VALU_DEP_2) | instskip(NEXT) | instid1(VALU_DEP_2)
	v_min_i32_e32 v12, v12, v2
	v_cmpx_ne_u32_e32 0, v8
	s_cbranch_execz .LBB10_1470
; %bb.1445:                             ;   in Loop: Header=BB10_1442 Depth=3
	v_and_b32_e32 v2, 8, v30
	v_add_nc_u64_e32 v[8:9], 2, v[60:61]
	s_mov_b32 s15, exec_lo
	s_wait_loadcnt_dscnt 0x1
	s_delay_alu instid0(VALU_DEP_2) | instskip(NEXT) | instid1(VALU_DEP_1)
	v_add_nc_u64_e32 v[10:11], v[82:83], v[2:3]
	v_cmpx_lt_u64_e64 v[10:11], v[8:9]
	s_cbranch_execz .LBB10_1457
; %bb.1446:                             ;   in Loop: Header=BB10_1442 Depth=3
	v_and_b32_e32 v10, 64, v30
	s_mov_b32 s40, 0
	s_mov_b32 s73, 0
                                        ; implicit-def: $sgpr41
                                        ; implicit-def: $sgpr63
                                        ; implicit-def: $sgpr72
	s_delay_alu instid0(VALU_DEP_1)
	v_cmp_eq_u32_e32 vcc_lo, 0, v10
	s_branch .LBB10_1450
.LBB10_1447:                            ;   in Loop: Header=BB10_1450 Depth=4
	s_wait_loadcnt_dscnt 0x0
	v_add_nc_u64_e32 v[18:19], v[82:83], v[2:3]
	s_or_b32 s76, s76, exec_lo
	s_delay_alu instid0(VALU_DEP_1)
	v_cmp_ge_u64_e64 s13, v[18:19], v[8:9]
	s_or_not1_b32 s75, s13, exec_lo
.LBB10_1448:                            ;   in Loop: Header=BB10_1450 Depth=4
	s_or_b32 exec_lo, exec_lo, s78
	s_delay_alu instid0(SALU_CYCLE_1)
	s_and_not1_b32 s13, s72, exec_lo
	s_and_b32 s72, s76, exec_lo
	s_and_not1_b32 s63, s63, exec_lo
	s_and_b32 s75, s75, exec_lo
	s_or_b32 s72, s13, s72
	s_or_b32 s63, s63, s75
.LBB10_1449:                            ;   in Loop: Header=BB10_1450 Depth=4
	s_or_b32 exec_lo, exec_lo, s74
	s_delay_alu instid0(SALU_CYCLE_1) | instskip(NEXT) | instid1(SALU_CYCLE_1)
	s_and_b32 s13, exec_lo, s63
	s_or_b32 s40, s13, s40
	s_and_not1_b32 s13, s41, exec_lo
	s_and_b32 s41, s72, exec_lo
	s_delay_alu instid0(SALU_CYCLE_1)
	s_or_b32 s41, s13, s41
	s_and_not1_b32 exec_lo, exec_lo, s40
	s_cbranch_execz .LBB10_1454
.LBB10_1450:                            ;   Parent Loop BB10_47 Depth=1
                                        ;     Parent Loop BB10_1439 Depth=2
                                        ;       Parent Loop BB10_1442 Depth=3
                                        ; =>      This Inner Loop Header: Depth=4
	s_sleep 1
	s_wait_loadcnt_dscnt 0x0
	flat_load_b64 v[82:83], v[64:65] scope:SCOPE_SYS
	s_or_b32 s72, s72, exec_lo
	s_or_b32 s63, s63, exec_lo
                                        ; implicit-def: $vgpr10
	s_wait_xcnt 0x0
	s_and_saveexec_b32 s74, vcc_lo
	s_cbranch_execz .LBB10_1449
; %bb.1451:                             ;   in Loop: Header=BB10_1450 Depth=4
	s_cmp_lt_i32 s73, 0x270f
	s_mov_b32 s75, -1
	s_cselect_b32 s77, -1, 0
	s_cmp_gt_i32 s73, 0x270e
	s_cbranch_scc0 .LBB10_1453
; %bb.1452:                             ;   in Loop: Header=BB10_1450 Depth=4
	s_trap 2
	ds_load_b64 v[10:11], v0
	s_and_not1_b32 s73, s77, exec_lo
	s_mov_b32 s76, 0
	s_wait_storecnt 0x0
	s_wait_loadcnt_dscnt 0x0
	flat_load_b32 v10, v[10:11] scope:SCOPE_SYS
	s_wait_loadcnt_dscnt 0x0
	global_inv scope:SCOPE_SYS
	v_cmp_eq_u32_e64 s13, 0, v10
	s_and_b32 s13, s13, exec_lo
	s_delay_alu instid0(SALU_CYCLE_1)
	s_or_b32 s77, s73, s13
	s_mov_b32 s73, 0
	s_and_saveexec_b32 s78, s77
	s_cbranch_execz .LBB10_1448
	s_branch .LBB10_1447
.LBB10_1453:                            ;   in Loop: Header=BB10_1450 Depth=4
	s_add_co_i32 s73, s73, 1
	s_mov_b32 s76, -1
                                        ; implicit-def: $vgpr10
	s_and_saveexec_b32 s78, s77
	s_cbranch_execz .LBB10_1448
	s_branch .LBB10_1447
.LBB10_1454:                            ;   in Loop: Header=BB10_1442 Depth=3
	s_or_b32 exec_lo, exec_lo, s40
	s_xor_b32 s13, s41, -1
	s_delay_alu instid0(SALU_CYCLE_1) | instskip(NEXT) | instid1(SALU_CYCLE_1)
	s_and_saveexec_b32 s40, s13
	s_xor_b32 s13, exec_lo, s40
	s_cbranch_execz .LBB10_1456
; %bb.1455:                             ;   in Loop: Header=BB10_1442 Depth=3
	v_or_b32_e32 v30, 64, v30
	s_wait_storecnt 0x0
	s_wait_loadcnt_dscnt 0x0
	ds_store_b32 v0, v10
	s_trap 2
.LBB10_1456:                            ;   in Loop: Header=BB10_1442 Depth=3
	s_or_b32 exec_lo, exec_lo, s13
.LBB10_1457:                            ;   in Loop: Header=BB10_1442 Depth=3
	s_delay_alu instid0(SALU_CYCLE_1) | instskip(SKIP_2) | instid1(VALU_DEP_1)
	s_or_b32 exec_lo, exec_lo, s15
	v_and_b32_e32 v10, 0x108, v30
	;;#ASMSTART
	s_wakeup
	;;#ASMEND
	v_cmp_ne_u32_e32 vcc_lo, 0x108, v10
                                        ; implicit-def: $vgpr10_vgpr11
	s_and_saveexec_b32 s13, vcc_lo
	s_delay_alu instid0(SALU_CYCLE_1)
	s_xor_b32 s13, exec_lo, s13
; %bb.1458:                             ;   in Loop: Header=BB10_1442 Depth=3
	v_dual_mov_b32 v11, v3 :: v_dual_bitop2_b32 v10, 7, v60 bitop3:0x40
                                        ; implicit-def: $vgpr60_vgpr61
; %bb.1459:                             ;   in Loop: Header=BB10_1442 Depth=3
	s_and_not1_saveexec_b32 s13, s13
	s_cbranch_execz .LBB10_1461
; %bb.1460:                             ;   in Loop: Header=BB10_1442 Depth=3
	v_dual_mov_b32 v11, v3 :: v_dual_bitop2_b32 v10, 7, v60 bitop3:0x40
	v_ashrrev_i32_e32 v13, 31, v12
	s_delay_alu instid0(VALU_DEP_2) | instskip(NEXT) | instid1(VALU_DEP_2)
	v_mad_nc_u64_u32 v[18:19], v10, 24, v[6:7]
	v_lshlrev_b64_e32 v[20:21], 1, v[12:13]
	flat_store_b64 v[18:19], v[20:21] offset:8
.LBB10_1461:                            ;   in Loop: Header=BB10_1442 Depth=3
	s_wait_xcnt 0x0
	s_or_b32 exec_lo, exec_lo, s13
	v_and_b32_e32 v13, 0x100, v30
	s_mov_b32 s13, -1
	s_mov_b32 s15, exec_lo
                                        ; implicit-def: $vgpr18_vgpr19
	s_delay_alu instid0(VALU_DEP_1)
	v_cmpx_ne_u32_e32 0, v13
	s_cbranch_execz .LBB10_1465
; %bb.1462:                             ;   in Loop: Header=BB10_1442 Depth=3
	v_mad_nc_u64_u32 v[20:21], v10, 24, v[6:7]
	s_mov_b32 s40, exec_lo
                                        ; implicit-def: $vgpr18_vgpr19
	s_delay_alu instid0(VALU_DEP_1)
	v_mad_u32 v21, v11, 24, v21
	flat_load_b32 v13, v[20:21]
	s_wait_loadcnt_dscnt 0x0
	v_cmp_ne_u32_e32 vcc_lo, 1, v13
	s_wait_xcnt 0x0
	v_cmpx_eq_u32_e32 1, v13
	s_cbranch_execz .LBB10_1464
; %bb.1463:                             ;   in Loop: Header=BB10_1442 Depth=3
	flat_load_b32 v18, v[20:21] offset:4 scope:SCOPE_SYS
	s_wait_loadcnt_dscnt 0x0
	v_ashrrev_i32_e32 v19, 31, v18
	s_delay_alu instid0(VALU_DEP_1)
	v_lshrrev_b64 v[18:19], 1, v[18:19]
.LBB10_1464:                            ;   in Loop: Header=BB10_1442 Depth=3
	s_wait_xcnt 0x0
	s_or_b32 exec_lo, exec_lo, s40
	s_delay_alu instid0(SALU_CYCLE_1)
	s_or_not1_b32 s13, vcc_lo, exec_lo
.LBB10_1465:                            ;   in Loop: Header=BB10_1442 Depth=3
	s_or_b32 exec_lo, exec_lo, s15
	s_and_saveexec_b32 s15, s13
; %bb.1466:                             ;   in Loop: Header=BB10_1442 Depth=3
	v_mul_u64_e32 v[18:19], v[10:11], v[66:67]
; %bb.1467:                             ;   in Loop: Header=BB10_1442 Depth=3
	s_or_b32 exec_lo, exec_lo, s15
	v_cmp_eq_u32_e32 vcc_lo, 0, v2
	v_and_b32_e32 v13, 0x2000, v30
	s_delay_alu instid0(VALU_DEP_3) | instskip(SKIP_2) | instid1(VALU_DEP_1)
	v_lshl_add_u64 v[10:11], v[18:19], 1, v[68:69]
	s_mov_b32 s13, exec_lo
	v_cndmask_b32_e32 v2, 0xd0, v123, vcc_lo
	v_add_nc_u32_e32 v2, v0, v2
	ds_store_b64 v2, v[10:11] offset:584
	v_cmpx_ne_u32_e32 0, v13
	s_cbranch_execz .LBB10_1469
; %bb.1468:                             ;   in Loop: Header=BB10_1442 Depth=3
	ds_load_b64 v[10:11], v0 offset:872
	s_wait_dscnt 0x0
	v_add_nc_u64_e32 v[10:11], 1, v[10:11]
	ds_store_b64 v0, v[10:11] offset:872
.LBB10_1469:                            ;   in Loop: Header=BB10_1442 Depth=3
	s_or_b32 exec_lo, exec_lo, s13
	v_mov_b64_e32 v[60:61], v[8:9]
.LBB10_1470:                            ;   in Loop: Header=BB10_1442 Depth=3
	s_or_b32 exec_lo, exec_lo, s14
	s_and_saveexec_b32 s13, s2
	s_cbranch_execz .LBB10_1489
; %bb.1471:                             ;   in Loop: Header=BB10_1442 Depth=3
	s_and_saveexec_b32 s14, s3
	s_delay_alu instid0(SALU_CYCLE_1)
	s_xor_b32 s14, exec_lo, s14
	s_cbranch_execz .LBB10_1486
; %bb.1472:                             ;   in Loop: Header=BB10_1442 Depth=3
	s_and_saveexec_b32 s15, s6
	s_cbranch_execz .LBB10_1485
; %bb.1473:                             ;   in Loop: Header=BB10_1442 Depth=3
	s_mov_b32 s41, exec_lo
	s_mov_b32 s40, exec_lo
	v_mbcnt_lo_u32_b32 v2, s41, 0
	global_wb scope:SCOPE_DEV
	s_wait_storecnt 0x0
	s_wait_loadcnt_dscnt 0x0
	global_inv scope:SCOPE_DEV
	v_cmpx_eq_u32_e32 0, v2
	s_cbranch_execz .LBB10_1475
; %bb.1474:                             ;   in Loop: Header=BB10_1442 Depth=3
	s_bcnt1_i32_b32 s41, s41
	s_delay_alu instid0(SALU_CYCLE_1)
	v_mov_b32_e32 v2, s41
	s_wait_loadcnt 0x0
	ds_add_u64 v0, v[2:3]
	s_trap 2
.LBB10_1475:                            ;   in Loop: Header=BB10_1442 Depth=3
	s_or_b32 exec_lo, exec_lo, s40
	s_trap 2
	ds_load_b64 v[8:9], v0
	s_wait_dscnt 0x0
	v_add_nc_u64_e32 v[80:81], v[80:81], v[84:85]
	s_mov_b32 s40, exec_lo
	s_delay_alu instid0(VALU_DEP_1)
	v_cmpx_lt_u64_e64 v[8:9], v[80:81]
	s_cbranch_execz .LBB10_1484
; %bb.1476:                             ;   in Loop: Header=BB10_1442 Depth=3
	s_mov_b32 s41, 0
	s_mov_b32 s73, 0
                                        ; implicit-def: $sgpr63
                                        ; implicit-def: $sgpr72
	s_branch .LBB10_1478
.LBB10_1477:                            ;   in Loop: Header=BB10_1478 Depth=4
	s_or_b32 exec_lo, exec_lo, s75
	s_delay_alu instid0(SALU_CYCLE_1) | instskip(NEXT) | instid1(SALU_CYCLE_1)
	s_and_b32 s74, exec_lo, s76
	s_or_b32 s41, s74, s41
	s_and_not1_b32 s63, s63, exec_lo
	s_and_b32 s74, s72, exec_lo
	s_delay_alu instid0(SALU_CYCLE_1)
	s_or_b32 s63, s63, s74
	s_and_not1_b32 exec_lo, exec_lo, s41
	s_cbranch_execz .LBB10_1482
.LBB10_1478:                            ;   Parent Loop BB10_47 Depth=1
                                        ;     Parent Loop BB10_1439 Depth=2
                                        ;       Parent Loop BB10_1442 Depth=3
                                        ; =>      This Inner Loop Header: Depth=4
	s_add_co_i32 s73, s73, 1
	s_delay_alu instid0(SALU_CYCLE_1) | instskip(SKIP_1) | instid1(SALU_CYCLE_1)
	s_cmp_lg_u32 s73, 0x2710
	s_cselect_b32 s74, -1, 0
	s_and_b32 vcc_lo, exec_lo, s74
	s_cbranch_vccz .LBB10_1480
; %bb.1479:                             ;   in Loop: Header=BB10_1478 Depth=4
	s_mov_b32 s76, -1
	s_or_b32 s72, s72, exec_lo
	s_and_saveexec_b32 s75, s74
	s_cbranch_execz .LBB10_1477
	s_branch .LBB10_1481
.LBB10_1480:                            ;   in Loop: Header=BB10_1478 Depth=4
	s_trap 2
	ds_load_b64 v[8:9], v0
	s_and_not1_b32 s74, s74, exec_lo
	s_mov_b32 s73, 0
	s_wait_loadcnt_dscnt 0x0
	flat_load_b32 v2, v[8:9] scope:SCOPE_SYS
	s_wait_loadcnt_dscnt 0x0
	global_inv scope:SCOPE_SYS
	v_cmp_eq_u32_e32 vcc_lo, 0, v2
	s_and_b32 s75, vcc_lo, exec_lo
	s_delay_alu instid0(SALU_CYCLE_1)
	s_or_b32 s74, s74, s75
	s_mov_b32 s76, -1
	s_or_b32 s72, s72, exec_lo
	s_and_saveexec_b32 s75, s74
	s_cbranch_execz .LBB10_1477
.LBB10_1481:                            ;   in Loop: Header=BB10_1478 Depth=4
	s_sleep 1
	s_trap 2
	ds_load_b64 v[8:9], v0
	s_wait_dscnt 0x0
	s_and_not1_b32 s72, s72, exec_lo
	v_cmp_ge_u64_e32 vcc_lo, v[8:9], v[80:81]
	s_or_not1_b32 s76, vcc_lo, exec_lo
	s_branch .LBB10_1477
.LBB10_1482:                            ;   in Loop: Header=BB10_1442 Depth=3
	s_or_b32 exec_lo, exec_lo, s41
	s_and_saveexec_b32 s41, s63
	s_delay_alu instid0(SALU_CYCLE_1)
	s_xor_b32 s41, exec_lo, s41
	s_cbranch_execz .LBB10_1484
; %bb.1483:                             ;   in Loop: Header=BB10_1442 Depth=3
	ds_store_b32 v0, v121
	s_trap 2
.LBB10_1484:                            ;   in Loop: Header=BB10_1442 Depth=3
	s_or_b32 exec_lo, exec_lo, s40
	;;#ASMSTART
	s_wakeup
	;;#ASMEND
.LBB10_1485:                            ;   in Loop: Header=BB10_1442 Depth=3
	s_or_b32 exec_lo, exec_lo, s15
.LBB10_1486:                            ;   in Loop: Header=BB10_1442 Depth=3
	s_and_not1_saveexec_b32 s14, s14
	s_cbranch_execz .LBB10_1488
; %bb.1487:                             ;   in Loop: Header=BB10_1442 Depth=3
	global_wb scope:SCOPE_DEV
	s_wait_storecnt 0x0
	s_wait_loadcnt_dscnt 0x0
	global_inv scope:SCOPE_DEV
	s_barrier_signal -1
	s_barrier_wait -1
.LBB10_1488:                            ;   in Loop: Header=BB10_1442 Depth=3
	s_or_b32 exec_lo, exec_lo, s14
.LBB10_1489:                            ;   in Loop: Header=BB10_1442 Depth=3
	s_delay_alu instid0(SALU_CYCLE_1) | instskip(SKIP_4) | instid1(VALU_DEP_1)
	s_or_b32 exec_lo, exec_lo, s13
	s_trap 2
	ds_load_b32 v8, v0
	v_and_b32_e32 v2, 0x4000, v30
	s_xor_b32 s13, s1, -1
	v_cmp_ne_u32_e32 vcc_lo, 0, v2
	s_and_b32 s14, s13, vcc_lo
	s_delay_alu instid0(SALU_CYCLE_1)
	s_and_saveexec_b32 s13, s14
	s_cbranch_execz .LBB10_1508
; %bb.1490:                             ;   in Loop: Header=BB10_1442 Depth=3
	s_and_saveexec_b32 s14, s3
	s_delay_alu instid0(SALU_CYCLE_1)
	s_xor_b32 s14, exec_lo, s14
	s_cbranch_execz .LBB10_1505
; %bb.1491:                             ;   in Loop: Header=BB10_1442 Depth=3
	s_and_saveexec_b32 s15, s6
	s_cbranch_execz .LBB10_1504
; %bb.1492:                             ;   in Loop: Header=BB10_1442 Depth=3
	s_mov_b32 s41, exec_lo
	s_mov_b32 s40, exec_lo
	v_mbcnt_lo_u32_b32 v2, s41, 0
	global_wb scope:SCOPE_DEV
	s_wait_storecnt 0x0
	s_wait_loadcnt_dscnt 0x0
	global_inv scope:SCOPE_DEV
	v_cmpx_eq_u32_e32 0, v2
	s_cbranch_execz .LBB10_1494
; %bb.1493:                             ;   in Loop: Header=BB10_1442 Depth=3
	s_bcnt1_i32_b32 s41, s41
	s_delay_alu instid0(SALU_CYCLE_1)
	v_mov_b32_e32 v2, s41
	s_wait_loadcnt 0x0
	ds_add_u64 v0, v[2:3]
	s_trap 2
.LBB10_1494:                            ;   in Loop: Header=BB10_1442 Depth=3
	s_or_b32 exec_lo, exec_lo, s40
	s_trap 2
	ds_load_b64 v[10:11], v0
	s_wait_dscnt 0x0
	v_add_nc_u64_e32 v[80:81], v[80:81], v[84:85]
	s_mov_b32 s40, exec_lo
	s_delay_alu instid0(VALU_DEP_1)
	v_cmpx_lt_u64_e64 v[10:11], v[80:81]
	s_cbranch_execz .LBB10_1503
; %bb.1495:                             ;   in Loop: Header=BB10_1442 Depth=3
	s_mov_b32 s41, 0
	s_mov_b32 s73, 0
                                        ; implicit-def: $sgpr63
                                        ; implicit-def: $sgpr72
	s_branch .LBB10_1497
.LBB10_1496:                            ;   in Loop: Header=BB10_1497 Depth=4
	s_or_b32 exec_lo, exec_lo, s75
	s_delay_alu instid0(SALU_CYCLE_1) | instskip(NEXT) | instid1(SALU_CYCLE_1)
	s_and_b32 s74, exec_lo, s76
	s_or_b32 s41, s74, s41
	s_and_not1_b32 s63, s63, exec_lo
	s_and_b32 s74, s72, exec_lo
	s_delay_alu instid0(SALU_CYCLE_1)
	s_or_b32 s63, s63, s74
	s_and_not1_b32 exec_lo, exec_lo, s41
	s_cbranch_execz .LBB10_1501
.LBB10_1497:                            ;   Parent Loop BB10_47 Depth=1
                                        ;     Parent Loop BB10_1439 Depth=2
                                        ;       Parent Loop BB10_1442 Depth=3
                                        ; =>      This Inner Loop Header: Depth=4
	s_add_co_i32 s73, s73, 1
	s_delay_alu instid0(SALU_CYCLE_1) | instskip(SKIP_1) | instid1(SALU_CYCLE_1)
	s_cmp_lg_u32 s73, 0x2710
	s_cselect_b32 s74, -1, 0
	s_and_b32 vcc_lo, exec_lo, s74
	s_cbranch_vccz .LBB10_1499
; %bb.1498:                             ;   in Loop: Header=BB10_1497 Depth=4
	s_mov_b32 s76, -1
	s_or_b32 s72, s72, exec_lo
	s_and_saveexec_b32 s75, s74
	s_cbranch_execz .LBB10_1496
	s_branch .LBB10_1500
.LBB10_1499:                            ;   in Loop: Header=BB10_1497 Depth=4
	s_trap 2
	ds_load_b64 v[10:11], v0
	s_and_not1_b32 s74, s74, exec_lo
	s_mov_b32 s73, 0
	s_wait_loadcnt_dscnt 0x0
	flat_load_b32 v2, v[10:11] scope:SCOPE_SYS
	s_wait_loadcnt_dscnt 0x0
	global_inv scope:SCOPE_SYS
	v_cmp_eq_u32_e32 vcc_lo, 0, v2
	s_and_b32 s75, vcc_lo, exec_lo
	s_delay_alu instid0(SALU_CYCLE_1)
	s_or_b32 s74, s74, s75
	s_mov_b32 s76, -1
	s_or_b32 s72, s72, exec_lo
	s_and_saveexec_b32 s75, s74
	s_cbranch_execz .LBB10_1496
.LBB10_1500:                            ;   in Loop: Header=BB10_1497 Depth=4
	s_sleep 1
	s_trap 2
	ds_load_b64 v[10:11], v0
	s_wait_dscnt 0x0
	s_and_not1_b32 s72, s72, exec_lo
	v_cmp_ge_u64_e32 vcc_lo, v[10:11], v[80:81]
	s_or_not1_b32 s76, vcc_lo, exec_lo
	s_branch .LBB10_1496
.LBB10_1501:                            ;   in Loop: Header=BB10_1442 Depth=3
	s_or_b32 exec_lo, exec_lo, s41
	s_and_saveexec_b32 s41, s63
	s_delay_alu instid0(SALU_CYCLE_1)
	s_xor_b32 s41, exec_lo, s41
	s_cbranch_execz .LBB10_1503
; %bb.1502:                             ;   in Loop: Header=BB10_1442 Depth=3
	ds_store_b32 v0, v121
	s_trap 2
.LBB10_1503:                            ;   in Loop: Header=BB10_1442 Depth=3
	s_or_b32 exec_lo, exec_lo, s40
	;;#ASMSTART
	s_wakeup
	;;#ASMEND
.LBB10_1504:                            ;   in Loop: Header=BB10_1442 Depth=3
	s_or_b32 exec_lo, exec_lo, s15
.LBB10_1505:                            ;   in Loop: Header=BB10_1442 Depth=3
	s_and_not1_saveexec_b32 s14, s14
	s_cbranch_execz .LBB10_1507
; %bb.1506:                             ;   in Loop: Header=BB10_1442 Depth=3
	global_wb scope:SCOPE_DEV
	s_wait_storecnt 0x0
	s_wait_loadcnt_dscnt 0x0
	global_inv scope:SCOPE_DEV
	s_barrier_signal -1
	s_barrier_wait -1
.LBB10_1507:                            ;   in Loop: Header=BB10_1442 Depth=3
	s_or_b32 exec_lo, exec_lo, s14
.LBB10_1508:                            ;   in Loop: Header=BB10_1442 Depth=3
	s_delay_alu instid0(SALU_CYCLE_1)
	s_or_b32 exec_lo, exec_lo, s13
	s_trap 2
	ds_load_b64 v[18:19], v0
	s_wait_dscnt 0x0
	v_cmp_eq_u64_e32 vcc_lo, 0, v[18:19]
	s_cbranch_vccnz .LBB10_1517
; %bb.1509:                             ;   in Loop: Header=BB10_1442 Depth=3
	s_trap 2
	ds_load_b64 v[20:21], v0
	s_wait_dscnt 0x0
	v_cmp_eq_u64_e32 vcc_lo, 0, v[20:21]
	s_cbranch_vccnz .LBB10_1517
; %bb.1510:                             ;   in Loop: Header=BB10_1442 Depth=3
	s_trap 2
	ds_load_b64 v[22:23], v0
	v_cmp_eq_u32_e32 vcc_lo, 0, v8
	s_mov_b32 s13, -1
	v_cndmask_b32_e32 v2, 0, v12, vcc_lo
	s_delay_alu instid0(VALU_DEP_1)
	v_lshlrev_b32_e32 v13, 1, v2
	s_wait_dscnt 0x0
	v_cmp_ne_u64_e32 vcc_lo, 0, v[22:23]
	s_cbranch_vccz .LBB10_1548
; %bb.1511:                             ;   in Loop: Header=BB10_1442 Depth=3
	s_and_saveexec_b32 s14, s11
	s_cbranch_execz .LBB10_1513
; %bb.1512:                             ;   in Loop: Header=BB10_1442 Depth=3
	ds_load_b32 v8, v0 offset:720
	s_wait_dscnt 0x0
	v_and_b32_e32 v8, 15, v8
	s_delay_alu instid0(VALU_DEP_1)
	v_cmp_eq_u32_e32 vcc_lo, 0, v8
	s_or_not1_b32 s13, vcc_lo, exec_lo
.LBB10_1513:                            ;   in Loop: Header=BB10_1442 Depth=3
	s_or_b32 exec_lo, exec_lo, s14
	s_and_saveexec_b32 s14, s12
	s_cbranch_execz .LBB10_1515
; %bb.1514:                             ;   in Loop: Header=BB10_1442 Depth=3
	ds_load_b32 v8, v0 offset:784
	s_wait_dscnt 0x0
	v_and_b32_e32 v8, 15, v8
	s_delay_alu instid0(VALU_DEP_1) | instskip(SKIP_3) | instid1(SALU_CYCLE_1)
	v_cmp_eq_u32_e32 vcc_lo, 0, v8
	s_and_b32 s15, s13, vcc_lo
	s_and_not1_b32 s13, s13, exec_lo
	s_and_b32 s15, s15, exec_lo
	s_or_b32 s13, s13, s15
.LBB10_1515:                            ;   in Loop: Header=BB10_1442 Depth=3
	s_or_b32 exec_lo, exec_lo, s14
	s_xor_b32 s13, s13, -1
	v_dual_mov_b32 v26, 0 :: v_dual_mov_b32 v15, v13
	v_cndmask_b32_e64 v8, 0, 1, s13
	v_mov_b32_e32 v27, v0
	s_mov_b32 s13, -1
	s_delay_alu instid0(VALU_DEP_2)
	v_cmp_ne_u32_e32 vcc_lo, 0, v8
	v_mov_b32_e32 v8, v124
	s_cbranch_vccz .LBB10_1522
; %bb.1516:                             ;   in Loop: Header=BB10_1442 Depth=3
	s_and_saveexec_b32 s15, s13
	s_cbranch_execnz .LBB10_1537
	s_branch .LBB10_1547
.LBB10_1517:                            ;   in Loop: Header=BB10_1442 Depth=3
	s_mov_b32 s13, 0
	s_and_saveexec_b32 s14, s2
	s_cbranch_execnz .LBB10_1578
.LBB10_1518:                            ;   in Loop: Header=BB10_1442 Depth=3
	s_or_b32 exec_lo, exec_lo, s14
                                        ; implicit-def: $vgpr2
	s_and_saveexec_b32 s14, s10
	s_delay_alu instid0(SALU_CYCLE_1)
	s_xor_b32 s14, exec_lo, s14
	s_cbranch_execz .LBB10_1596
.LBB10_1519:                            ;   in Loop: Header=BB10_1442 Depth=3
	v_and_b32_e32 v2, 16, v30
	s_delay_alu instid0(VALU_DEP_1) | instskip(SKIP_2) | instid1(SALU_CYCLE_1)
	v_cmp_ne_u32_e32 vcc_lo, 0, v2
	v_and_b32_e32 v2, 16, v30
	s_and_b32 s15, vcc_lo, s13
	s_and_saveexec_b32 s13, s15
	s_cbranch_execz .LBB10_1521
; %bb.1520:                             ;   in Loop: Header=BB10_1442 Depth=3
	v_mov_b32_e32 v2, 1
	global_wb scope:SCOPE_SYS
	s_wait_storecnt 0x0
	s_wait_loadcnt_dscnt 0x0
	global_inv scope:SCOPE_SYS
.LBB10_1521:                            ;   in Loop: Header=BB10_1442 Depth=3
	s_or_b32 exec_lo, exec_lo, s13
	s_and_not1_saveexec_b32 s13, s14
	s_cbranch_execz .LBB10_1615
	s_branch .LBB10_1597
.LBB10_1522:                            ;   in Loop: Header=BB10_1442 Depth=3
	v_ashrrev_i32_e32 v8, 31, v13
	s_mov_b32 s13, exec_lo
	s_delay_alu instid0(VALU_DEP_1) | instskip(NEXT) | instid1(VALU_DEP_1)
	v_lshrrev_b32_e32 v8, 21, v8
	v_add_nc_u32_e32 v8, v13, v8
	s_delay_alu instid0(VALU_DEP_1) | instskip(NEXT) | instid1(VALU_DEP_1)
	v_ashrrev_i32_e32 v15, 11, v8
	v_sub_nc_u32_e32 v32, v15, v124
	s_delay_alu instid0(VALU_DEP_1)
	v_cmpx_lt_i32_e32 0, v32
	s_cbranch_execz .LBB10_1526
; %bb.1523:                             ;   in Loop: Header=BB10_1442 Depth=3
	v_add_nc_u64_e32 v[8:9], v[18:19], v[56:57]
	v_add_nc_u64_e32 v[10:11], v[20:21], v[56:57]
	;; [unrolled: 1-line block ×3, first 2 shown]
	s_mov_b32 s14, 0
.LBB10_1524:                            ;   Parent Loop BB10_47 Depth=1
                                        ;     Parent Loop BB10_1439 Depth=2
                                        ;       Parent Loop BB10_1442 Depth=3
                                        ; =>      This Inner Loop Header: Depth=4
	s_clause 0x3
	global_load_b128 v[36:39], v[8:9], off th:TH_LOAD_NT
	global_load_b128 v[48:51], v[8:9], off offset:512 th:TH_LOAD_NT
	global_load_b128 v[96:99], v[8:9], off offset:1024 th:TH_LOAD_NT
	;; [unrolled: 1-line block ×3, first 2 shown]
	v_sub_nc_u32_e32 v32, v32, v84
	s_wait_xcnt 0x0
	v_add_nc_u64_e32 v[8:9], v[8:9], v[116:117]
	s_wait_loadcnt 0x3
	global_store_b128 v[10:11], v[36:39], off th:TH_STORE_NT
	s_wait_loadcnt 0x2
	global_store_b128 v[10:11], v[48:51], off offset:512 th:TH_STORE_NT
	s_wait_loadcnt 0x1
	global_store_b128 v[10:11], v[96:99], off offset:1024 th:TH_STORE_NT
	;; [unrolled: 2-line block ×3, first 2 shown]
	s_clause 0x3
	global_store_b128 v[24:25], v[36:39], off th:TH_STORE_NT
	global_store_b128 v[24:25], v[48:51], off offset:512 th:TH_STORE_NT
	global_store_b128 v[24:25], v[96:99], off offset:1024 th:TH_STORE_NT
	;; [unrolled: 1-line block ×3, first 2 shown]
	v_cmp_gt_i32_e32 vcc_lo, 1, v32
	s_wait_xcnt 0x4
	v_add_nc_u64_e32 v[10:11], v[10:11], v[116:117]
	s_wait_xcnt 0x0
	v_add_nc_u64_e32 v[24:25], v[24:25], v[116:117]
	s_or_b32 s14, vcc_lo, s14
	s_delay_alu instid0(SALU_CYCLE_1)
	s_and_not1_b32 exec_lo, exec_lo, s14
	s_cbranch_execnz .LBB10_1524
; %bb.1525:                             ;   in Loop: Header=BB10_1442 Depth=3
	s_or_b32 exec_lo, exec_lo, s14
.LBB10_1526:                            ;   in Loop: Header=BB10_1442 Depth=3
	s_delay_alu instid0(SALU_CYCLE_1) | instskip(SKIP_3) | instid1(VALU_DEP_1)
	s_or_b32 exec_lo, exec_lo, s13
	v_dual_mov_b32 v26, 0 :: v_dual_lshlrev_b32 v35, 11, v15
	s_mov_b32 s13, 0
	s_mov_b32 s63, exec_lo
                                        ; implicit-def: $vgpr15
                                        ; implicit-def: $vgpr27
                                        ; implicit-def: $vgpr8
	v_cmpx_ne_u32_e64 v13, v35
	s_cbranch_execz .LBB10_1536
; %bb.1527:                             ;   in Loop: Header=BB10_1442 Depth=3
	v_dual_lshlrev_b32 v8, 5, v32 :: v_dual_sub_nc_u32 v10, v13, v35
	s_mov_b32 s72, exec_lo
	s_delay_alu instid0(VALU_DEP_1) | instskip(NEXT) | instid1(VALU_DEP_1)
	v_dual_sub_nc_u32 v8, v125, v8 :: v_dual_ashrrev_i32 v11, 31, v10
	v_dual_ashrrev_i32 v9, 31, v8 :: v_dual_lshrrev_b32 v11, 23, v11
	s_delay_alu instid0(VALU_DEP_1) | instskip(NEXT) | instid1(VALU_DEP_1)
	v_lshrrev_b32_e32 v9, 27, v9
	v_dual_add_nc_u32 v9, v8, v9 :: v_dual_add_nc_u32 v11, v10, v11
	s_delay_alu instid0(VALU_DEP_1) | instskip(SKIP_1) | instid1(VALU_DEP_3)
	v_and_b32_e32 v15, 0xffffffe0, v9
	v_ashrrev_i32_e32 v9, 5, v9
	v_and_b32_e32 v36, 0xfffffe00, v11
	v_ashrrev_i32_e32 v11, 9, v11
	s_delay_alu instid0(VALU_DEP_2) | instskip(NEXT) | instid1(VALU_DEP_1)
	v_dual_sub_nc_u32 v37, v8, v15 :: v_dual_sub_nc_u32 v38, v10, v36
	v_lshlrev_b32_e32 v8, 4, v37
	s_delay_alu instid0(VALU_DEP_2) | instskip(NEXT) | instid1(VALU_DEP_2)
	v_cmp_lt_i32_e64 s13, 15, v38
	v_lshl_add_u32 v8, v9, 9, v8
	s_delay_alu instid0(VALU_DEP_2) | instskip(NEXT) | instid1(VALU_DEP_1)
	v_add_co_ci_u32_e64 v11, null, 0, v11, s13
	v_dual_sub_nc_u32 v15, v10, v8 :: v_dual_sub_nc_u32 v39, v11, v9
	s_delay_alu instid0(VALU_DEP_1)
	v_cmpx_lt_i32_e32 15, v15
	s_cbranch_execz .LBB10_1533
; %bb.1528:                             ;   in Loop: Header=BB10_1442 Depth=3
	v_add_nc_u32_e32 v8, v8, v35
	s_mov_b32 s73, 0
	s_delay_alu instid0(VALU_DEP_1) | instskip(NEXT) | instid1(VALU_DEP_1)
	v_ashrrev_i32_e32 v9, 31, v8
	v_add_nc_u64_e32 v[24:25], v[8:9], v[18:19]
	v_add_nc_u64_e32 v[26:27], v[8:9], v[20:21]
	;; [unrolled: 1-line block ×3, first 2 shown]
.LBB10_1529:                            ;   Parent Loop BB10_47 Depth=1
                                        ;     Parent Loop BB10_1439 Depth=2
                                        ;       Parent Loop BB10_1442 Depth=3
                                        ; =>      This Loop Header: Depth=4
                                        ;           Child Loop BB10_1530 Depth 5
	global_load_b128 v[8:11], v[24:25], off th:TH_LOAD_NT
	s_mov_b64 s[40:41], 0
	s_mov_b32 s74, -1
.LBB10_1530:                            ;   Parent Loop BB10_47 Depth=1
                                        ;     Parent Loop BB10_1439 Depth=2
                                        ;       Parent Loop BB10_1442 Depth=3
                                        ;         Parent Loop BB10_1529 Depth=4
                                        ; =>        This Inner Loop Header: Depth=5
	s_cmp_eq_u32 s40, 1
	s_cselect_b32 vcc_lo, -1, 0
	s_cmp_eq_u32 s40, 0
	s_wait_xcnt 0x0
	v_dual_cndmask_b32 v49, v27, v33 :: v_dual_cndmask_b32 v48, v26, v32
	s_cselect_b32 s14, -1, 0
	s_and_b32 s15, exec_lo, s74
	s_mov_b64 s[40:41], 1
	s_mov_b32 s74, 0
	v_add_nc_u64_e32 v[50:51], 0x200, v[48:49]
	s_wait_loadcnt 0x0
	global_store_b128 v[48:49], v[8:11], off th:TH_STORE_NT
	v_dual_cndmask_b32 v33, v33, v51 :: v_dual_cndmask_b32 v32, v32, v50
	v_dual_cndmask_b32 v27, v27, v51, s14 :: v_dual_cndmask_b32 v26, v26, v50, s14
	s_mov_b32 vcc_lo, s15
	s_cbranch_vccnz .LBB10_1530
; %bb.1531:                             ;   in Loop: Header=BB10_1529 Depth=4
	v_sub_nc_u32_e32 v15, v15, v102
	s_delay_alu instid0(VALU_DEP_2)
	v_add_nc_u64_e32 v[26:27], v[26:27], v[118:119]
	v_add_nc_u64_e32 v[32:33], v[32:33], v[118:119]
	s_wait_xcnt 0x1
	v_add_nc_u64_e32 v[24:25], v[42:43], v[24:25]
	v_sub_nc_u32_e32 v39, v39, v84
	v_cmp_gt_i32_e32 vcc_lo, 16, v15
	s_or_b32 s73, vcc_lo, s73
	s_wait_xcnt 0x0
	s_and_not1_b32 exec_lo, exec_lo, s73
	s_cbranch_execnz .LBB10_1529
; %bb.1532:                             ;   in Loop: Header=BB10_1442 Depth=3
	s_or_b32 exec_lo, exec_lo, s73
.LBB10_1533:                            ;   in Loop: Header=BB10_1442 Depth=3
	s_delay_alu instid0(SALU_CYCLE_1) | instskip(SKIP_3) | instid1(VALU_DEP_1)
	s_or_b32 exec_lo, exec_lo, s72
	v_dual_mov_b32 v26, 0 :: v_dual_bitop2_b32 v9, 14, v13 bitop3:0x40
	s_mov_b32 s14, 0
	s_mov_b32 s15, exec_lo
                                        ; implicit-def: $vgpr27
                                        ; implicit-def: $vgpr8
	v_cndmask_b32_e64 v15, v38, v9, s13
	s_delay_alu instid0(VALU_DEP_1)
	v_cmpx_ne_u32_e32 0, v15
	s_cbranch_execz .LBB10_1535
; %bb.1534:                             ;   in Loop: Header=BB10_1442 Depth=3
	v_cmp_lt_i32_e32 vcc_lo, 0, v39
	s_mov_b32 s14, exec_lo
	v_dual_cndmask_b32 v8, 0, v84 :: v_dual_sub_nc_u32 v9, v38, v9
	s_delay_alu instid0(VALU_DEP_1) | instskip(NEXT) | instid1(VALU_DEP_1)
	v_dual_cndmask_b32 v9, 0, v9, s13 :: v_dual_sub_nc_u32 v8, v8, v39
	v_add3_u32 v26, v36, v35, v9
	s_delay_alu instid0(VALU_DEP_2) | instskip(NEXT) | instid1(VALU_DEP_1)
	v_lshl_add_u32 v27, v8, 5, v37
	v_ashrrev_i32_e32 v8, 31, v27
	s_delay_alu instid0(VALU_DEP_1) | instskip(NEXT) | instid1(VALU_DEP_1)
	v_lshrrev_b32_e32 v8, 27, v8
	v_add_nc_u32_e32 v8, v27, v8
	s_delay_alu instid0(VALU_DEP_1)
	v_ashrrev_i32_e32 v8, 5, v8
.LBB10_1535:                            ;   in Loop: Header=BB10_1442 Depth=3
	s_or_b32 exec_lo, exec_lo, s15
	s_delay_alu instid0(SALU_CYCLE_1)
	s_and_b32 s13, s14, exec_lo
.LBB10_1536:                            ;   in Loop: Header=BB10_1442 Depth=3
	s_or_b32 exec_lo, exec_lo, s63
	s_and_saveexec_b32 s15, s13
	s_cbranch_execz .LBB10_1547
.LBB10_1537:                            ;   in Loop: Header=BB10_1442 Depth=3
	v_ashrrev_i32_e32 v9, 31, v15
	s_mov_b32 s13, exec_lo
	s_delay_alu instid0(VALU_DEP_1) | instskip(NEXT) | instid1(VALU_DEP_1)
	v_lshrrev_b32_e32 v9, 22, v9
	v_add_nc_u32_e32 v9, v15, v9
	s_delay_alu instid0(VALU_DEP_1) | instskip(NEXT) | instid1(VALU_DEP_1)
	v_dual_ashrrev_i32 v35, 10, v9 :: v_dual_ashrrev_i32 v9, 31, v27
	v_dual_sub_nc_u32 v32, v35, v8 :: v_dual_lshrrev_b32 v33, 27, v9
	s_delay_alu instid0(VALU_DEP_1)
	v_cmpx_lt_i32_e32 0, v32
	s_cbranch_execz .LBB10_1541
; %bb.1538:                             ;   in Loop: Header=BB10_1442 Depth=3
	s_delay_alu instid0(VALU_DEP_2) | instskip(SKIP_2) | instid1(VALU_DEP_2)
	v_dual_add_nc_u32 v9, v27, v33 :: v_dual_lshlrev_b32 v8, 10, v8
	v_add_nc_u64_e32 v[36:37], 0x3c0, v[18:19]
	s_mov_b32 s14, 0
	v_and_b32_e32 v9, 0x7fffffe0, v9
	s_delay_alu instid0(VALU_DEP_1) | instskip(NEXT) | instid1(VALU_DEP_1)
	v_sub_nc_u32_e32 v9, v27, v9
	v_lshlrev_b32_e32 v9, 1, v9
	s_delay_alu instid0(VALU_DEP_1) | instskip(NEXT) | instid1(VALU_DEP_1)
	v_add3_u32 v24, v9, v26, v8
	v_ashrrev_i32_e32 v25, 31, v24
	s_delay_alu instid0(VALU_DEP_1)
	v_add_nc_u64_e32 v[8:9], v[24:25], v[20:21]
	v_add_nc_u64_e32 v[10:11], v[24:25], v[22:23]
	v_add_nc_u64_e32 v[24:25], v[36:37], v[24:25]
.LBB10_1539:                            ;   Parent Loop BB10_47 Depth=1
                                        ;     Parent Loop BB10_1439 Depth=2
                                        ;       Parent Loop BB10_1442 Depth=3
                                        ; =>      This Inner Loop Header: Depth=4
	s_clause 0xf
	flat_load_u16 v36, v[24:25] offset:-960 th:TH_LOAD_NT
	flat_load_u16 v37, v[24:25] offset:-896 th:TH_LOAD_NT
	;; [unrolled: 1-line block ×15, first 2 shown]
	flat_load_u16 v75, v[24:25] th:TH_LOAD_NT
	v_sub_nc_u32_e32 v32, v32, v84
	s_wait_xcnt 0x0
	v_add_nc_u64_e32 v[24:25], v[24:25], v[112:113]
	s_wait_loadcnt_dscnt 0xf0f
	flat_store_b16 v[8:9], v36 th:TH_STORE_NT
	s_wait_loadcnt_dscnt 0xe0f
	flat_store_b16 v[8:9], v37 offset:64 th:TH_STORE_NT
	s_wait_loadcnt_dscnt 0xd0f
	flat_store_b16 v[8:9], v38 offset:128 th:TH_STORE_NT
	;; [unrolled: 2-line block ×15, first 2 shown]
	s_clause 0xf
	flat_store_b16 v[10:11], v36 th:TH_STORE_NT
	flat_store_b16 v[10:11], v37 offset:64 th:TH_STORE_NT
	flat_store_b16 v[10:11], v38 offset:128 th:TH_STORE_NT
	;; [unrolled: 1-line block ×15, first 2 shown]
	v_cmp_gt_i32_e32 vcc_lo, 1, v32
	s_wait_xcnt 0x10
	v_add_nc_u64_e32 v[8:9], v[8:9], v[112:113]
	s_wait_xcnt 0x0
	v_add_nc_u64_e32 v[10:11], v[10:11], v[112:113]
	s_or_b32 s14, vcc_lo, s14
	s_delay_alu instid0(SALU_CYCLE_1)
	s_and_not1_b32 exec_lo, exec_lo, s14
	s_cbranch_execnz .LBB10_1539
; %bb.1540:                             ;   in Loop: Header=BB10_1442 Depth=3
	s_or_b32 exec_lo, exec_lo, s14
.LBB10_1541:                            ;   in Loop: Header=BB10_1442 Depth=3
	s_delay_alu instid0(SALU_CYCLE_1) | instskip(SKIP_1) | instid1(VALU_DEP_1)
	s_or_b32 exec_lo, exec_lo, s13
	v_lshlrev_b32_e32 v8, 10, v35
	v_cmp_ne_u32_e32 vcc_lo, v15, v8
	s_and_b32 exec_lo, exec_lo, vcc_lo
	s_cbranch_execz .LBB10_1547
; %bb.1542:                             ;   in Loop: Header=BB10_1442 Depth=3
	v_dual_add_nc_u32 v9, v27, v33 :: v_dual_lshlrev_b32 v10, 5, v32
	s_delay_alu instid0(VALU_DEP_1) | instskip(NEXT) | instid1(VALU_DEP_1)
	v_and_b32_e32 v9, 0xffffffe0, v9
	v_sub_nc_u32_e32 v9, v27, v9
	s_delay_alu instid0(VALU_DEP_1) | instskip(NEXT) | instid1(VALU_DEP_1)
	v_sub_nc_u32_e32 v9, v9, v10
	v_ashrrev_i32_e32 v10, 31, v9
	s_delay_alu instid0(VALU_DEP_1) | instskip(NEXT) | instid1(VALU_DEP_1)
	v_lshrrev_b32_e32 v10, 27, v10
	v_add_nc_u32_e32 v10, v9, v10
	s_delay_alu instid0(VALU_DEP_1) | instskip(NEXT) | instid1(VALU_DEP_1)
	v_and_b32_e32 v11, 0x7fffffe0, v10
	v_dual_lshlrev_b32 v10, 1, v10 :: v_dual_sub_nc_u32 v9, v9, v11
	s_delay_alu instid0(VALU_DEP_1) | instskip(NEXT) | instid1(VALU_DEP_2)
	v_and_b32_e32 v10, 0xffffffc0, v10
	v_lshlrev_b32_e32 v9, 1, v9
	s_delay_alu instid0(VALU_DEP_1) | instskip(NEXT) | instid1(VALU_DEP_1)
	v_add3_u32 v8, v10, v9, v8
	v_sub_nc_u32_e32 v15, v15, v8
	s_delay_alu instid0(VALU_DEP_1)
	v_cmp_lt_i32_e32 vcc_lo, 1, v15
	s_and_b32 exec_lo, exec_lo, vcc_lo
	s_cbranch_execz .LBB10_1547
; %bb.1543:                             ;   in Loop: Header=BB10_1442 Depth=3
	v_add_nc_u32_e32 v24, v8, v26
	s_mov_b32 s63, 0
	s_delay_alu instid0(VALU_DEP_1) | instskip(NEXT) | instid1(VALU_DEP_1)
	v_ashrrev_i32_e32 v25, 31, v24
	v_add_nc_u64_e32 v[8:9], v[24:25], v[18:19]
	v_add_nc_u64_e32 v[10:11], v[24:25], v[20:21]
	;; [unrolled: 1-line block ×3, first 2 shown]
.LBB10_1544:                            ;   Parent Loop BB10_47 Depth=1
                                        ;     Parent Loop BB10_1439 Depth=2
                                        ;       Parent Loop BB10_1442 Depth=3
                                        ; =>      This Loop Header: Depth=4
                                        ;           Child Loop BB10_1545 Depth 5
	flat_load_u16 v24, v[8:9] th:TH_LOAD_NT
	s_mov_b64 s[40:41], 0
	s_mov_b32 s72, -1
.LBB10_1545:                            ;   Parent Loop BB10_47 Depth=1
                                        ;     Parent Loop BB10_1439 Depth=2
                                        ;       Parent Loop BB10_1442 Depth=3
                                        ;         Parent Loop BB10_1544 Depth=4
                                        ; =>        This Inner Loop Header: Depth=5
	s_cmp_eq_u32 s40, 1
	s_cselect_b32 vcc_lo, -1, 0
	s_cmp_eq_u32 s40, 0
	s_wait_xcnt 0x0
	v_dual_cndmask_b32 v27, v11, v23 :: v_dual_cndmask_b32 v26, v10, v22
	s_cselect_b32 s13, -1, 0
	s_and_b32 s14, exec_lo, s72
	s_mov_b64 s[40:41], 1
	s_mov_b32 s72, 0
	v_add_nc_u64_e32 v[32:33], 64, v[26:27]
	s_wait_loadcnt_dscnt 0x0
	flat_store_b16 v[26:27], v24 th:TH_STORE_NT
	v_dual_cndmask_b32 v23, v23, v33 :: v_dual_cndmask_b32 v22, v22, v32
	v_dual_cndmask_b32 v11, v11, v33, s13 :: v_dual_cndmask_b32 v10, v10, v32, s13
	s_mov_b32 vcc_lo, s14
	s_cbranch_vccnz .LBB10_1545
; %bb.1546:                             ;   in Loop: Header=BB10_1544 Depth=4
	v_sub_nc_u32_e32 v15, v15, v114
	s_delay_alu instid0(VALU_DEP_2)
	v_add_nc_u64_e32 v[10:11], v[10:11], v[40:41]
	v_add_nc_u64_e32 v[22:23], v[22:23], v[40:41]
	s_wait_xcnt 0x1
	v_add_nc_u64_e32 v[8:9], v[46:47], v[8:9]
	v_cmp_gt_i32_e32 vcc_lo, 2, v15
	s_or_b32 s63, vcc_lo, s63
	s_wait_xcnt 0x0
	s_and_not1_b32 exec_lo, exec_lo, s63
	s_cbranch_execnz .LBB10_1544
.LBB10_1547:                            ;   in Loop: Header=BB10_1442 Depth=3
	s_or_b32 exec_lo, exec_lo, s15
	s_mov_b32 s13, 0
.LBB10_1548:                            ;   in Loop: Header=BB10_1442 Depth=3
	s_delay_alu instid0(SALU_CYCLE_1)
	s_and_b32 vcc_lo, exec_lo, s13
	s_cbranch_vccz .LBB10_1577
; %bb.1549:                             ;   in Loop: Header=BB10_1442 Depth=3
	s_mov_b32 s13, -1
	s_and_saveexec_b32 s14, s11
	s_cbranch_execz .LBB10_1551
; %bb.1550:                             ;   in Loop: Header=BB10_1442 Depth=3
	ds_load_b32 v8, v0 offset:720
	s_wait_dscnt 0x0
	v_and_b32_e32 v8, 15, v8
	s_delay_alu instid0(VALU_DEP_1)
	v_cmp_eq_u32_e32 vcc_lo, 0, v8
	s_or_not1_b32 s13, vcc_lo, exec_lo
.LBB10_1551:                            ;   in Loop: Header=BB10_1442 Depth=3
	s_or_b32 exec_lo, exec_lo, s14
	s_and_saveexec_b32 s14, s7
	s_cbranch_execz .LBB10_1553
; %bb.1552:                             ;   in Loop: Header=BB10_1442 Depth=3
	ds_load_b32 v8, v0 offset:784
	s_wait_dscnt 0x0
	v_and_b32_e32 v8, 15, v8
	s_delay_alu instid0(VALU_DEP_1) | instskip(SKIP_3) | instid1(SALU_CYCLE_1)
	v_cmp_eq_u32_e32 vcc_lo, 0, v8
	s_and_b32 s15, s13, vcc_lo
	s_and_not1_b32 s13, s13, exec_lo
	s_and_b32 s15, s15, exec_lo
	s_or_b32 s13, s13, s15
.LBB10_1553:                            ;   in Loop: Header=BB10_1442 Depth=3
	s_or_b32 exec_lo, exec_lo, s14
	s_xor_b32 s13, s13, -1
	v_mov_b32_e32 v15, 0
	v_cndmask_b32_e64 v8, 0, 1, s13
	s_mov_b32 s15, -1
	s_delay_alu instid0(VALU_DEP_1)
	v_cmp_ne_u32_e32 vcc_lo, 0, v8
	s_cbranch_vccz .LBB10_1555
; %bb.1554:                             ;   in Loop: Header=BB10_1442 Depth=3
	v_dual_mov_b32 v24, v0 :: v_dual_mov_b32 v8, v124
	s_and_saveexec_b32 s13, s15
	s_cbranch_execnz .LBB10_1568
	s_branch .LBB10_1576
.LBB10_1555:                            ;   in Loop: Header=BB10_1442 Depth=3
	v_ashrrev_i32_e32 v8, 31, v13
	s_mov_b32 s13, exec_lo
	s_delay_alu instid0(VALU_DEP_1) | instskip(NEXT) | instid1(VALU_DEP_1)
	v_lshrrev_b32_e32 v8, 20, v8
	v_add_nc_u32_e32 v8, v13, v8
	s_delay_alu instid0(VALU_DEP_1) | instskip(NEXT) | instid1(VALU_DEP_1)
	v_ashrrev_i32_e32 v15, 12, v8
	v_sub_nc_u32_e32 v22, v15, v124
	s_delay_alu instid0(VALU_DEP_1)
	v_cmpx_lt_i32_e32 0, v22
	s_cbranch_execz .LBB10_1559
; %bb.1556:                             ;   in Loop: Header=BB10_1442 Depth=3
	v_mov_b64_e32 v[8:9], v[20:21]
	v_mov_b64_e32 v[10:11], v[18:19]
	s_mov_b32 s14, 0
.LBB10_1557:                            ;   Parent Loop BB10_47 Depth=1
                                        ;     Parent Loop BB10_1439 Depth=2
                                        ;       Parent Loop BB10_1442 Depth=3
                                        ; =>      This Inner Loop Header: Depth=4
	s_delay_alu instid0(VALU_DEP_1)
	v_add_nc_u64_e32 v[32:33], v[44:45], v[10:11]
	v_sub_nc_u32_e32 v22, v22, v84
	v_add_nc_u64_e32 v[10:11], v[10:11], v[100:101]
	s_clause 0x7
	global_load_b128 v[24:27], v[32:33], off th:TH_LOAD_NT
	global_load_b128 v[36:39], v[32:33], off offset:512 th:TH_LOAD_NT
	global_load_b128 v[48:51], v[32:33], off offset:1024 th:TH_LOAD_NT
	;; [unrolled: 1-line block ×7, first 2 shown]
	s_wait_xcnt 0x0
	v_add_nc_u64_e32 v[32:33], v[44:45], v[8:9]
	v_add_nc_u64_e32 v[8:9], v[8:9], v[100:101]
	v_cmp_gt_i32_e32 vcc_lo, 1, v22
	s_wait_loadcnt 0x7
	global_store_b128 v[32:33], v[24:27], off th:TH_STORE_NT
	s_wait_loadcnt 0x6
	global_store_b128 v[32:33], v[36:39], off offset:512 th:TH_STORE_NT
	s_wait_loadcnt 0x5
	global_store_b128 v[32:33], v[48:51], off offset:1024 th:TH_STORE_NT
	s_wait_loadcnt 0x4
	global_store_b128 v[32:33], v[96:99], off offset:1536 th:TH_STORE_NT
	s_wait_loadcnt 0x3
	global_store_b128 v[32:33], v[74:77], off offset:2048 th:TH_STORE_NT
	s_wait_loadcnt 0x2
	global_store_b128 v[32:33], v[88:91], off offset:2560 th:TH_STORE_NT
	s_wait_loadcnt 0x1
	global_store_b128 v[32:33], v[92:95], off offset:3072 th:TH_STORE_NT
	s_wait_loadcnt 0x0
	global_store_b128 v[32:33], v[104:107], off offset:3584 th:TH_STORE_NT
	s_or_b32 s14, vcc_lo, s14
	s_wait_xcnt 0x0
	s_and_not1_b32 exec_lo, exec_lo, s14
	s_cbranch_execnz .LBB10_1557
; %bb.1558:                             ;   in Loop: Header=BB10_1442 Depth=3
	s_or_b32 exec_lo, exec_lo, s14
.LBB10_1559:                            ;   in Loop: Header=BB10_1442 Depth=3
	s_delay_alu instid0(SALU_CYCLE_1) | instskip(SKIP_3) | instid1(VALU_DEP_1)
	s_or_b32 exec_lo, exec_lo, s13
	v_dual_mov_b32 v15, 0 :: v_dual_lshlrev_b32 v10, 12, v15
	s_mov_b32 s15, 0
	s_mov_b32 s14, exec_lo
                                        ; implicit-def: $vgpr24
                                        ; implicit-def: $vgpr8
	v_cmpx_ne_u32_e64 v13, v10
	s_cbranch_execz .LBB10_1567
; %bb.1560:                             ;   in Loop: Header=BB10_1442 Depth=3
	v_lshlrev_b32_e32 v8, 5, v22
	v_sub_nc_u32_e32 v15, v13, v10
	s_mov_b32 s15, exec_lo
	s_delay_alu instid0(VALU_DEP_1) | instskip(NEXT) | instid1(VALU_DEP_1)
	v_dual_sub_nc_u32 v8, v125, v8 :: v_dual_ashrrev_i32 v11, 31, v15
	v_dual_ashrrev_i32 v9, 31, v8 :: v_dual_lshrrev_b32 v11, 23, v11
	s_delay_alu instid0(VALU_DEP_1) | instskip(NEXT) | instid1(VALU_DEP_1)
	v_lshrrev_b32_e32 v9, 27, v9
	v_add_nc_u32_e32 v9, v8, v9
	s_delay_alu instid0(VALU_DEP_1) | instskip(NEXT) | instid1(VALU_DEP_1)
	v_and_b32_e32 v22, 0xffffffe0, v9
	v_dual_add_nc_u32 v24, v15, v11 :: v_dual_sub_nc_u32 v22, v8, v22
	s_delay_alu instid0(VALU_DEP_1) | instskip(SKIP_1) | instid1(VALU_DEP_2)
	v_and_b32_e32 v11, 0xfffffe00, v24
	v_dual_ashrrev_i32 v9, 5, v9 :: v_dual_ashrrev_i32 v24, 9, v24
	v_dual_lshlrev_b32 v8, 4, v22 :: v_dual_sub_nc_u32 v23, v15, v11
	s_delay_alu instid0(VALU_DEP_1) | instskip(NEXT) | instid1(VALU_DEP_2)
	v_lshl_add_u32 v8, v9, 9, v8
	v_cmp_lt_i32_e32 vcc_lo, 15, v23
	s_delay_alu instid0(VALU_DEP_4) | instskip(NEXT) | instid1(VALU_DEP_1)
	v_add_co_ci_u32_e64 v24, null, 0, v24, vcc_lo
	v_dual_sub_nc_u32 v15, v15, v8 :: v_dual_sub_nc_u32 v25, v24, v9
	s_delay_alu instid0(VALU_DEP_1)
	v_cmpx_lt_i32_e32 15, v15
	s_cbranch_execz .LBB10_1564
; %bb.1561:                             ;   in Loop: Header=BB10_1442 Depth=3
	v_add_nc_u32_e32 v8, v8, v10
	s_mov_b32 s40, 0
	s_delay_alu instid0(VALU_DEP_1)
	v_ashrrev_i32_e32 v9, 31, v8
.LBB10_1562:                            ;   Parent Loop BB10_47 Depth=1
                                        ;     Parent Loop BB10_1439 Depth=2
                                        ;       Parent Loop BB10_1442 Depth=3
                                        ; =>      This Inner Loop Header: Depth=4
	s_delay_alu instid0(VALU_DEP_1) | instskip(SKIP_1) | instid1(VALU_DEP_1)
	v_add_nc_u64_e32 v[26:27], v[18:19], v[8:9]
	v_dual_sub_nc_u32 v15, v15, v102 :: v_dual_sub_nc_u32 v25, v25, v84
	v_cmp_gt_i32_e64 s13, 16, v15
	global_load_b128 v[36:39], v[26:27], off th:TH_LOAD_NT
	s_wait_xcnt 0x0
	v_add_nc_u64_e32 v[26:27], v[20:21], v[8:9]
	v_add_nc_u64_e32 v[8:9], v[8:9], v[102:103]
	s_or_b32 s40, s13, s40
	s_wait_loadcnt 0x0
	global_store_b128 v[26:27], v[36:39], off th:TH_STORE_NT
	s_wait_xcnt 0x0
	s_and_not1_b32 exec_lo, exec_lo, s40
	s_cbranch_execnz .LBB10_1562
; %bb.1563:                             ;   in Loop: Header=BB10_1442 Depth=3
	s_or_b32 exec_lo, exec_lo, s40
.LBB10_1564:                            ;   in Loop: Header=BB10_1442 Depth=3
	s_delay_alu instid0(SALU_CYCLE_1) | instskip(SKIP_3) | instid1(VALU_DEP_1)
	s_or_b32 exec_lo, exec_lo, s15
	v_dual_mov_b32 v15, 0 :: v_dual_bitop2_b32 v9, 14, v13 bitop3:0x40
	s_mov_b32 s15, 0
	s_mov_b32 s40, exec_lo
                                        ; implicit-def: $vgpr24
                                        ; implicit-def: $vgpr8
	v_cndmask_b32_e32 v13, v23, v9, vcc_lo
	s_delay_alu instid0(VALU_DEP_1)
	v_cmpx_ne_u32_e32 0, v13
	s_cbranch_execz .LBB10_1566
; %bb.1565:                             ;   in Loop: Header=BB10_1442 Depth=3
	v_cmp_lt_i32_e64 s13, 0, v25
	s_mov_b32 s15, exec_lo
	v_dual_sub_nc_u32 v9, v23, v9 :: v_dual_cndmask_b32 v8, 0, v84, s13
	s_delay_alu instid0(VALU_DEP_1) | instskip(NEXT) | instid1(VALU_DEP_2)
	v_cndmask_b32_e32 v9, 0, v9, vcc_lo
	v_sub_nc_u32_e32 v8, v8, v25
	s_delay_alu instid0(VALU_DEP_2) | instskip(NEXT) | instid1(VALU_DEP_2)
	v_add3_u32 v15, v11, v10, v9
	v_lshl_add_u32 v24, v8, 5, v22
	s_delay_alu instid0(VALU_DEP_1) | instskip(NEXT) | instid1(VALU_DEP_1)
	v_ashrrev_i32_e32 v8, 31, v24
	v_lshrrev_b32_e32 v8, 27, v8
	s_delay_alu instid0(VALU_DEP_1) | instskip(NEXT) | instid1(VALU_DEP_1)
	v_add_nc_u32_e32 v8, v24, v8
	v_ashrrev_i32_e32 v8, 5, v8
.LBB10_1566:                            ;   in Loop: Header=BB10_1442 Depth=3
	s_or_b32 exec_lo, exec_lo, s40
	s_delay_alu instid0(SALU_CYCLE_1)
	s_and_b32 s15, s15, exec_lo
.LBB10_1567:                            ;   in Loop: Header=BB10_1442 Depth=3
	s_or_b32 exec_lo, exec_lo, s14
	s_and_saveexec_b32 s13, s15
	s_cbranch_execz .LBB10_1576
.LBB10_1568:                            ;   in Loop: Header=BB10_1442 Depth=3
	v_ashrrev_i32_e32 v9, 31, v13
	s_mov_b32 s14, exec_lo
	s_delay_alu instid0(VALU_DEP_1) | instskip(NEXT) | instid1(VALU_DEP_1)
	v_lshrrev_b32_e32 v9, 22, v9
	v_add_nc_u32_e32 v9, v13, v9
	s_delay_alu instid0(VALU_DEP_1) | instskip(NEXT) | instid1(VALU_DEP_1)
	v_ashrrev_i32_e32 v26, 10, v9
	v_sub_nc_u32_e32 v25, v26, v8
	s_delay_alu instid0(VALU_DEP_1)
	v_cmpx_lt_i32_e32 0, v25
	s_cbranch_execz .LBB10_1572
; %bb.1569:                             ;   in Loop: Header=BB10_1442 Depth=3
	v_ashrrev_i32_e32 v9, 31, v24
	v_mov_b64_e32 v[10:11], v[20:21]
	v_mov_b64_e32 v[22:23], v[18:19]
	s_mov_b32 s15, 0
	s_delay_alu instid0(VALU_DEP_3) | instskip(NEXT) | instid1(VALU_DEP_1)
	v_dual_lshlrev_b32 v8, 10, v8 :: v_dual_lshrrev_b32 v9, 27, v9
	v_add_nc_u32_e32 v9, v24, v9
	s_delay_alu instid0(VALU_DEP_1) | instskip(NEXT) | instid1(VALU_DEP_1)
	v_and_b32_e32 v9, 0x7fffffe0, v9
	v_sub_nc_u32_e32 v9, v24, v9
	s_delay_alu instid0(VALU_DEP_1) | instskip(NEXT) | instid1(VALU_DEP_1)
	v_lshlrev_b32_e32 v9, 1, v9
	v_add3_u32 v8, v9, v15, v8
	s_delay_alu instid0(VALU_DEP_1)
	v_ashrrev_i32_e32 v9, 31, v8
.LBB10_1570:                            ;   Parent Loop BB10_47 Depth=1
                                        ;     Parent Loop BB10_1439 Depth=2
                                        ;       Parent Loop BB10_1442 Depth=3
                                        ; =>      This Inner Loop Header: Depth=4
	s_delay_alu instid0(VALU_DEP_1)
	v_add_nc_u64_e32 v[32:33], v[8:9], v[22:23]
	v_sub_nc_u32_e32 v25, v25, v84
	v_add_nc_u64_e32 v[22:23], v[22:23], v[112:113]
	s_clause 0xf
	flat_load_u16 v27, v[32:33] th:TH_LOAD_NT
	flat_load_u16 v35, v[32:33] offset:64 th:TH_LOAD_NT
	flat_load_u16 v36, v[32:33] offset:128 th:TH_LOAD_NT
	;; [unrolled: 1-line block ×15, first 2 shown]
	s_wait_xcnt 0x0
	v_add_nc_u64_e32 v[32:33], v[8:9], v[10:11]
	v_add_nc_u64_e32 v[10:11], v[10:11], v[112:113]
	v_cmp_gt_i32_e32 vcc_lo, 1, v25
	s_wait_loadcnt_dscnt 0xf0f
	flat_store_b16 v[32:33], v27 th:TH_STORE_NT
	s_wait_loadcnt_dscnt 0xe0f
	flat_store_b16 v[32:33], v35 offset:64 th:TH_STORE_NT
	s_wait_loadcnt_dscnt 0xd0f
	flat_store_b16 v[32:33], v36 offset:128 th:TH_STORE_NT
	;; [unrolled: 2-line block ×15, first 2 shown]
	s_or_b32 s15, vcc_lo, s15
	s_wait_xcnt 0x0
	s_and_not1_b32 exec_lo, exec_lo, s15
	s_cbranch_execnz .LBB10_1570
; %bb.1571:                             ;   in Loop: Header=BB10_1442 Depth=3
	s_or_b32 exec_lo, exec_lo, s15
.LBB10_1572:                            ;   in Loop: Header=BB10_1442 Depth=3
	s_delay_alu instid0(SALU_CYCLE_1) | instskip(SKIP_1) | instid1(VALU_DEP_1)
	s_or_b32 exec_lo, exec_lo, s14
	v_lshlrev_b32_e32 v8, 10, v26
	v_cmp_ne_u32_e32 vcc_lo, v13, v8
	s_and_b32 exec_lo, exec_lo, vcc_lo
	s_cbranch_execz .LBB10_1576
; %bb.1573:                             ;   in Loop: Header=BB10_1442 Depth=3
	v_dual_ashrrev_i32 v9, 31, v24 :: v_dual_lshlrev_b32 v10, 5, v25
	s_delay_alu instid0(VALU_DEP_1) | instskip(NEXT) | instid1(VALU_DEP_1)
	v_lshrrev_b32_e32 v9, 27, v9
	v_add_nc_u32_e32 v9, v24, v9
	s_delay_alu instid0(VALU_DEP_1) | instskip(NEXT) | instid1(VALU_DEP_1)
	v_and_b32_e32 v9, 0xffffffe0, v9
	v_sub_nc_u32_e32 v9, v24, v9
	s_delay_alu instid0(VALU_DEP_1) | instskip(NEXT) | instid1(VALU_DEP_1)
	v_sub_nc_u32_e32 v9, v9, v10
	v_ashrrev_i32_e32 v10, 31, v9
	s_delay_alu instid0(VALU_DEP_1) | instskip(NEXT) | instid1(VALU_DEP_1)
	v_lshrrev_b32_e32 v10, 27, v10
	v_add_nc_u32_e32 v10, v9, v10
	s_delay_alu instid0(VALU_DEP_1) | instskip(NEXT) | instid1(VALU_DEP_1)
	v_and_b32_e32 v11, 0x7fffffe0, v10
	v_sub_nc_u32_e32 v9, v9, v11
	s_delay_alu instid0(VALU_DEP_1) | instskip(NEXT) | instid1(VALU_DEP_1)
	v_dual_lshlrev_b32 v9, 1, v9 :: v_dual_lshlrev_b32 v10, 1, v10
	v_and_b32_e32 v10, 0xffffffc0, v10
	s_delay_alu instid0(VALU_DEP_1) | instskip(NEXT) | instid1(VALU_DEP_1)
	v_add3_u32 v8, v10, v9, v8
	v_sub_nc_u32_e32 v10, v13, v8
	s_delay_alu instid0(VALU_DEP_1)
	v_cmp_lt_i32_e32 vcc_lo, 1, v10
	s_and_b32 exec_lo, exec_lo, vcc_lo
	s_cbranch_execz .LBB10_1576
; %bb.1574:                             ;   in Loop: Header=BB10_1442 Depth=3
	v_add_nc_u32_e32 v8, v8, v15
	s_mov_b32 s14, 0
	s_delay_alu instid0(VALU_DEP_1)
	v_ashrrev_i32_e32 v9, 31, v8
.LBB10_1575:                            ;   Parent Loop BB10_47 Depth=1
                                        ;     Parent Loop BB10_1439 Depth=2
                                        ;       Parent Loop BB10_1442 Depth=3
                                        ; =>      This Inner Loop Header: Depth=4
	s_delay_alu instid0(VALU_DEP_1) | instskip(SKIP_1) | instid1(VALU_DEP_1)
	v_add_nc_u64_e32 v[22:23], v[18:19], v[8:9]
	v_sub_nc_u32_e32 v10, v10, v114
	v_cmp_gt_i32_e32 vcc_lo, 2, v10
	flat_load_u16 v11, v[22:23] th:TH_LOAD_NT
	s_wait_xcnt 0x0
	v_add_nc_u64_e32 v[22:23], v[20:21], v[8:9]
	v_add_nc_u64_e32 v[8:9], v[8:9], v[114:115]
	s_or_b32 s14, vcc_lo, s14
	s_wait_loadcnt_dscnt 0x0
	flat_store_b16 v[22:23], v11 th:TH_STORE_NT
	s_wait_xcnt 0x0
	s_and_not1_b32 exec_lo, exec_lo, s14
	s_cbranch_execnz .LBB10_1575
.LBB10_1576:                            ;   in Loop: Header=BB10_1442 Depth=3
	s_or_b32 exec_lo, exec_lo, s13
.LBB10_1577:                            ;   in Loop: Header=BB10_1442 Depth=3
	v_cmp_lt_i32_e64 s13, 0, v2
	s_and_saveexec_b32 s14, s2
	s_cbranch_execz .LBB10_1518
.LBB10_1578:                            ;   in Loop: Header=BB10_1442 Depth=3
	s_and_saveexec_b32 s15, s3
	s_delay_alu instid0(SALU_CYCLE_1)
	s_xor_b32 s15, exec_lo, s15
	s_cbranch_execz .LBB10_1593
; %bb.1579:                             ;   in Loop: Header=BB10_1442 Depth=3
	s_and_saveexec_b32 s40, s6
	s_cbranch_execz .LBB10_1592
; %bb.1580:                             ;   in Loop: Header=BB10_1442 Depth=3
	s_mov_b32 s63, exec_lo
	s_mov_b32 s41, exec_lo
	v_mbcnt_lo_u32_b32 v2, s63, 0
	global_wb scope:SCOPE_DEV
	s_wait_storecnt 0x0
	s_wait_loadcnt_dscnt 0x0
	global_inv scope:SCOPE_DEV
	v_cmpx_eq_u32_e32 0, v2
	s_cbranch_execz .LBB10_1582
; %bb.1581:                             ;   in Loop: Header=BB10_1442 Depth=3
	s_bcnt1_i32_b32 s63, s63
	s_delay_alu instid0(SALU_CYCLE_1)
	v_mov_b32_e32 v2, s63
	s_wait_loadcnt 0x0
	ds_add_u64 v0, v[2:3]
	s_trap 2
.LBB10_1582:                            ;   in Loop: Header=BB10_1442 Depth=3
	s_or_b32 exec_lo, exec_lo, s41
	s_trap 2
	ds_load_b64 v[8:9], v0
	s_wait_dscnt 0x0
	v_add_nc_u64_e32 v[80:81], v[80:81], v[84:85]
	s_mov_b32 s41, exec_lo
	s_delay_alu instid0(VALU_DEP_1)
	v_cmpx_lt_u64_e64 v[8:9], v[80:81]
	s_cbranch_execz .LBB10_1591
; %bb.1583:                             ;   in Loop: Header=BB10_1442 Depth=3
	s_mov_b32 s63, 0
	s_mov_b32 s74, 0
                                        ; implicit-def: $sgpr72
                                        ; implicit-def: $sgpr73
	s_branch .LBB10_1585
.LBB10_1584:                            ;   in Loop: Header=BB10_1585 Depth=4
	s_or_b32 exec_lo, exec_lo, s76
	s_delay_alu instid0(SALU_CYCLE_1) | instskip(NEXT) | instid1(SALU_CYCLE_1)
	s_and_b32 s75, exec_lo, s77
	s_or_b32 s63, s75, s63
	s_and_not1_b32 s72, s72, exec_lo
	s_and_b32 s75, s73, exec_lo
	s_delay_alu instid0(SALU_CYCLE_1)
	s_or_b32 s72, s72, s75
	s_and_not1_b32 exec_lo, exec_lo, s63
	s_cbranch_execz .LBB10_1589
.LBB10_1585:                            ;   Parent Loop BB10_47 Depth=1
                                        ;     Parent Loop BB10_1439 Depth=2
                                        ;       Parent Loop BB10_1442 Depth=3
                                        ; =>      This Inner Loop Header: Depth=4
	s_add_co_i32 s74, s74, 1
	s_delay_alu instid0(SALU_CYCLE_1) | instskip(SKIP_1) | instid1(SALU_CYCLE_1)
	s_cmp_lg_u32 s74, 0x2710
	s_cselect_b32 s75, -1, 0
	s_and_b32 vcc_lo, exec_lo, s75
	s_cbranch_vccz .LBB10_1587
; %bb.1586:                             ;   in Loop: Header=BB10_1585 Depth=4
	s_mov_b32 s77, -1
	s_or_b32 s73, s73, exec_lo
	s_and_saveexec_b32 s76, s75
	s_cbranch_execz .LBB10_1584
	s_branch .LBB10_1588
.LBB10_1587:                            ;   in Loop: Header=BB10_1585 Depth=4
	s_trap 2
	ds_load_b64 v[8:9], v0
	s_and_not1_b32 s75, s75, exec_lo
	s_mov_b32 s74, 0
	s_wait_loadcnt_dscnt 0x0
	flat_load_b32 v2, v[8:9] scope:SCOPE_SYS
	s_wait_loadcnt_dscnt 0x0
	global_inv scope:SCOPE_SYS
	v_cmp_eq_u32_e32 vcc_lo, 0, v2
	s_and_b32 s76, vcc_lo, exec_lo
	s_delay_alu instid0(SALU_CYCLE_1)
	s_or_b32 s75, s75, s76
	s_mov_b32 s77, -1
	s_or_b32 s73, s73, exec_lo
	s_and_saveexec_b32 s76, s75
	s_cbranch_execz .LBB10_1584
.LBB10_1588:                            ;   in Loop: Header=BB10_1585 Depth=4
	s_sleep 1
	s_trap 2
	ds_load_b64 v[8:9], v0
	s_wait_dscnt 0x0
	s_and_not1_b32 s73, s73, exec_lo
	v_cmp_ge_u64_e32 vcc_lo, v[8:9], v[80:81]
	s_or_not1_b32 s77, vcc_lo, exec_lo
	s_branch .LBB10_1584
.LBB10_1589:                            ;   in Loop: Header=BB10_1442 Depth=3
	s_or_b32 exec_lo, exec_lo, s63
	s_and_saveexec_b32 s63, s72
	s_delay_alu instid0(SALU_CYCLE_1)
	s_xor_b32 s63, exec_lo, s63
	s_cbranch_execz .LBB10_1591
; %bb.1590:                             ;   in Loop: Header=BB10_1442 Depth=3
	ds_store_b32 v0, v121
	s_trap 2
.LBB10_1591:                            ;   in Loop: Header=BB10_1442 Depth=3
	s_or_b32 exec_lo, exec_lo, s41
	;;#ASMSTART
	s_wakeup
	;;#ASMEND
.LBB10_1592:                            ;   in Loop: Header=BB10_1442 Depth=3
	s_or_b32 exec_lo, exec_lo, s40
.LBB10_1593:                            ;   in Loop: Header=BB10_1442 Depth=3
	s_and_not1_saveexec_b32 s15, s15
	s_cbranch_execz .LBB10_1595
; %bb.1594:                             ;   in Loop: Header=BB10_1442 Depth=3
	global_wb scope:SCOPE_DEV
	s_wait_storecnt 0x0
	s_wait_loadcnt_dscnt 0x0
	global_inv scope:SCOPE_DEV
	s_barrier_signal -1
	s_barrier_wait -1
.LBB10_1595:                            ;   in Loop: Header=BB10_1442 Depth=3
	s_or_b32 exec_lo, exec_lo, s15
	s_delay_alu instid0(SALU_CYCLE_1) | instskip(SKIP_1) | instid1(SALU_CYCLE_1)
	s_or_b32 exec_lo, exec_lo, s14
                                        ; implicit-def: $vgpr2
	s_and_saveexec_b32 s14, s10
	s_xor_b32 s14, exec_lo, s14
	s_cbranch_execnz .LBB10_1519
.LBB10_1596:                            ;   in Loop: Header=BB10_1442 Depth=3
	s_and_not1_saveexec_b32 s13, s14
	s_cbranch_execz .LBB10_1615
.LBB10_1597:                            ;   in Loop: Header=BB10_1442 Depth=3
	s_and_saveexec_b32 s14, s3
	s_delay_alu instid0(SALU_CYCLE_1)
	s_xor_b32 s14, exec_lo, s14
	s_cbranch_execz .LBB10_1612
; %bb.1598:                             ;   in Loop: Header=BB10_1442 Depth=3
	s_and_saveexec_b32 s15, s6
	s_cbranch_execz .LBB10_1611
; %bb.1599:                             ;   in Loop: Header=BB10_1442 Depth=3
	s_mov_b32 s41, exec_lo
	s_mov_b32 s40, exec_lo
	v_mbcnt_lo_u32_b32 v2, s41, 0
	;;#ASMSTART
	s_waitcnt lgkmcnt(0) vmcnt(0)
	;;#ASMEND
	s_delay_alu instid0(VALU_DEP_1)
	v_cmpx_eq_u32_e32 0, v2
	s_cbranch_execz .LBB10_1601
; %bb.1600:                             ;   in Loop: Header=BB10_1442 Depth=3
	s_bcnt1_i32_b32 s41, s41
	s_delay_alu instid0(SALU_CYCLE_1)
	v_mov_b32_e32 v2, s41
	s_wait_storecnt 0x0
	s_wait_loadcnt_dscnt 0x0
	ds_add_u64 v0, v[2:3]
	s_trap 2
.LBB10_1601:                            ;   in Loop: Header=BB10_1442 Depth=3
	s_or_b32 exec_lo, exec_lo, s40
	s_trap 2
	ds_load_b64 v[8:9], v0
	s_wait_dscnt 0x0
	v_add_nc_u64_e32 v[80:81], v[80:81], v[84:85]
	s_mov_b32 s40, exec_lo
	s_delay_alu instid0(VALU_DEP_1)
	v_cmpx_lt_u64_e64 v[8:9], v[80:81]
	s_cbranch_execz .LBB10_1610
; %bb.1602:                             ;   in Loop: Header=BB10_1442 Depth=3
	s_mov_b32 s41, 0
	s_mov_b32 s73, 0
                                        ; implicit-def: $sgpr63
                                        ; implicit-def: $sgpr72
	s_branch .LBB10_1604
.LBB10_1603:                            ;   in Loop: Header=BB10_1604 Depth=4
	s_or_b32 exec_lo, exec_lo, s75
	s_delay_alu instid0(SALU_CYCLE_1) | instskip(NEXT) | instid1(SALU_CYCLE_1)
	s_and_b32 s74, exec_lo, s76
	s_or_b32 s41, s74, s41
	s_and_not1_b32 s63, s63, exec_lo
	s_and_b32 s74, s72, exec_lo
	s_delay_alu instid0(SALU_CYCLE_1)
	s_or_b32 s63, s63, s74
	s_and_not1_b32 exec_lo, exec_lo, s41
	s_cbranch_execz .LBB10_1608
.LBB10_1604:                            ;   Parent Loop BB10_47 Depth=1
                                        ;     Parent Loop BB10_1439 Depth=2
                                        ;       Parent Loop BB10_1442 Depth=3
                                        ; =>      This Inner Loop Header: Depth=4
	s_add_co_i32 s73, s73, 1
	s_delay_alu instid0(SALU_CYCLE_1) | instskip(SKIP_1) | instid1(SALU_CYCLE_1)
	s_cmp_lg_u32 s73, 0x2710
	s_cselect_b32 s74, -1, 0
	s_and_b32 vcc_lo, exec_lo, s74
	s_cbranch_vccz .LBB10_1606
; %bb.1605:                             ;   in Loop: Header=BB10_1604 Depth=4
	s_mov_b32 s76, -1
	s_or_b32 s72, s72, exec_lo
	s_and_saveexec_b32 s75, s74
	s_cbranch_execz .LBB10_1603
	s_branch .LBB10_1607
.LBB10_1606:                            ;   in Loop: Header=BB10_1604 Depth=4
	s_trap 2
	ds_load_b64 v[8:9], v0
	s_and_not1_b32 s74, s74, exec_lo
	s_mov_b32 s73, 0
	s_wait_storecnt 0x0
	s_wait_loadcnt_dscnt 0x0
	flat_load_b32 v2, v[8:9] scope:SCOPE_SYS
	s_wait_loadcnt_dscnt 0x0
	global_inv scope:SCOPE_SYS
	v_cmp_eq_u32_e32 vcc_lo, 0, v2
	s_and_b32 s75, vcc_lo, exec_lo
	s_delay_alu instid0(SALU_CYCLE_1)
	s_or_b32 s74, s74, s75
	s_mov_b32 s76, -1
	s_or_b32 s72, s72, exec_lo
	s_and_saveexec_b32 s75, s74
	s_cbranch_execz .LBB10_1603
.LBB10_1607:                            ;   in Loop: Header=BB10_1604 Depth=4
	s_sleep 1
	s_trap 2
	ds_load_b64 v[8:9], v0
	s_wait_dscnt 0x0
	s_and_not1_b32 s72, s72, exec_lo
	v_cmp_ge_u64_e32 vcc_lo, v[8:9], v[80:81]
	s_or_not1_b32 s76, vcc_lo, exec_lo
	s_branch .LBB10_1603
.LBB10_1608:                            ;   in Loop: Header=BB10_1442 Depth=3
	s_or_b32 exec_lo, exec_lo, s41
	s_and_saveexec_b32 s41, s63
	s_delay_alu instid0(SALU_CYCLE_1)
	s_xor_b32 s41, exec_lo, s41
	s_cbranch_execz .LBB10_1610
; %bb.1609:                             ;   in Loop: Header=BB10_1442 Depth=3
	ds_store_b32 v0, v121
	s_trap 2
.LBB10_1610:                            ;   in Loop: Header=BB10_1442 Depth=3
	s_or_b32 exec_lo, exec_lo, s40
	;;#ASMSTART
	s_wakeup
	;;#ASMEND
.LBB10_1611:                            ;   in Loop: Header=BB10_1442 Depth=3
	s_or_b32 exec_lo, exec_lo, s15
.LBB10_1612:                            ;   in Loop: Header=BB10_1442 Depth=3
	s_and_not1_saveexec_b32 s14, s14
	s_cbranch_execz .LBB10_1614
; %bb.1613:                             ;   in Loop: Header=BB10_1442 Depth=3
	;;#ASMSTART
	s_waitcnt lgkmcnt(0) vmcnt(0)
	;;#ASMEND
	s_barrier_signal -1
	s_barrier_wait -1
.LBB10_1614:                            ;   in Loop: Header=BB10_1442 Depth=3
	s_or_b32 exec_lo, exec_lo, s14
	v_and_b32_e32 v2, 16, v30
.LBB10_1615:                            ;   in Loop: Header=BB10_1442 Depth=3
	s_or_b32 exec_lo, exec_lo, s13
	s_delay_alu instid0(VALU_DEP_1) | instskip(SKIP_1) | instid1(SALU_CYCLE_1)
	v_cmp_ne_u32_e32 vcc_lo, 0, v2
	s_xor_b32 s13, s4, -1
	s_and_b32 s14, vcc_lo, s13
	s_delay_alu instid0(SALU_CYCLE_1)
	s_and_saveexec_b32 s13, s14
	s_cbranch_execz .LBB10_1617
; %bb.1616:                             ;   in Loop: Header=BB10_1442 Depth=3
	global_wb scope:SCOPE_SYS
	s_wait_storecnt 0x0
	s_wait_loadcnt_dscnt 0x0
	flat_store_b32 v[70:71], v121 scope:SCOPE_SYS
.LBB10_1617:                            ;   in Loop: Header=BB10_1442 Depth=3
	s_wait_xcnt 0x0
	s_or_b32 exec_lo, exec_lo, s13
	v_and_b32_e32 v2, 48, v30
	s_mov_b32 s13, exec_lo
	s_delay_alu instid0(VALU_DEP_1)
	v_cmpx_ne_u32_e32 0, v2
	s_cbranch_execz .LBB10_1441
; %bb.1618:                             ;   in Loop: Header=BB10_1442 Depth=3
	v_add_nc_u64_e32 v[60:61], 2, v[60:61]
	global_wb scope:SCOPE_SYS
	s_wait_storecnt 0x0
	s_wait_loadcnt_dscnt 0x0
	flat_store_b64 v[64:65], v[60:61] scope:SCOPE_SYS
	s_branch .LBB10_1441
.LBB10_1619:                            ;   in Loop: Header=BB10_1439 Depth=2
	s_or_b32 exec_lo, exec_lo, s60
.LBB10_1620:                            ;   in Loop: Header=BB10_1439 Depth=2
	s_delay_alu instid0(SALU_CYCLE_1) | instskip(NEXT) | instid1(SALU_CYCLE_1)
	s_or_b32 exec_lo, exec_lo, s27
	s_mov_b32 s14, exec_lo
	v_cmpx_gt_i32_e32 2, v2
	s_cbranch_execz .LBB10_1696
; %bb.1621:                             ;   in Loop: Header=BB10_1439 Depth=2
	v_cmp_eq_u32_e64 s27, 0, v2
	s_mov_b32 s15, 0
	s_branch .LBB10_1623
.LBB10_1622:                            ;   in Loop: Header=BB10_1623 Depth=3
	s_wait_xcnt 0x0
	s_or_b32 exec_lo, exec_lo, s13
	v_add_nc_u32_e32 v14, v12, v14
	s_mov_b32 s27, 0
	s_and_not1_b32 exec_lo, exec_lo, s15
	s_cbranch_execz .LBB10_1695
.LBB10_1623:                            ;   Parent Loop BB10_47 Depth=1
                                        ;     Parent Loop BB10_1439 Depth=2
                                        ; =>    This Loop Header: Depth=3
                                        ;         Child Loop BB10_1629 Depth 4
                                        ;         Child Loop BB10_1657 Depth 4
	;; [unrolled: 1-line block ×3, first 2 shown]
	s_delay_alu instid0(VALU_DEP_1) | instskip(SKIP_2) | instid1(VALU_DEP_2)
	v_sub_nc_u32_e32 v2, v34, v14
	v_and_b32_e32 v8, 12, v30
	s_mov_b32 s40, exec_lo
	v_min_i32_e32 v12, v12, v2
	s_delay_alu instid0(VALU_DEP_2)
	v_cmpx_ne_u32_e32 0, v8
	s_cbranch_execz .LBB10_1649
; %bb.1624:                             ;   in Loop: Header=BB10_1623 Depth=3
	v_and_b32_e32 v2, 8, v30
	v_add_nc_u64_e32 v[8:9], 2, v[60:61]
	s_mov_b32 s41, exec_lo
	s_wait_loadcnt_dscnt 0x1
	s_delay_alu instid0(VALU_DEP_2) | instskip(NEXT) | instid1(VALU_DEP_1)
	v_add_nc_u64_e32 v[10:11], v[82:83], v[2:3]
	v_cmpx_lt_u64_e64 v[10:11], v[8:9]
	s_cbranch_execz .LBB10_1636
; %bb.1625:                             ;   in Loop: Header=BB10_1623 Depth=3
	v_and_b32_e32 v10, 64, v30
	s_mov_b32 s60, 0
	s_mov_b32 s72, 0
                                        ; implicit-def: $sgpr61
                                        ; implicit-def: $sgpr62
                                        ; implicit-def: $sgpr63
	s_delay_alu instid0(VALU_DEP_1)
	v_cmp_eq_u32_e32 vcc_lo, 0, v10
	s_branch .LBB10_1629
.LBB10_1626:                            ;   in Loop: Header=BB10_1629 Depth=4
	s_wait_loadcnt_dscnt 0x0
	v_add_nc_u64_e32 v[16:17], v[82:83], v[2:3]
	s_or_b32 s75, s75, exec_lo
	s_delay_alu instid0(VALU_DEP_1)
	v_cmp_ge_u64_e64 s13, v[16:17], v[8:9]
	s_or_not1_b32 s74, s13, exec_lo
.LBB10_1627:                            ;   in Loop: Header=BB10_1629 Depth=4
	s_or_b32 exec_lo, exec_lo, s77
	s_delay_alu instid0(SALU_CYCLE_1)
	s_and_not1_b32 s13, s63, exec_lo
	s_and_b32 s63, s75, exec_lo
	s_and_not1_b32 s62, s62, exec_lo
	s_and_b32 s74, s74, exec_lo
	s_or_b32 s63, s13, s63
	s_or_b32 s62, s62, s74
.LBB10_1628:                            ;   in Loop: Header=BB10_1629 Depth=4
	s_or_b32 exec_lo, exec_lo, s73
	s_delay_alu instid0(SALU_CYCLE_1) | instskip(NEXT) | instid1(SALU_CYCLE_1)
	s_and_b32 s13, exec_lo, s62
	s_or_b32 s60, s13, s60
	s_and_not1_b32 s13, s61, exec_lo
	s_and_b32 s61, s63, exec_lo
	s_delay_alu instid0(SALU_CYCLE_1)
	s_or_b32 s61, s13, s61
	s_and_not1_b32 exec_lo, exec_lo, s60
	s_cbranch_execz .LBB10_1633
.LBB10_1629:                            ;   Parent Loop BB10_47 Depth=1
                                        ;     Parent Loop BB10_1439 Depth=2
                                        ;       Parent Loop BB10_1623 Depth=3
                                        ; =>      This Inner Loop Header: Depth=4
	s_sleep 1
	s_wait_loadcnt_dscnt 0x0
	flat_load_b64 v[82:83], v[64:65] scope:SCOPE_SYS
	s_or_b32 s63, s63, exec_lo
	s_or_b32 s62, s62, exec_lo
                                        ; implicit-def: $vgpr10
	s_wait_xcnt 0x0
	s_and_saveexec_b32 s73, vcc_lo
	s_cbranch_execz .LBB10_1628
; %bb.1630:                             ;   in Loop: Header=BB10_1629 Depth=4
	s_cmp_lt_i32 s72, 0x270f
	s_mov_b32 s74, -1
	s_cselect_b32 s76, -1, 0
	s_cmp_gt_i32 s72, 0x270e
	s_cbranch_scc0 .LBB10_1632
; %bb.1631:                             ;   in Loop: Header=BB10_1629 Depth=4
	s_trap 2
	ds_load_b64 v[10:11], v0
	s_and_not1_b32 s72, s76, exec_lo
	s_mov_b32 s75, 0
	s_wait_storecnt 0x0
	s_wait_loadcnt_dscnt 0x0
	flat_load_b32 v10, v[10:11] scope:SCOPE_SYS
	s_wait_loadcnt_dscnt 0x0
	global_inv scope:SCOPE_SYS
	v_cmp_eq_u32_e64 s13, 0, v10
	s_and_b32 s13, s13, exec_lo
	s_delay_alu instid0(SALU_CYCLE_1)
	s_or_b32 s76, s72, s13
	s_mov_b32 s72, 0
	s_and_saveexec_b32 s77, s76
	s_cbranch_execz .LBB10_1627
	s_branch .LBB10_1626
.LBB10_1632:                            ;   in Loop: Header=BB10_1629 Depth=4
	s_add_co_i32 s72, s72, 1
	s_mov_b32 s75, -1
                                        ; implicit-def: $vgpr10
	s_and_saveexec_b32 s77, s76
	s_cbranch_execz .LBB10_1627
	s_branch .LBB10_1626
.LBB10_1633:                            ;   in Loop: Header=BB10_1623 Depth=3
	s_or_b32 exec_lo, exec_lo, s60
	s_xor_b32 s13, s61, -1
	s_delay_alu instid0(SALU_CYCLE_1) | instskip(NEXT) | instid1(SALU_CYCLE_1)
	s_and_saveexec_b32 s60, s13
	s_xor_b32 s13, exec_lo, s60
	s_cbranch_execz .LBB10_1635
; %bb.1634:                             ;   in Loop: Header=BB10_1623 Depth=3
	v_or_b32_e32 v30, 64, v30
	s_wait_storecnt 0x0
	s_wait_loadcnt_dscnt 0x0
	ds_store_b32 v0, v10
	s_trap 2
.LBB10_1635:                            ;   in Loop: Header=BB10_1623 Depth=3
	s_or_b32 exec_lo, exec_lo, s13
.LBB10_1636:                            ;   in Loop: Header=BB10_1623 Depth=3
	s_delay_alu instid0(SALU_CYCLE_1) | instskip(SKIP_2) | instid1(VALU_DEP_1)
	s_or_b32 exec_lo, exec_lo, s41
	v_and_b32_e32 v10, 0x108, v30
	;;#ASMSTART
	s_wakeup
	;;#ASMEND
	v_cmp_ne_u32_e32 vcc_lo, 0x108, v10
                                        ; implicit-def: $vgpr10_vgpr11
	s_and_saveexec_b32 s13, vcc_lo
	s_delay_alu instid0(SALU_CYCLE_1)
	s_xor_b32 s13, exec_lo, s13
; %bb.1637:                             ;   in Loop: Header=BB10_1623 Depth=3
	v_dual_mov_b32 v11, v3 :: v_dual_bitop2_b32 v10, 7, v60 bitop3:0x40
                                        ; implicit-def: $vgpr60_vgpr61
; %bb.1638:                             ;   in Loop: Header=BB10_1623 Depth=3
	s_and_not1_saveexec_b32 s13, s13
	s_cbranch_execz .LBB10_1640
; %bb.1639:                             ;   in Loop: Header=BB10_1623 Depth=3
	v_dual_mov_b32 v11, v3 :: v_dual_bitop2_b32 v10, 7, v60 bitop3:0x40
	v_ashrrev_i32_e32 v13, 31, v12
	s_delay_alu instid0(VALU_DEP_2) | instskip(NEXT) | instid1(VALU_DEP_2)
	v_mad_nc_u64_u32 v[16:17], v10, 24, v[6:7]
	v_lshlrev_b64_e32 v[18:19], 1, v[12:13]
	flat_store_b64 v[16:17], v[18:19] offset:8
.LBB10_1640:                            ;   in Loop: Header=BB10_1623 Depth=3
	s_wait_xcnt 0x0
	s_or_b32 exec_lo, exec_lo, s13
	v_and_b32_e32 v13, 0x100, v30
	s_mov_b32 s13, -1
	s_mov_b32 s41, exec_lo
                                        ; implicit-def: $vgpr16_vgpr17
	s_delay_alu instid0(VALU_DEP_1)
	v_cmpx_ne_u32_e32 0, v13
	s_cbranch_execz .LBB10_1644
; %bb.1641:                             ;   in Loop: Header=BB10_1623 Depth=3
	v_mad_nc_u64_u32 v[18:19], v10, 24, v[6:7]
	s_mov_b32 s60, exec_lo
                                        ; implicit-def: $vgpr16_vgpr17
	s_delay_alu instid0(VALU_DEP_1)
	v_mad_u32 v19, v11, 24, v19
	flat_load_b32 v13, v[18:19]
	s_wait_loadcnt_dscnt 0x0
	v_cmp_ne_u32_e32 vcc_lo, 1, v13
	s_wait_xcnt 0x0
	v_cmpx_eq_u32_e32 1, v13
	s_cbranch_execz .LBB10_1643
; %bb.1642:                             ;   in Loop: Header=BB10_1623 Depth=3
	flat_load_b32 v16, v[18:19] offset:4 scope:SCOPE_SYS
	s_wait_loadcnt_dscnt 0x0
	v_ashrrev_i32_e32 v17, 31, v16
	s_delay_alu instid0(VALU_DEP_1)
	v_lshrrev_b64 v[16:17], 1, v[16:17]
.LBB10_1643:                            ;   in Loop: Header=BB10_1623 Depth=3
	s_wait_xcnt 0x0
	s_or_b32 exec_lo, exec_lo, s60
	s_delay_alu instid0(SALU_CYCLE_1)
	s_or_not1_b32 s13, vcc_lo, exec_lo
.LBB10_1644:                            ;   in Loop: Header=BB10_1623 Depth=3
	s_or_b32 exec_lo, exec_lo, s41
	s_and_saveexec_b32 s41, s13
; %bb.1645:                             ;   in Loop: Header=BB10_1623 Depth=3
	v_mul_u64_e32 v[16:17], v[10:11], v[66:67]
; %bb.1646:                             ;   in Loop: Header=BB10_1623 Depth=3
	s_or_b32 exec_lo, exec_lo, s41
	v_cmp_eq_u32_e32 vcc_lo, 0, v2
	v_and_b32_e32 v13, 0x2000, v30
	s_delay_alu instid0(VALU_DEP_3) | instskip(SKIP_2) | instid1(VALU_DEP_1)
	v_lshl_add_u64 v[10:11], v[16:17], 1, v[68:69]
	s_mov_b32 s13, exec_lo
	v_cndmask_b32_e32 v2, 0xd0, v123, vcc_lo
	v_add_nc_u32_e32 v2, v0, v2
	ds_store_b64 v2, v[10:11] offset:584
	v_cmpx_ne_u32_e32 0, v13
	s_cbranch_execz .LBB10_1648
; %bb.1647:                             ;   in Loop: Header=BB10_1623 Depth=3
	ds_load_b64 v[10:11], v0 offset:872
	s_wait_dscnt 0x0
	v_add_nc_u64_e32 v[10:11], 1, v[10:11]
	ds_store_b64 v0, v[10:11] offset:872
.LBB10_1648:                            ;   in Loop: Header=BB10_1623 Depth=3
	s_or_b32 exec_lo, exec_lo, s13
	v_mov_b64_e32 v[60:61], v[8:9]
.LBB10_1649:                            ;   in Loop: Header=BB10_1623 Depth=3
	s_or_b32 exec_lo, exec_lo, s40
	s_xor_b32 s13, s27, -1
	s_delay_alu instid0(SALU_CYCLE_1) | instskip(NEXT) | instid1(SALU_CYCLE_1)
	s_and_b32 s13, exec_lo, s13
	s_or_b32 s15, s13, s15
	s_and_saveexec_b32 s13, s2
	s_cbranch_execz .LBB10_1668
; %bb.1650:                             ;   in Loop: Header=BB10_1623 Depth=3
	s_and_saveexec_b32 s27, s3
	s_delay_alu instid0(SALU_CYCLE_1)
	s_xor_b32 s27, exec_lo, s27
	s_cbranch_execz .LBB10_1665
; %bb.1651:                             ;   in Loop: Header=BB10_1623 Depth=3
	s_and_saveexec_b32 s40, s6
	s_cbranch_execz .LBB10_1664
; %bb.1652:                             ;   in Loop: Header=BB10_1623 Depth=3
	s_mov_b32 s60, exec_lo
	s_mov_b32 s41, exec_lo
	v_mbcnt_lo_u32_b32 v2, s60, 0
	global_wb scope:SCOPE_DEV
	s_wait_storecnt 0x0
	s_wait_loadcnt_dscnt 0x0
	global_inv scope:SCOPE_DEV
	v_cmpx_eq_u32_e32 0, v2
	s_cbranch_execz .LBB10_1654
; %bb.1653:                             ;   in Loop: Header=BB10_1623 Depth=3
	s_bcnt1_i32_b32 s60, s60
	s_delay_alu instid0(SALU_CYCLE_1)
	v_mov_b32_e32 v2, s60
	s_wait_loadcnt 0x0
	ds_add_u64 v0, v[2:3]
	s_trap 2
.LBB10_1654:                            ;   in Loop: Header=BB10_1623 Depth=3
	s_or_b32 exec_lo, exec_lo, s41
	s_trap 2
	ds_load_b64 v[8:9], v0
	s_wait_dscnt 0x0
	v_add_nc_u64_e32 v[80:81], v[80:81], v[84:85]
	s_mov_b32 s41, exec_lo
	s_delay_alu instid0(VALU_DEP_1)
	v_cmpx_lt_u64_e64 v[8:9], v[80:81]
	s_cbranch_execz .LBB10_1663
; %bb.1655:                             ;   in Loop: Header=BB10_1623 Depth=3
	s_mov_b32 s60, 0
	s_mov_b32 s63, 0
                                        ; implicit-def: $sgpr61
                                        ; implicit-def: $sgpr62
	s_branch .LBB10_1657
.LBB10_1656:                            ;   in Loop: Header=BB10_1657 Depth=4
	s_or_b32 exec_lo, exec_lo, s73
	s_delay_alu instid0(SALU_CYCLE_1) | instskip(NEXT) | instid1(SALU_CYCLE_1)
	s_and_b32 s72, exec_lo, s74
	s_or_b32 s60, s72, s60
	s_and_not1_b32 s61, s61, exec_lo
	s_and_b32 s72, s62, exec_lo
	s_delay_alu instid0(SALU_CYCLE_1)
	s_or_b32 s61, s61, s72
	s_and_not1_b32 exec_lo, exec_lo, s60
	s_cbranch_execz .LBB10_1661
.LBB10_1657:                            ;   Parent Loop BB10_47 Depth=1
                                        ;     Parent Loop BB10_1439 Depth=2
                                        ;       Parent Loop BB10_1623 Depth=3
                                        ; =>      This Inner Loop Header: Depth=4
	s_add_co_i32 s63, s63, 1
	s_delay_alu instid0(SALU_CYCLE_1) | instskip(SKIP_1) | instid1(SALU_CYCLE_1)
	s_cmp_lg_u32 s63, 0x2710
	s_cselect_b32 s72, -1, 0
	s_and_b32 vcc_lo, exec_lo, s72
	s_cbranch_vccz .LBB10_1659
; %bb.1658:                             ;   in Loop: Header=BB10_1657 Depth=4
	s_mov_b32 s74, -1
	s_or_b32 s62, s62, exec_lo
	s_and_saveexec_b32 s73, s72
	s_cbranch_execz .LBB10_1656
	s_branch .LBB10_1660
.LBB10_1659:                            ;   in Loop: Header=BB10_1657 Depth=4
	s_trap 2
	ds_load_b64 v[8:9], v0
	s_and_not1_b32 s72, s72, exec_lo
	s_mov_b32 s63, 0
	s_wait_loadcnt_dscnt 0x0
	flat_load_b32 v2, v[8:9] scope:SCOPE_SYS
	s_wait_loadcnt_dscnt 0x0
	global_inv scope:SCOPE_SYS
	v_cmp_eq_u32_e32 vcc_lo, 0, v2
	s_and_b32 s73, vcc_lo, exec_lo
	s_delay_alu instid0(SALU_CYCLE_1)
	s_or_b32 s72, s72, s73
	s_mov_b32 s74, -1
	s_or_b32 s62, s62, exec_lo
	s_and_saveexec_b32 s73, s72
	s_cbranch_execz .LBB10_1656
.LBB10_1660:                            ;   in Loop: Header=BB10_1657 Depth=4
	s_sleep 1
	s_trap 2
	ds_load_b64 v[8:9], v0
	s_wait_dscnt 0x0
	s_and_not1_b32 s62, s62, exec_lo
	v_cmp_ge_u64_e32 vcc_lo, v[8:9], v[80:81]
	s_or_not1_b32 s74, vcc_lo, exec_lo
	s_branch .LBB10_1656
.LBB10_1661:                            ;   in Loop: Header=BB10_1623 Depth=3
	s_or_b32 exec_lo, exec_lo, s60
	s_and_saveexec_b32 s60, s61
	s_delay_alu instid0(SALU_CYCLE_1)
	s_xor_b32 s60, exec_lo, s60
	s_cbranch_execz .LBB10_1663
; %bb.1662:                             ;   in Loop: Header=BB10_1623 Depth=3
	ds_store_b32 v0, v121
	s_trap 2
.LBB10_1663:                            ;   in Loop: Header=BB10_1623 Depth=3
	s_or_b32 exec_lo, exec_lo, s41
	;;#ASMSTART
	s_wakeup
	;;#ASMEND
.LBB10_1664:                            ;   in Loop: Header=BB10_1623 Depth=3
	s_or_b32 exec_lo, exec_lo, s40
.LBB10_1665:                            ;   in Loop: Header=BB10_1623 Depth=3
	s_and_not1_saveexec_b32 s27, s27
	s_cbranch_execz .LBB10_1667
; %bb.1666:                             ;   in Loop: Header=BB10_1623 Depth=3
	global_wb scope:SCOPE_DEV
	s_wait_storecnt 0x0
	s_wait_loadcnt_dscnt 0x0
	global_inv scope:SCOPE_DEV
	s_barrier_signal -1
	s_barrier_wait -1
.LBB10_1667:                            ;   in Loop: Header=BB10_1623 Depth=3
	s_or_b32 exec_lo, exec_lo, s27
.LBB10_1668:                            ;   in Loop: Header=BB10_1623 Depth=3
	s_delay_alu instid0(SALU_CYCLE_1) | instskip(SKIP_1) | instid1(SALU_CYCLE_1)
	s_or_b32 exec_lo, exec_lo, s13
                                        ; implicit-def: $vgpr2
	s_and_saveexec_b32 s13, s10
	s_xor_b32 s27, exec_lo, s13
	s_cbranch_execz .LBB10_1672
; %bb.1669:                             ;   in Loop: Header=BB10_1623 Depth=3
	s_trap 2
	ds_load_b32 v2, v0
	v_cmp_lt_i32_e32 vcc_lo, 0, v12
	s_wait_dscnt 0x0
	v_readfirstlane_b32 s13, v2
	v_and_b32_e32 v2, 16, v30
	s_cmp_eq_u32 s13, 0
	s_delay_alu instid0(VALU_DEP_1) | instskip(SKIP_3) | instid1(SALU_CYCLE_1)
	v_cmp_ne_u32_e64 s13, 0, v2
	s_cselect_b32 s40, -1, 0
	v_and_b32_e32 v2, 16, v30
	s_and_b32 s40, vcc_lo, s40
	s_and_b32 s40, s13, s40
	s_delay_alu instid0(SALU_CYCLE_1)
	s_and_saveexec_b32 s13, s40
	s_cbranch_execz .LBB10_1671
; %bb.1670:                             ;   in Loop: Header=BB10_1623 Depth=3
	v_mov_b32_e32 v2, 1
	global_wb scope:SCOPE_SYS
	s_wait_loadcnt 0x0
	s_wait_storecnt 0x0
	global_inv scope:SCOPE_SYS
.LBB10_1671:                            ;   in Loop: Header=BB10_1623 Depth=3
	s_or_b32 exec_lo, exec_lo, s13
	s_and_not1_saveexec_b32 s13, s27
	s_cbranch_execz .LBB10_1691
	s_branch .LBB10_1673
.LBB10_1672:                            ;   in Loop: Header=BB10_1623 Depth=3
	s_and_not1_saveexec_b32 s13, s27
	s_cbranch_execz .LBB10_1691
.LBB10_1673:                            ;   in Loop: Header=BB10_1623 Depth=3
	s_and_saveexec_b32 s27, s3
	s_delay_alu instid0(SALU_CYCLE_1)
	s_xor_b32 s27, exec_lo, s27
	s_cbranch_execz .LBB10_1688
; %bb.1674:                             ;   in Loop: Header=BB10_1623 Depth=3
	s_and_saveexec_b32 s40, s6
	s_cbranch_execz .LBB10_1687
; %bb.1675:                             ;   in Loop: Header=BB10_1623 Depth=3
	s_mov_b32 s60, exec_lo
	s_mov_b32 s41, exec_lo
	v_mbcnt_lo_u32_b32 v2, s60, 0
	;;#ASMSTART
	s_waitcnt lgkmcnt(0) vmcnt(0)
	;;#ASMEND
	s_delay_alu instid0(VALU_DEP_1)
	v_cmpx_eq_u32_e32 0, v2
	s_cbranch_execz .LBB10_1677
; %bb.1676:                             ;   in Loop: Header=BB10_1623 Depth=3
	s_bcnt1_i32_b32 s60, s60
	s_delay_alu instid0(SALU_CYCLE_1)
	v_mov_b32_e32 v2, s60
	s_wait_storecnt 0x0
	s_wait_loadcnt_dscnt 0x0
	ds_add_u64 v0, v[2:3]
	s_trap 2
.LBB10_1677:                            ;   in Loop: Header=BB10_1623 Depth=3
	s_or_b32 exec_lo, exec_lo, s41
	s_trap 2
	ds_load_b64 v[8:9], v0
	s_wait_dscnt 0x0
	v_add_nc_u64_e32 v[80:81], v[80:81], v[84:85]
	s_mov_b32 s41, exec_lo
	s_delay_alu instid0(VALU_DEP_1)
	v_cmpx_lt_u64_e64 v[8:9], v[80:81]
	s_cbranch_execz .LBB10_1686
; %bb.1678:                             ;   in Loop: Header=BB10_1623 Depth=3
	s_mov_b32 s60, 0
	s_mov_b32 s63, 0
                                        ; implicit-def: $sgpr61
                                        ; implicit-def: $sgpr62
	s_branch .LBB10_1680
.LBB10_1679:                            ;   in Loop: Header=BB10_1680 Depth=4
	s_or_b32 exec_lo, exec_lo, s73
	s_delay_alu instid0(SALU_CYCLE_1) | instskip(NEXT) | instid1(SALU_CYCLE_1)
	s_and_b32 s72, exec_lo, s74
	s_or_b32 s60, s72, s60
	s_and_not1_b32 s61, s61, exec_lo
	s_and_b32 s72, s62, exec_lo
	s_delay_alu instid0(SALU_CYCLE_1)
	s_or_b32 s61, s61, s72
	s_and_not1_b32 exec_lo, exec_lo, s60
	s_cbranch_execz .LBB10_1684
.LBB10_1680:                            ;   Parent Loop BB10_47 Depth=1
                                        ;     Parent Loop BB10_1439 Depth=2
                                        ;       Parent Loop BB10_1623 Depth=3
                                        ; =>      This Inner Loop Header: Depth=4
	s_add_co_i32 s63, s63, 1
	s_delay_alu instid0(SALU_CYCLE_1) | instskip(SKIP_1) | instid1(SALU_CYCLE_1)
	s_cmp_lg_u32 s63, 0x2710
	s_cselect_b32 s72, -1, 0
	s_and_b32 vcc_lo, exec_lo, s72
	s_cbranch_vccz .LBB10_1682
; %bb.1681:                             ;   in Loop: Header=BB10_1680 Depth=4
	s_mov_b32 s74, -1
	s_or_b32 s62, s62, exec_lo
	s_and_saveexec_b32 s73, s72
	s_cbranch_execz .LBB10_1679
	s_branch .LBB10_1683
.LBB10_1682:                            ;   in Loop: Header=BB10_1680 Depth=4
	s_trap 2
	ds_load_b64 v[8:9], v0
	s_and_not1_b32 s72, s72, exec_lo
	s_mov_b32 s63, 0
	s_wait_storecnt 0x0
	s_wait_loadcnt_dscnt 0x0
	flat_load_b32 v2, v[8:9] scope:SCOPE_SYS
	s_wait_loadcnt_dscnt 0x0
	global_inv scope:SCOPE_SYS
	v_cmp_eq_u32_e32 vcc_lo, 0, v2
	s_and_b32 s73, vcc_lo, exec_lo
	s_delay_alu instid0(SALU_CYCLE_1)
	s_or_b32 s72, s72, s73
	s_mov_b32 s74, -1
	s_or_b32 s62, s62, exec_lo
	s_and_saveexec_b32 s73, s72
	s_cbranch_execz .LBB10_1679
.LBB10_1683:                            ;   in Loop: Header=BB10_1680 Depth=4
	s_sleep 1
	s_trap 2
	ds_load_b64 v[8:9], v0
	s_wait_dscnt 0x0
	s_and_not1_b32 s62, s62, exec_lo
	v_cmp_ge_u64_e32 vcc_lo, v[8:9], v[80:81]
	s_or_not1_b32 s74, vcc_lo, exec_lo
	s_branch .LBB10_1679
.LBB10_1684:                            ;   in Loop: Header=BB10_1623 Depth=3
	s_or_b32 exec_lo, exec_lo, s60
	s_and_saveexec_b32 s60, s61
	s_delay_alu instid0(SALU_CYCLE_1)
	s_xor_b32 s60, exec_lo, s60
	s_cbranch_execz .LBB10_1686
; %bb.1685:                             ;   in Loop: Header=BB10_1623 Depth=3
	ds_store_b32 v0, v121
	s_trap 2
.LBB10_1686:                            ;   in Loop: Header=BB10_1623 Depth=3
	s_or_b32 exec_lo, exec_lo, s41
	;;#ASMSTART
	s_wakeup
	;;#ASMEND
.LBB10_1687:                            ;   in Loop: Header=BB10_1623 Depth=3
	s_or_b32 exec_lo, exec_lo, s40
.LBB10_1688:                            ;   in Loop: Header=BB10_1623 Depth=3
	s_and_not1_saveexec_b32 s27, s27
	s_cbranch_execz .LBB10_1690
; %bb.1689:                             ;   in Loop: Header=BB10_1623 Depth=3
	;;#ASMSTART
	s_waitcnt lgkmcnt(0) vmcnt(0)
	;;#ASMEND
	s_barrier_signal -1
	s_barrier_wait -1
.LBB10_1690:                            ;   in Loop: Header=BB10_1623 Depth=3
	s_or_b32 exec_lo, exec_lo, s27
	v_and_b32_e32 v2, 16, v30
.LBB10_1691:                            ;   in Loop: Header=BB10_1623 Depth=3
	s_or_b32 exec_lo, exec_lo, s13
	s_delay_alu instid0(VALU_DEP_1) | instskip(SKIP_1) | instid1(SALU_CYCLE_1)
	v_cmp_ne_u32_e32 vcc_lo, 0, v2
	s_xor_b32 s13, s4, -1
	s_and_b32 s27, vcc_lo, s13
	s_delay_alu instid0(SALU_CYCLE_1)
	s_and_saveexec_b32 s13, s27
	s_cbranch_execz .LBB10_1693
; %bb.1692:                             ;   in Loop: Header=BB10_1623 Depth=3
	global_wb scope:SCOPE_SYS
	s_wait_storecnt 0x0
	s_wait_loadcnt_dscnt 0x0
	flat_store_b32 v[70:71], v121 scope:SCOPE_SYS
.LBB10_1693:                            ;   in Loop: Header=BB10_1623 Depth=3
	s_wait_xcnt 0x0
	s_or_b32 exec_lo, exec_lo, s13
	v_and_b32_e32 v2, 48, v30
	s_mov_b32 s13, exec_lo
	s_delay_alu instid0(VALU_DEP_1)
	v_cmpx_ne_u32_e32 0, v2
	s_cbranch_execz .LBB10_1622
; %bb.1694:                             ;   in Loop: Header=BB10_1623 Depth=3
	v_add_nc_u64_e32 v[60:61], 2, v[60:61]
	global_wb scope:SCOPE_SYS
	s_wait_storecnt 0x0
	s_wait_loadcnt_dscnt 0x0
	flat_store_b64 v[64:65], v[60:61] scope:SCOPE_SYS
	s_branch .LBB10_1622
.LBB10_1695:                            ;   in Loop: Header=BB10_1439 Depth=2
	s_or_b32 exec_lo, exec_lo, s15
.LBB10_1696:                            ;   in Loop: Header=BB10_1439 Depth=2
	s_delay_alu instid0(SALU_CYCLE_1)
	s_or_b32 exec_lo, exec_lo, s14
	s_add_co_i32 s13, s18, 1
	s_cmp_eq_u32 s18, s56
	s_cbranch_scc1 .LBB10_1698
; %bb.1697:                             ;   in Loop: Header=BB10_1439 Depth=2
	s_mov_b32 s18, s13
	s_branch .LBB10_1439
.LBB10_1698:                            ;   in Loop: Header=BB10_47 Depth=1
	v_mul_u64_e32 v[10:11], s[28:29], v[58:59]
	s_delay_alu instid0(VALU_DEP_1) | instskip(NEXT) | instid1(VALU_DEP_1)
	v_sub_nc_u64_e32 v[8:9], v[62:63], v[10:11]
	v_min_i64 v[8:9], v[58:59], v[8:9]
	s_delay_alu instid0(VALU_DEP_1) | instskip(SKIP_1) | instid1(VALU_DEP_2)
	v_max_i32_e32 v22, 0, v8
	v_cmp_lt_i32_e32 vcc_lo, 0, v8
	v_dual_mov_b32 v8, 0 :: v_dual_add_nc_u32 v2, 31, v22
	s_and_b32 s13, s57, vcc_lo
	s_delay_alu instid0(VALU_DEP_1) | instskip(NEXT) | instid1(VALU_DEP_1)
	v_lshrrev_b32_e32 v2, 1, v2
	v_and_b32_e32 v9, 0x3ffffff0, v2
	s_delay_alu instid0(VALU_DEP_1)
	v_dual_mov_b32 v2, 0 :: v_dual_max_i32 v23, s45, v9
	s_and_saveexec_b32 s14, s13
	s_cbranch_execz .LBB10_1838
; %bb.1699:                             ;   in Loop: Header=BB10_47 Depth=1
	v_add_nc_u64_e32 v[8:9], v[10:11], v[72:73]
	s_mov_b32 s27, 1
	s_mov_b32 s18, -1
	s_mov_b32 s15, 0
	s_delay_alu instid0(VALU_DEP_1)
	v_lshlrev_b64_e32 v[10:11], 1, v[8:9]
	v_mov_b32_e32 v8, 0
	s_branch .LBB10_1701
.LBB10_1700:                            ;   in Loop: Header=BB10_1701 Depth=2
	s_wait_xcnt 0x0
	s_or_b32 exec_lo, exec_lo, s13
	v_dual_add_nc_u32 v8, v23, v8 :: v_dual_mov_b32 v2, s27
	s_xor_b32 s13, s18, -1
	s_mov_b32 s18, 0
	s_mov_b32 s27, 2
	s_delay_alu instid0(VALU_DEP_1) | instskip(SKIP_1) | instid1(SALU_CYCLE_1)
	v_cmp_ge_i32_e32 vcc_lo, v8, v22
	s_or_b32 s13, s13, vcc_lo
	s_and_b32 s13, exec_lo, s13
	s_delay_alu instid0(SALU_CYCLE_1) | instskip(NEXT) | instid1(SALU_CYCLE_1)
	s_or_b32 s15, s13, s15
	s_and_not1_b32 exec_lo, exec_lo, s15
	s_cbranch_execz .LBB10_1837
.LBB10_1701:                            ;   Parent Loop BB10_47 Depth=1
                                        ; =>  This Loop Header: Depth=2
                                        ;       Child Loop BB10_1709 Depth 3
                                        ;       Child Loop BB10_1733 Depth 3
	;; [unrolled: 1-line block ×9, first 2 shown]
	s_and_saveexec_b32 s13, s0
	s_cbranch_execz .LBB10_1703
; %bb.1702:                             ;   in Loop: Header=BB10_1701 Depth=2
	s_trap 2
	ds_load_b128 v[12:15], v0
	s_wait_dscnt 0x0
	v_cmp_ne_u64_e32 vcc_lo, 0, v[14:15]
	v_ashrrev_i32_e32 v9, 31, v8
	v_add_nc_u64_e32 v[18:19], v[14:15], v[10:11]
	v_add_nc_u64_e32 v[12:13], v[12:13], v[10:11]
	s_delay_alu instid0(VALU_DEP_3) | instskip(NEXT) | instid1(VALU_DEP_1)
	v_lshlrev_b64_e32 v[16:17], 1, v[8:9]
	v_add_nc_u64_e32 v[18:19], v[18:19], v[16:17]
	s_delay_alu instid0(VALU_DEP_3) | instskip(NEXT) | instid1(VALU_DEP_2)
	v_add_nc_u64_e32 v[12:13], v[12:13], v[16:17]
	v_dual_cndmask_b32 v15, 0, v19 :: v_dual_cndmask_b32 v14, 0, v18
	ds_store_b64 v0, v[12:13]
	ds_store_b64 v0, v[14:15]
.LBB10_1703:                            ;   in Loop: Header=BB10_1701 Depth=2
	s_or_b32 exec_lo, exec_lo, s13
	v_and_b32_e32 v2, 4, v30
	s_mov_b32 s40, exec_lo
	s_delay_alu instid0(VALU_DEP_1)
	v_cmpx_ne_u32_e32 0, v2
	s_cbranch_execz .LBB10_1725
; %bb.1704:                             ;   in Loop: Header=BB10_1701 Depth=2
	v_add_nc_u64_e32 v[12:13], 2, v[60:61]
	s_mov_b32 s41, exec_lo
	s_wait_loadcnt_dscnt 0x1
	s_delay_alu instid0(VALU_DEP_1)
	v_cmpx_lt_u64_e64 v[82:83], v[12:13]
	s_cbranch_execz .LBB10_1716
; %bb.1705:                             ;   in Loop: Header=BB10_1701 Depth=2
	v_and_b32_e32 v2, 64, v30
	s_mov_b32 s60, 0
	s_mov_b32 s72, 0
                                        ; implicit-def: $sgpr61
                                        ; implicit-def: $sgpr62
                                        ; implicit-def: $sgpr63
	s_delay_alu instid0(VALU_DEP_1)
	v_cmp_eq_u32_e32 vcc_lo, 0, v2
	s_branch .LBB10_1709
.LBB10_1706:                            ;   in Loop: Header=BB10_1709 Depth=3
	s_wait_loadcnt_dscnt 0x0
	v_cmp_ge_u64_e64 s13, v[82:83], v[12:13]
	s_or_b32 s75, s75, exec_lo
	s_or_not1_b32 s74, s13, exec_lo
.LBB10_1707:                            ;   in Loop: Header=BB10_1709 Depth=3
	s_or_b32 exec_lo, exec_lo, s77
	s_delay_alu instid0(SALU_CYCLE_1)
	s_and_not1_b32 s13, s63, exec_lo
	s_and_b32 s63, s75, exec_lo
	s_and_not1_b32 s62, s62, exec_lo
	s_and_b32 s74, s74, exec_lo
	s_or_b32 s63, s13, s63
	s_or_b32 s62, s62, s74
.LBB10_1708:                            ;   in Loop: Header=BB10_1709 Depth=3
	s_or_b32 exec_lo, exec_lo, s73
	s_delay_alu instid0(SALU_CYCLE_1) | instskip(NEXT) | instid1(SALU_CYCLE_1)
	s_and_b32 s13, exec_lo, s62
	s_or_b32 s60, s13, s60
	s_and_not1_b32 s13, s61, exec_lo
	s_and_b32 s61, s63, exec_lo
	s_delay_alu instid0(SALU_CYCLE_1)
	s_or_b32 s61, s13, s61
	s_and_not1_b32 exec_lo, exec_lo, s60
	s_cbranch_execz .LBB10_1713
.LBB10_1709:                            ;   Parent Loop BB10_47 Depth=1
                                        ;     Parent Loop BB10_1701 Depth=2
                                        ; =>    This Inner Loop Header: Depth=3
	s_sleep 1
	s_wait_loadcnt_dscnt 0x0
	flat_load_b64 v[82:83], v[64:65] scope:SCOPE_SYS
	s_or_b32 s63, s63, exec_lo
	s_or_b32 s62, s62, exec_lo
                                        ; implicit-def: $vgpr2
	s_wait_xcnt 0x0
	s_and_saveexec_b32 s73, vcc_lo
	s_cbranch_execz .LBB10_1708
; %bb.1710:                             ;   in Loop: Header=BB10_1709 Depth=3
	s_cmp_lt_i32 s72, 0x270f
	s_mov_b32 s74, -1
	s_cselect_b32 s76, -1, 0
	s_cmp_gt_i32 s72, 0x270e
	s_cbranch_scc0 .LBB10_1712
; %bb.1711:                             ;   in Loop: Header=BB10_1709 Depth=3
	s_trap 2
	ds_load_b64 v[14:15], v0
	s_and_not1_b32 s72, s76, exec_lo
	s_mov_b32 s75, 0
	s_wait_storecnt 0x0
	s_wait_loadcnt_dscnt 0x0
	flat_load_b32 v2, v[14:15] scope:SCOPE_SYS
	s_wait_loadcnt_dscnt 0x0
	global_inv scope:SCOPE_SYS
	v_cmp_eq_u32_e64 s13, 0, v2
	s_and_b32 s13, s13, exec_lo
	s_delay_alu instid0(SALU_CYCLE_1)
	s_or_b32 s76, s72, s13
	s_mov_b32 s72, 0
	s_and_saveexec_b32 s77, s76
	s_cbranch_execz .LBB10_1707
	s_branch .LBB10_1706
.LBB10_1712:                            ;   in Loop: Header=BB10_1709 Depth=3
	s_add_co_i32 s72, s72, 1
	s_mov_b32 s75, -1
                                        ; implicit-def: $vgpr2
	s_and_saveexec_b32 s77, s76
	s_cbranch_execz .LBB10_1707
	s_branch .LBB10_1706
.LBB10_1713:                            ;   in Loop: Header=BB10_1701 Depth=2
	s_or_b32 exec_lo, exec_lo, s60
	s_xor_b32 s13, s61, -1
	s_delay_alu instid0(SALU_CYCLE_1) | instskip(NEXT) | instid1(SALU_CYCLE_1)
	s_and_saveexec_b32 s60, s13
	s_xor_b32 s13, exec_lo, s60
	s_cbranch_execz .LBB10_1715
; %bb.1714:                             ;   in Loop: Header=BB10_1701 Depth=2
	v_or_b32_e32 v30, 64, v30
	s_wait_storecnt 0x0
	s_wait_loadcnt_dscnt 0x0
	ds_store_b32 v0, v2
	s_trap 2
.LBB10_1715:                            ;   in Loop: Header=BB10_1701 Depth=2
	s_or_b32 exec_lo, exec_lo, s13
.LBB10_1716:                            ;   in Loop: Header=BB10_1701 Depth=2
	s_delay_alu instid0(SALU_CYCLE_1) | instskip(SKIP_3) | instid1(VALU_DEP_1)
	s_or_b32 exec_lo, exec_lo, s41
	v_and_b32_e32 v2, 0x100, v30
	s_mov_b32 s13, -1
	;;#ASMSTART
	s_wakeup
	;;#ASMEND
                                        ; implicit-def: $vgpr14_vgpr15
	v_cmp_ne_u32_e32 vcc_lo, 0, v2
	v_and_b32_e32 v2, 7, v60
	s_and_saveexec_b32 s41, vcc_lo
	s_cbranch_execz .LBB10_1720
; %bb.1717:                             ;   in Loop: Header=BB10_1701 Depth=2
	s_delay_alu instid0(VALU_DEP_1)
	v_mad_nc_u64_u32 v[16:17], v2, 24, v[6:7]
	s_mov_b32 s60, exec_lo
                                        ; implicit-def: $vgpr14_vgpr15
	flat_load_b32 v9, v[16:17]
	s_wait_loadcnt_dscnt 0x0
	v_cmp_ne_u32_e32 vcc_lo, 1, v9
	s_wait_xcnt 0x0
	v_cmpx_eq_u32_e32 1, v9
	s_cbranch_execz .LBB10_1719
; %bb.1718:                             ;   in Loop: Header=BB10_1701 Depth=2
	flat_load_b32 v14, v[16:17] offset:4 scope:SCOPE_SYS
	s_wait_loadcnt_dscnt 0x0
	v_ashrrev_i32_e32 v15, 31, v14
	s_delay_alu instid0(VALU_DEP_1)
	v_lshrrev_b64 v[14:15], 1, v[14:15]
.LBB10_1719:                            ;   in Loop: Header=BB10_1701 Depth=2
	s_wait_xcnt 0x0
	s_or_b32 exec_lo, exec_lo, s60
	s_delay_alu instid0(SALU_CYCLE_1)
	s_or_not1_b32 s13, vcc_lo, exec_lo
.LBB10_1720:                            ;   in Loop: Header=BB10_1701 Depth=2
	s_or_b32 exec_lo, exec_lo, s41
	s_and_saveexec_b32 s41, s13
; %bb.1721:                             ;   in Loop: Header=BB10_1701 Depth=2
	v_mul_u64_e32 v[14:15], v[2:3], v[66:67]
; %bb.1722:                             ;   in Loop: Header=BB10_1701 Depth=2
	s_or_b32 exec_lo, exec_lo, s41
	v_and_b32_e32 v2, 0x2000, v30
	s_delay_alu instid0(VALU_DEP_2)
	v_lshl_add_u64 v[14:15], v[14:15], 1, v[68:69]
	s_mov_b32 s13, exec_lo
	ds_store_b64 v0, v[14:15] offset:720
	v_cmpx_ne_u32_e32 0, v2
	s_cbranch_execz .LBB10_1724
; %bb.1723:                             ;   in Loop: Header=BB10_1701 Depth=2
	ds_load_b64 v[14:15], v0 offset:872
	s_wait_dscnt 0x0
	v_add_nc_u64_e32 v[14:15], 1, v[14:15]
	ds_store_b64 v0, v[14:15] offset:872
.LBB10_1724:                            ;   in Loop: Header=BB10_1701 Depth=2
	s_or_b32 exec_lo, exec_lo, s13
	v_mov_b64_e32 v[60:61], v[12:13]
.LBB10_1725:                            ;   in Loop: Header=BB10_1701 Depth=2
	s_or_b32 exec_lo, exec_lo, s40
	s_and_saveexec_b32 s13, s2
	s_cbranch_execz .LBB10_1744
; %bb.1726:                             ;   in Loop: Header=BB10_1701 Depth=2
	s_and_saveexec_b32 s40, s3
	s_delay_alu instid0(SALU_CYCLE_1)
	s_xor_b32 s40, exec_lo, s40
	s_cbranch_execz .LBB10_1741
; %bb.1727:                             ;   in Loop: Header=BB10_1701 Depth=2
	s_and_saveexec_b32 s41, s6
	s_cbranch_execz .LBB10_1740
; %bb.1728:                             ;   in Loop: Header=BB10_1701 Depth=2
	s_mov_b32 s61, exec_lo
	s_mov_b32 s60, exec_lo
	v_mbcnt_lo_u32_b32 v2, s61, 0
	global_wb scope:SCOPE_DEV
	s_wait_storecnt 0x0
	s_wait_loadcnt_dscnt 0x0
	global_inv scope:SCOPE_DEV
	v_cmpx_eq_u32_e32 0, v2
	s_cbranch_execz .LBB10_1730
; %bb.1729:                             ;   in Loop: Header=BB10_1701 Depth=2
	s_bcnt1_i32_b32 s61, s61
	s_delay_alu instid0(SALU_CYCLE_1)
	v_mov_b32_e32 v2, s61
	s_wait_loadcnt 0x0
	ds_add_u64 v0, v[2:3]
	s_trap 2
.LBB10_1730:                            ;   in Loop: Header=BB10_1701 Depth=2
	s_or_b32 exec_lo, exec_lo, s60
	s_trap 2
	ds_load_b64 v[12:13], v0
	s_wait_dscnt 0x0
	v_add_nc_u64_e32 v[80:81], v[80:81], v[84:85]
	s_mov_b32 s60, exec_lo
	s_delay_alu instid0(VALU_DEP_1)
	v_cmpx_lt_u64_e64 v[12:13], v[80:81]
	s_cbranch_execz .LBB10_1739
; %bb.1731:                             ;   in Loop: Header=BB10_1701 Depth=2
	s_mov_b32 s61, 0
	s_mov_b32 s72, 0
                                        ; implicit-def: $sgpr62
                                        ; implicit-def: $sgpr63
	s_branch .LBB10_1733
.LBB10_1732:                            ;   in Loop: Header=BB10_1733 Depth=3
	s_or_b32 exec_lo, exec_lo, s74
	s_delay_alu instid0(SALU_CYCLE_1) | instskip(NEXT) | instid1(SALU_CYCLE_1)
	s_and_b32 s73, exec_lo, s75
	s_or_b32 s61, s73, s61
	s_and_not1_b32 s62, s62, exec_lo
	s_and_b32 s73, s63, exec_lo
	s_delay_alu instid0(SALU_CYCLE_1)
	s_or_b32 s62, s62, s73
	s_and_not1_b32 exec_lo, exec_lo, s61
	s_cbranch_execz .LBB10_1737
.LBB10_1733:                            ;   Parent Loop BB10_47 Depth=1
                                        ;     Parent Loop BB10_1701 Depth=2
                                        ; =>    This Inner Loop Header: Depth=3
	s_add_co_i32 s72, s72, 1
	s_delay_alu instid0(SALU_CYCLE_1) | instskip(SKIP_1) | instid1(SALU_CYCLE_1)
	s_cmp_lg_u32 s72, 0x2710
	s_cselect_b32 s73, -1, 0
	s_and_b32 vcc_lo, exec_lo, s73
	s_cbranch_vccz .LBB10_1735
; %bb.1734:                             ;   in Loop: Header=BB10_1733 Depth=3
	s_mov_b32 s75, -1
	s_or_b32 s63, s63, exec_lo
	s_and_saveexec_b32 s74, s73
	s_cbranch_execz .LBB10_1732
	s_branch .LBB10_1736
.LBB10_1735:                            ;   in Loop: Header=BB10_1733 Depth=3
	s_trap 2
	ds_load_b64 v[12:13], v0
	s_and_not1_b32 s73, s73, exec_lo
	s_mov_b32 s72, 0
	s_wait_loadcnt_dscnt 0x0
	flat_load_b32 v2, v[12:13] scope:SCOPE_SYS
	s_wait_loadcnt_dscnt 0x0
	global_inv scope:SCOPE_SYS
	v_cmp_eq_u32_e32 vcc_lo, 0, v2
	s_and_b32 s74, vcc_lo, exec_lo
	s_delay_alu instid0(SALU_CYCLE_1)
	s_or_b32 s73, s73, s74
	s_mov_b32 s75, -1
	s_or_b32 s63, s63, exec_lo
	s_and_saveexec_b32 s74, s73
	s_cbranch_execz .LBB10_1732
.LBB10_1736:                            ;   in Loop: Header=BB10_1733 Depth=3
	s_sleep 1
	s_trap 2
	ds_load_b64 v[12:13], v0
	s_wait_dscnt 0x0
	s_and_not1_b32 s63, s63, exec_lo
	v_cmp_ge_u64_e32 vcc_lo, v[12:13], v[80:81]
	s_or_not1_b32 s75, vcc_lo, exec_lo
	s_branch .LBB10_1732
.LBB10_1737:                            ;   in Loop: Header=BB10_1701 Depth=2
	s_or_b32 exec_lo, exec_lo, s61
	s_and_saveexec_b32 s61, s62
	s_delay_alu instid0(SALU_CYCLE_1)
	s_xor_b32 s61, exec_lo, s61
	s_cbranch_execz .LBB10_1739
; %bb.1738:                             ;   in Loop: Header=BB10_1701 Depth=2
	ds_store_b32 v0, v121
	s_trap 2
.LBB10_1739:                            ;   in Loop: Header=BB10_1701 Depth=2
	s_or_b32 exec_lo, exec_lo, s60
	;;#ASMSTART
	s_wakeup
	;;#ASMEND
.LBB10_1740:                            ;   in Loop: Header=BB10_1701 Depth=2
	s_or_b32 exec_lo, exec_lo, s41
.LBB10_1741:                            ;   in Loop: Header=BB10_1701 Depth=2
	s_and_not1_saveexec_b32 s40, s40
	s_cbranch_execz .LBB10_1743
; %bb.1742:                             ;   in Loop: Header=BB10_1701 Depth=2
	global_wb scope:SCOPE_DEV
	s_wait_storecnt 0x0
	s_wait_loadcnt_dscnt 0x0
	global_inv scope:SCOPE_DEV
	s_barrier_signal -1
	s_barrier_wait -1
.LBB10_1743:                            ;   in Loop: Header=BB10_1701 Depth=2
	s_or_b32 exec_lo, exec_lo, s40
.LBB10_1744:                            ;   in Loop: Header=BB10_1701 Depth=2
	s_delay_alu instid0(SALU_CYCLE_1) | instskip(SKIP_4) | instid1(VALU_DEP_1)
	s_or_b32 exec_lo, exec_lo, s13
	s_trap 2
	ds_load_b32 v9, v0
	v_and_b32_e32 v2, 0x4000, v30
	s_xor_b32 s13, s1, -1
	v_cmp_ne_u32_e32 vcc_lo, 0, v2
	s_and_b32 s40, s13, vcc_lo
	s_delay_alu instid0(SALU_CYCLE_1)
	s_and_saveexec_b32 s13, s40
	s_cbranch_execz .LBB10_1763
; %bb.1745:                             ;   in Loop: Header=BB10_1701 Depth=2
	s_and_saveexec_b32 s40, s3
	s_delay_alu instid0(SALU_CYCLE_1)
	s_xor_b32 s40, exec_lo, s40
	s_cbranch_execz .LBB10_1760
; %bb.1746:                             ;   in Loop: Header=BB10_1701 Depth=2
	s_and_saveexec_b32 s41, s6
	s_cbranch_execz .LBB10_1759
; %bb.1747:                             ;   in Loop: Header=BB10_1701 Depth=2
	s_mov_b32 s61, exec_lo
	s_mov_b32 s60, exec_lo
	v_mbcnt_lo_u32_b32 v2, s61, 0
	global_wb scope:SCOPE_DEV
	s_wait_storecnt 0x0
	s_wait_loadcnt_dscnt 0x0
	global_inv scope:SCOPE_DEV
	v_cmpx_eq_u32_e32 0, v2
	s_cbranch_execz .LBB10_1749
; %bb.1748:                             ;   in Loop: Header=BB10_1701 Depth=2
	s_bcnt1_i32_b32 s61, s61
	s_delay_alu instid0(SALU_CYCLE_1)
	v_mov_b32_e32 v2, s61
	s_wait_loadcnt 0x0
	ds_add_u64 v0, v[2:3]
	s_trap 2
.LBB10_1749:                            ;   in Loop: Header=BB10_1701 Depth=2
	s_or_b32 exec_lo, exec_lo, s60
	s_trap 2
	ds_load_b64 v[12:13], v0
	s_wait_dscnt 0x0
	v_add_nc_u64_e32 v[80:81], v[80:81], v[84:85]
	s_mov_b32 s60, exec_lo
	s_delay_alu instid0(VALU_DEP_1)
	v_cmpx_lt_u64_e64 v[12:13], v[80:81]
	s_cbranch_execz .LBB10_1758
; %bb.1750:                             ;   in Loop: Header=BB10_1701 Depth=2
	s_mov_b32 s61, 0
	s_mov_b32 s72, 0
                                        ; implicit-def: $sgpr62
                                        ; implicit-def: $sgpr63
	s_branch .LBB10_1752
.LBB10_1751:                            ;   in Loop: Header=BB10_1752 Depth=3
	s_or_b32 exec_lo, exec_lo, s74
	s_delay_alu instid0(SALU_CYCLE_1) | instskip(NEXT) | instid1(SALU_CYCLE_1)
	s_and_b32 s73, exec_lo, s75
	s_or_b32 s61, s73, s61
	s_and_not1_b32 s62, s62, exec_lo
	s_and_b32 s73, s63, exec_lo
	s_delay_alu instid0(SALU_CYCLE_1)
	s_or_b32 s62, s62, s73
	s_and_not1_b32 exec_lo, exec_lo, s61
	s_cbranch_execz .LBB10_1756
.LBB10_1752:                            ;   Parent Loop BB10_47 Depth=1
                                        ;     Parent Loop BB10_1701 Depth=2
                                        ; =>    This Inner Loop Header: Depth=3
	s_add_co_i32 s72, s72, 1
	s_delay_alu instid0(SALU_CYCLE_1) | instskip(SKIP_1) | instid1(SALU_CYCLE_1)
	s_cmp_lg_u32 s72, 0x2710
	s_cselect_b32 s73, -1, 0
	s_and_b32 vcc_lo, exec_lo, s73
	s_cbranch_vccz .LBB10_1754
; %bb.1753:                             ;   in Loop: Header=BB10_1752 Depth=3
	s_mov_b32 s75, -1
	s_or_b32 s63, s63, exec_lo
	s_and_saveexec_b32 s74, s73
	s_cbranch_execz .LBB10_1751
	s_branch .LBB10_1755
.LBB10_1754:                            ;   in Loop: Header=BB10_1752 Depth=3
	s_trap 2
	ds_load_b64 v[12:13], v0
	s_and_not1_b32 s73, s73, exec_lo
	s_mov_b32 s72, 0
	s_wait_loadcnt_dscnt 0x0
	flat_load_b32 v2, v[12:13] scope:SCOPE_SYS
	s_wait_loadcnt_dscnt 0x0
	global_inv scope:SCOPE_SYS
	v_cmp_eq_u32_e32 vcc_lo, 0, v2
	s_and_b32 s74, vcc_lo, exec_lo
	s_delay_alu instid0(SALU_CYCLE_1)
	s_or_b32 s73, s73, s74
	s_mov_b32 s75, -1
	s_or_b32 s63, s63, exec_lo
	s_and_saveexec_b32 s74, s73
	s_cbranch_execz .LBB10_1751
.LBB10_1755:                            ;   in Loop: Header=BB10_1752 Depth=3
	s_sleep 1
	s_trap 2
	ds_load_b64 v[12:13], v0
	s_wait_dscnt 0x0
	s_and_not1_b32 s63, s63, exec_lo
	v_cmp_ge_u64_e32 vcc_lo, v[12:13], v[80:81]
	s_or_not1_b32 s75, vcc_lo, exec_lo
	s_branch .LBB10_1751
.LBB10_1756:                            ;   in Loop: Header=BB10_1701 Depth=2
	s_or_b32 exec_lo, exec_lo, s61
	s_and_saveexec_b32 s61, s62
	s_delay_alu instid0(SALU_CYCLE_1)
	s_xor_b32 s61, exec_lo, s61
	s_cbranch_execz .LBB10_1758
; %bb.1757:                             ;   in Loop: Header=BB10_1701 Depth=2
	ds_store_b32 v0, v121
	s_trap 2
.LBB10_1758:                            ;   in Loop: Header=BB10_1701 Depth=2
	s_or_b32 exec_lo, exec_lo, s60
	;;#ASMSTART
	s_wakeup
	;;#ASMEND
.LBB10_1759:                            ;   in Loop: Header=BB10_1701 Depth=2
	s_or_b32 exec_lo, exec_lo, s41
.LBB10_1760:                            ;   in Loop: Header=BB10_1701 Depth=2
	s_and_not1_saveexec_b32 s40, s40
	s_cbranch_execz .LBB10_1762
; %bb.1761:                             ;   in Loop: Header=BB10_1701 Depth=2
	global_wb scope:SCOPE_DEV
	s_wait_storecnt 0x0
	s_wait_loadcnt_dscnt 0x0
	global_inv scope:SCOPE_DEV
	s_barrier_signal -1
	s_barrier_wait -1
.LBB10_1762:                            ;   in Loop: Header=BB10_1701 Depth=2
	s_or_b32 exec_lo, exec_lo, s40
.LBB10_1763:                            ;   in Loop: Header=BB10_1701 Depth=2
	s_delay_alu instid0(SALU_CYCLE_1) | instskip(SKIP_3) | instid1(VALU_DEP_1)
	s_or_b32 exec_lo, exec_lo, s13
	s_trap 2
	ds_load_b64 v[12:13], v0
	v_sub_nc_u32_e32 v2, v22, v8
	v_min_i32_e32 v23, v23, v2
	s_wait_dscnt 0x0
	v_cmp_eq_u64_e32 vcc_lo, 0, v[12:13]
	s_cbranch_vccnz .LBB10_1771
; %bb.1764:                             ;   in Loop: Header=BB10_1701 Depth=2
	s_trap 2
	ds_load_b64 v[14:15], v0
	s_wait_dscnt 0x0
	v_cmp_eq_u64_e32 vcc_lo, 0, v[14:15]
	s_cbranch_vccnz .LBB10_1771
; %bb.1765:                             ;   in Loop: Header=BB10_1701 Depth=2
	s_mov_b32 s13, -1
	s_and_saveexec_b32 s40, s11
	s_cbranch_execz .LBB10_1767
; %bb.1766:                             ;   in Loop: Header=BB10_1701 Depth=2
	ds_load_b32 v2, v0 offset:720
	s_wait_dscnt 0x0
	v_and_b32_e32 v2, 15, v2
	s_delay_alu instid0(VALU_DEP_1)
	v_cmp_eq_u32_e32 vcc_lo, 0, v2
	s_or_not1_b32 s13, vcc_lo, exec_lo
.LBB10_1767:                            ;   in Loop: Header=BB10_1701 Depth=2
	s_or_b32 exec_lo, exec_lo, s40
	s_and_saveexec_b32 s40, s7
	s_cbranch_execz .LBB10_1769
; %bb.1768:                             ;   in Loop: Header=BB10_1701 Depth=2
	ds_load_b32 v2, v0 offset:784
	s_wait_dscnt 0x0
	v_and_b32_e32 v2, 15, v2
	s_delay_alu instid0(VALU_DEP_1) | instskip(SKIP_3) | instid1(SALU_CYCLE_1)
	v_cmp_eq_u32_e32 vcc_lo, 0, v2
	s_and_b32 s41, s13, vcc_lo
	s_and_not1_b32 s13, s13, exec_lo
	s_and_b32 s41, s41, exec_lo
	s_or_b32 s13, s13, s41
.LBB10_1769:                            ;   in Loop: Header=BB10_1701 Depth=2
	s_or_b32 exec_lo, exec_lo, s40
	v_cmp_eq_u32_e32 vcc_lo, 0, v9
	s_xor_b32 s13, s13, -1
	s_mov_b32 s41, -1
	v_cndmask_b32_e64 v16, 0, 1, s13
	v_dual_mov_b32 v24, 0 :: v_dual_cndmask_b32 v2, 0, v23, vcc_lo
	s_delay_alu instid0(VALU_DEP_2) | instskip(NEXT) | instid1(VALU_DEP_2)
	v_cmp_ne_u32_e32 vcc_lo, 0, v16
	v_lshlrev_b32_e32 v9, 1, v2
	s_cbranch_vccz .LBB10_1776
; %bb.1770:                             ;   in Loop: Header=BB10_1701 Depth=2
	v_dual_mov_b32 v25, v0 :: v_dual_mov_b32 v16, v124
	s_and_saveexec_b32 s13, s41
	s_cbranch_execnz .LBB10_1789
	s_branch .LBB10_1797
.LBB10_1771:                            ;   in Loop: Header=BB10_1701 Depth=2
	s_mov_b32 s13, 0
	s_and_saveexec_b32 s40, s2
	s_cbranch_execnz .LBB10_1798
.LBB10_1772:                            ;   in Loop: Header=BB10_1701 Depth=2
	s_or_b32 exec_lo, exec_lo, s40
	s_and_saveexec_b32 s40, s10
	s_delay_alu instid0(SALU_CYCLE_1)
	s_xor_b32 s40, exec_lo, s40
	s_cbranch_execz .LBB10_1816
.LBB10_1773:                            ;   in Loop: Header=BB10_1701 Depth=2
	v_and_b32_e32 v2, 16, v30
	s_delay_alu instid0(VALU_DEP_1) | instskip(SKIP_1) | instid1(SALU_CYCLE_1)
	v_cmp_ne_u32_e32 vcc_lo, 0, v2
	s_and_b32 s41, vcc_lo, s13
	s_and_saveexec_b32 s13, s41
	s_cbranch_execz .LBB10_1775
; %bb.1774:                             ;   in Loop: Header=BB10_1701 Depth=2
	global_wb scope:SCOPE_SYS
	s_wait_storecnt 0x0
	s_wait_loadcnt_dscnt 0x0
	global_inv scope:SCOPE_SYS
.LBB10_1775:                            ;   in Loop: Header=BB10_1701 Depth=2
	s_or_b32 exec_lo, exec_lo, s13
	s_and_not1_saveexec_b32 s13, s40
	s_cbranch_execz .LBB10_1835
	s_branch .LBB10_1817
.LBB10_1776:                            ;   in Loop: Header=BB10_1701 Depth=2
	s_delay_alu instid0(VALU_DEP_1) | instskip(SKIP_1) | instid1(VALU_DEP_1)
	v_ashrrev_i32_e32 v16, 31, v9
	s_mov_b32 s13, exec_lo
	v_lshrrev_b32_e32 v16, 20, v16
	s_delay_alu instid0(VALU_DEP_1) | instskip(NEXT) | instid1(VALU_DEP_1)
	v_add_nc_u32_e32 v16, v9, v16
	v_ashrrev_i32_e32 v21, 12, v16
	s_delay_alu instid0(VALU_DEP_1) | instskip(NEXT) | instid1(VALU_DEP_1)
	v_sub_nc_u32_e32 v20, v21, v124
	v_cmpx_lt_i32_e32 0, v20
	s_cbranch_execz .LBB10_1780
; %bb.1777:                             ;   in Loop: Header=BB10_1701 Depth=2
	v_mov_b64_e32 v[16:17], v[14:15]
	v_mov_b64_e32 v[18:19], v[12:13]
	s_mov_b32 s40, 0
.LBB10_1778:                            ;   Parent Loop BB10_47 Depth=1
                                        ;     Parent Loop BB10_1701 Depth=2
                                        ; =>    This Inner Loop Header: Depth=3
	s_delay_alu instid0(VALU_DEP_1)
	v_add_nc_u64_e32 v[52:53], v[44:45], v[18:19]
	v_sub_nc_u32_e32 v20, v20, v84
	v_add_nc_u64_e32 v[18:19], v[18:19], v[100:101]
	s_clause 0x7
	global_load_b128 v[24:27], v[52:53], off th:TH_LOAD_NT
	global_load_b128 v[32:35], v[52:53], off offset:512 th:TH_LOAD_NT
	global_load_b128 v[36:39], v[52:53], off offset:1024 th:TH_LOAD_NT
	;; [unrolled: 1-line block ×7, first 2 shown]
	s_wait_xcnt 0x0
	v_add_nc_u64_e32 v[52:53], v[44:45], v[16:17]
	v_add_nc_u64_e32 v[16:17], v[16:17], v[100:101]
	v_cmp_gt_i32_e32 vcc_lo, 1, v20
	s_wait_loadcnt 0x7
	global_store_b128 v[52:53], v[24:27], off th:TH_STORE_NT
	s_wait_loadcnt 0x6
	global_store_b128 v[52:53], v[32:35], off offset:512 th:TH_STORE_NT
	s_wait_loadcnt 0x5
	global_store_b128 v[52:53], v[36:39], off offset:1024 th:TH_STORE_NT
	;; [unrolled: 2-line block ×7, first 2 shown]
	s_or_b32 s40, vcc_lo, s40
	s_wait_xcnt 0x0
	s_and_not1_b32 exec_lo, exec_lo, s40
	s_cbranch_execnz .LBB10_1778
; %bb.1779:                             ;   in Loop: Header=BB10_1701 Depth=2
	s_or_b32 exec_lo, exec_lo, s40
.LBB10_1780:                            ;   in Loop: Header=BB10_1701 Depth=2
	s_delay_alu instid0(SALU_CYCLE_1) | instskip(SKIP_3) | instid1(VALU_DEP_1)
	s_or_b32 exec_lo, exec_lo, s13
	v_dual_lshlrev_b32 v18, 12, v21 :: v_dual_mov_b32 v24, 0
	s_mov_b32 s41, 0
	s_mov_b32 s40, exec_lo
                                        ; implicit-def: $vgpr25
                                        ; implicit-def: $vgpr16
	v_cmpx_ne_u32_e64 v9, v18
	s_cbranch_execz .LBB10_1788
; %bb.1781:                             ;   in Loop: Header=BB10_1701 Depth=2
	v_dual_lshlrev_b32 v16, 5, v20 :: v_dual_sub_nc_u32 v24, v9, v18
	s_mov_b32 s41, exec_lo
	s_delay_alu instid0(VALU_DEP_1) | instskip(NEXT) | instid1(VALU_DEP_2)
	v_sub_nc_u32_e32 v16, v125, v16
	v_ashrrev_i32_e32 v19, 31, v24
	s_delay_alu instid0(VALU_DEP_1) | instskip(NEXT) | instid1(VALU_DEP_1)
	v_dual_ashrrev_i32 v17, 31, v16 :: v_dual_lshrrev_b32 v19, 23, v19
	v_lshrrev_b32_e32 v17, 27, v17
	s_delay_alu instid0(VALU_DEP_1) | instskip(NEXT) | instid1(VALU_DEP_3)
	v_add_nc_u32_e32 v17, v16, v17
	v_add_nc_u32_e32 v25, v24, v19
	s_delay_alu instid0(VALU_DEP_2) | instskip(SKIP_1) | instid1(VALU_DEP_3)
	v_and_b32_e32 v20, 0xffffffe0, v17
	v_ashrrev_i32_e32 v17, 5, v17
	v_and_b32_e32 v19, 0xfffffe00, v25
	s_delay_alu instid0(VALU_DEP_3) | instskip(NEXT) | instid1(VALU_DEP_1)
	v_dual_ashrrev_i32 v25, 9, v25 :: v_dual_sub_nc_u32 v20, v16, v20
	v_dual_sub_nc_u32 v21, v24, v19 :: v_dual_lshlrev_b32 v16, 4, v20
	s_delay_alu instid0(VALU_DEP_1) | instskip(NEXT) | instid1(VALU_DEP_2)
	v_cmp_lt_i32_e32 vcc_lo, 15, v21
	v_lshl_add_u32 v16, v17, 9, v16
	s_delay_alu instid0(VALU_DEP_4) | instskip(NEXT) | instid1(VALU_DEP_1)
	v_add_co_ci_u32_e64 v25, null, 0, v25, vcc_lo
	v_dual_sub_nc_u32 v24, v24, v16 :: v_dual_sub_nc_u32 v26, v25, v17
	s_delay_alu instid0(VALU_DEP_1)
	v_cmpx_lt_i32_e32 15, v24
	s_cbranch_execz .LBB10_1785
; %bb.1782:                             ;   in Loop: Header=BB10_1701 Depth=2
	v_add_nc_u32_e32 v16, v16, v18
	s_mov_b32 s60, 0
	s_delay_alu instid0(VALU_DEP_1)
	v_ashrrev_i32_e32 v17, 31, v16
.LBB10_1783:                            ;   Parent Loop BB10_47 Depth=1
                                        ;     Parent Loop BB10_1701 Depth=2
                                        ; =>    This Inner Loop Header: Depth=3
	s_delay_alu instid0(VALU_DEP_1) | instskip(SKIP_3) | instid1(VALU_DEP_3)
	v_add_nc_u64_e32 v[32:33], v[12:13], v[16:17]
	v_dual_sub_nc_u32 v24, v24, v102 :: v_dual_sub_nc_u32 v26, v26, v84
	v_add_nc_u64_e32 v[36:37], v[14:15], v[16:17]
	v_add_nc_u64_e32 v[16:17], v[16:17], v[102:103]
	v_cmp_gt_i32_e64 s13, 16, v24
	global_load_b128 v[32:35], v[32:33], off th:TH_LOAD_NT
	s_or_b32 s60, s13, s60
	s_wait_loadcnt 0x0
	global_store_b128 v[36:37], v[32:35], off th:TH_STORE_NT
	s_wait_xcnt 0x0
	s_and_not1_b32 exec_lo, exec_lo, s60
	s_cbranch_execnz .LBB10_1783
; %bb.1784:                             ;   in Loop: Header=BB10_1701 Depth=2
	s_or_b32 exec_lo, exec_lo, s60
.LBB10_1785:                            ;   in Loop: Header=BB10_1701 Depth=2
	s_delay_alu instid0(SALU_CYCLE_1) | instskip(SKIP_3) | instid1(VALU_DEP_1)
	s_or_b32 exec_lo, exec_lo, s41
	v_dual_mov_b32 v24, 0 :: v_dual_bitop2_b32 v17, 14, v9 bitop3:0x40
	s_mov_b32 s41, 0
	s_mov_b32 s60, exec_lo
                                        ; implicit-def: $vgpr25
                                        ; implicit-def: $vgpr16
	v_cndmask_b32_e32 v9, v21, v17, vcc_lo
	s_delay_alu instid0(VALU_DEP_1)
	v_cmpx_ne_u32_e32 0, v9
	s_cbranch_execz .LBB10_1787
; %bb.1786:                             ;   in Loop: Header=BB10_1701 Depth=2
	v_cmp_lt_i32_e64 s13, 0, v26
	s_mov_b32 s41, exec_lo
	v_dual_sub_nc_u32 v17, v21, v17 :: v_dual_cndmask_b32 v16, 0, v84, s13
	s_delay_alu instid0(VALU_DEP_1) | instskip(NEXT) | instid1(VALU_DEP_1)
	v_dual_cndmask_b32 v17, 0, v17 :: v_dual_sub_nc_u32 v16, v16, v26
	v_add3_u32 v24, v19, v18, v17
	s_delay_alu instid0(VALU_DEP_2) | instskip(NEXT) | instid1(VALU_DEP_1)
	v_lshl_add_u32 v25, v16, 5, v20
	v_ashrrev_i32_e32 v16, 31, v25
	s_delay_alu instid0(VALU_DEP_1) | instskip(NEXT) | instid1(VALU_DEP_1)
	v_lshrrev_b32_e32 v16, 27, v16
	v_add_nc_u32_e32 v16, v25, v16
	s_delay_alu instid0(VALU_DEP_1)
	v_ashrrev_i32_e32 v16, 5, v16
.LBB10_1787:                            ;   in Loop: Header=BB10_1701 Depth=2
	s_or_b32 exec_lo, exec_lo, s60
	s_delay_alu instid0(SALU_CYCLE_1)
	s_and_b32 s41, s41, exec_lo
.LBB10_1788:                            ;   in Loop: Header=BB10_1701 Depth=2
	s_or_b32 exec_lo, exec_lo, s40
	s_and_saveexec_b32 s13, s41
	s_cbranch_execz .LBB10_1797
.LBB10_1789:                            ;   in Loop: Header=BB10_1701 Depth=2
	v_ashrrev_i32_e32 v17, 31, v9
	s_mov_b32 s40, exec_lo
	s_delay_alu instid0(VALU_DEP_1) | instskip(NEXT) | instid1(VALU_DEP_1)
	v_lshrrev_b32_e32 v17, 22, v17
	v_add_nc_u32_e32 v17, v9, v17
	s_delay_alu instid0(VALU_DEP_1) | instskip(SKIP_1) | instid1(VALU_DEP_1)
	v_ashrrev_i32_e32 v32, 10, v17
	v_ashrrev_i32_e32 v17, 31, v25
	v_dual_lshrrev_b32 v27, 27, v17 :: v_dual_sub_nc_u32 v26, v32, v16
	s_delay_alu instid0(VALU_DEP_1)
	v_cmpx_lt_i32_e32 0, v26
	s_cbranch_execz .LBB10_1793
; %bb.1790:                             ;   in Loop: Header=BB10_1701 Depth=2
	s_delay_alu instid0(VALU_DEP_2) | instskip(SKIP_3) | instid1(VALU_DEP_3)
	v_dual_add_nc_u32 v17, v25, v27 :: v_dual_lshlrev_b32 v16, 10, v16
	v_mov_b64_e32 v[18:19], v[14:15]
	v_mov_b64_e32 v[20:21], v[12:13]
	s_mov_b32 s41, 0
	v_and_b32_e32 v17, 0x7fffffe0, v17
	s_delay_alu instid0(VALU_DEP_1) | instskip(NEXT) | instid1(VALU_DEP_1)
	v_sub_nc_u32_e32 v17, v25, v17
	v_lshlrev_b32_e32 v17, 1, v17
	s_delay_alu instid0(VALU_DEP_1) | instskip(NEXT) | instid1(VALU_DEP_1)
	v_add3_u32 v16, v17, v24, v16
	v_ashrrev_i32_e32 v17, 31, v16
.LBB10_1791:                            ;   Parent Loop BB10_47 Depth=1
                                        ;     Parent Loop BB10_1701 Depth=2
                                        ; =>    This Inner Loop Header: Depth=3
	s_delay_alu instid0(VALU_DEP_1)
	v_add_nc_u64_e32 v[34:35], v[16:17], v[20:21]
	v_sub_nc_u32_e32 v26, v26, v84
	v_add_nc_u64_e32 v[20:21], v[20:21], v[112:113]
	s_clause 0xf
	flat_load_u16 v33, v[34:35] th:TH_LOAD_NT
	flat_load_u16 v36, v[34:35] offset:64 th:TH_LOAD_NT
	flat_load_u16 v37, v[34:35] offset:128 th:TH_LOAD_NT
	;; [unrolled: 1-line block ×15, first 2 shown]
	s_wait_xcnt 0x0
	v_add_nc_u64_e32 v[34:35], v[16:17], v[18:19]
	v_add_nc_u64_e32 v[18:19], v[18:19], v[112:113]
	v_cmp_gt_i32_e32 vcc_lo, 1, v26
	s_wait_loadcnt_dscnt 0xf0f
	flat_store_b16 v[34:35], v33 th:TH_STORE_NT
	s_wait_loadcnt_dscnt 0xe0f
	flat_store_b16 v[34:35], v36 offset:64 th:TH_STORE_NT
	s_wait_loadcnt_dscnt 0xd0f
	flat_store_b16 v[34:35], v37 offset:128 th:TH_STORE_NT
	;; [unrolled: 2-line block ×15, first 2 shown]
	s_or_b32 s41, vcc_lo, s41
	s_wait_xcnt 0x0
	s_and_not1_b32 exec_lo, exec_lo, s41
	s_cbranch_execnz .LBB10_1791
; %bb.1792:                             ;   in Loop: Header=BB10_1701 Depth=2
	s_or_b32 exec_lo, exec_lo, s41
.LBB10_1793:                            ;   in Loop: Header=BB10_1701 Depth=2
	s_delay_alu instid0(SALU_CYCLE_1) | instskip(SKIP_1) | instid1(VALU_DEP_1)
	s_or_b32 exec_lo, exec_lo, s40
	v_lshlrev_b32_e32 v16, 10, v32
	v_cmp_ne_u32_e32 vcc_lo, v9, v16
	s_and_b32 exec_lo, exec_lo, vcc_lo
	s_cbranch_execz .LBB10_1797
; %bb.1794:                             ;   in Loop: Header=BB10_1701 Depth=2
	v_dual_add_nc_u32 v17, v25, v27 :: v_dual_lshlrev_b32 v18, 5, v26
	s_delay_alu instid0(VALU_DEP_1) | instskip(NEXT) | instid1(VALU_DEP_1)
	v_and_b32_e32 v17, 0xffffffe0, v17
	v_sub_nc_u32_e32 v17, v25, v17
	s_delay_alu instid0(VALU_DEP_1) | instskip(NEXT) | instid1(VALU_DEP_1)
	v_sub_nc_u32_e32 v17, v17, v18
	v_ashrrev_i32_e32 v18, 31, v17
	s_delay_alu instid0(VALU_DEP_1) | instskip(NEXT) | instid1(VALU_DEP_1)
	v_lshrrev_b32_e32 v18, 27, v18
	v_add_nc_u32_e32 v18, v17, v18
	s_delay_alu instid0(VALU_DEP_1) | instskip(NEXT) | instid1(VALU_DEP_1)
	v_and_b32_e32 v19, 0x7fffffe0, v18
	v_dual_lshlrev_b32 v18, 1, v18 :: v_dual_sub_nc_u32 v17, v17, v19
	s_delay_alu instid0(VALU_DEP_1) | instskip(NEXT) | instid1(VALU_DEP_2)
	v_and_b32_e32 v18, 0xffffffc0, v18
	v_lshlrev_b32_e32 v17, 1, v17
	s_delay_alu instid0(VALU_DEP_1) | instskip(NEXT) | instid1(VALU_DEP_1)
	v_add3_u32 v16, v18, v17, v16
	v_sub_nc_u32_e32 v9, v9, v16
	s_delay_alu instid0(VALU_DEP_1)
	v_cmp_lt_i32_e32 vcc_lo, 1, v9
	s_and_b32 exec_lo, exec_lo, vcc_lo
	s_cbranch_execz .LBB10_1797
; %bb.1795:                             ;   in Loop: Header=BB10_1701 Depth=2
	v_add_nc_u32_e32 v16, v16, v24
	s_mov_b32 s40, 0
	s_delay_alu instid0(VALU_DEP_1)
	v_ashrrev_i32_e32 v17, 31, v16
.LBB10_1796:                            ;   Parent Loop BB10_47 Depth=1
                                        ;     Parent Loop BB10_1701 Depth=2
                                        ; =>    This Inner Loop Header: Depth=3
	s_delay_alu instid0(VALU_DEP_1) | instskip(SKIP_1) | instid1(VALU_DEP_1)
	v_add_nc_u64_e32 v[18:19], v[12:13], v[16:17]
	v_sub_nc_u32_e32 v9, v9, v114
	v_cmp_gt_i32_e32 vcc_lo, 2, v9
	flat_load_u16 v20, v[18:19] th:TH_LOAD_NT
	s_wait_xcnt 0x0
	v_add_nc_u64_e32 v[18:19], v[14:15], v[16:17]
	v_add_nc_u64_e32 v[16:17], v[16:17], v[114:115]
	s_or_b32 s40, vcc_lo, s40
	s_wait_loadcnt_dscnt 0x0
	flat_store_b16 v[18:19], v20 th:TH_STORE_NT
	s_wait_xcnt 0x0
	s_and_not1_b32 exec_lo, exec_lo, s40
	s_cbranch_execnz .LBB10_1796
.LBB10_1797:                            ;   in Loop: Header=BB10_1701 Depth=2
	s_or_b32 exec_lo, exec_lo, s13
	v_cmp_lt_i32_e64 s13, 0, v2
	s_and_saveexec_b32 s40, s2
	s_cbranch_execz .LBB10_1772
.LBB10_1798:                            ;   in Loop: Header=BB10_1701 Depth=2
	s_and_saveexec_b32 s41, s3
	s_delay_alu instid0(SALU_CYCLE_1)
	s_xor_b32 s41, exec_lo, s41
	s_cbranch_execz .LBB10_1813
; %bb.1799:                             ;   in Loop: Header=BB10_1701 Depth=2
	s_and_saveexec_b32 s60, s6
	s_cbranch_execz .LBB10_1812
; %bb.1800:                             ;   in Loop: Header=BB10_1701 Depth=2
	s_mov_b32 s62, exec_lo
	s_mov_b32 s61, exec_lo
	v_mbcnt_lo_u32_b32 v2, s62, 0
	global_wb scope:SCOPE_DEV
	s_wait_storecnt 0x0
	s_wait_loadcnt_dscnt 0x0
	global_inv scope:SCOPE_DEV
	v_cmpx_eq_u32_e32 0, v2
	s_cbranch_execz .LBB10_1802
; %bb.1801:                             ;   in Loop: Header=BB10_1701 Depth=2
	s_bcnt1_i32_b32 s62, s62
	s_delay_alu instid0(SALU_CYCLE_1)
	v_mov_b32_e32 v2, s62
	s_wait_loadcnt 0x0
	ds_add_u64 v0, v[2:3]
	s_trap 2
.LBB10_1802:                            ;   in Loop: Header=BB10_1701 Depth=2
	s_or_b32 exec_lo, exec_lo, s61
	s_trap 2
	ds_load_b64 v[12:13], v0
	s_wait_dscnt 0x0
	v_add_nc_u64_e32 v[80:81], v[80:81], v[84:85]
	s_mov_b32 s61, exec_lo
	s_delay_alu instid0(VALU_DEP_1)
	v_cmpx_lt_u64_e64 v[12:13], v[80:81]
	s_cbranch_execz .LBB10_1811
; %bb.1803:                             ;   in Loop: Header=BB10_1701 Depth=2
	s_mov_b32 s62, 0
	s_mov_b32 s73, 0
                                        ; implicit-def: $sgpr63
                                        ; implicit-def: $sgpr72
	s_branch .LBB10_1805
.LBB10_1804:                            ;   in Loop: Header=BB10_1805 Depth=3
	s_or_b32 exec_lo, exec_lo, s75
	s_delay_alu instid0(SALU_CYCLE_1) | instskip(NEXT) | instid1(SALU_CYCLE_1)
	s_and_b32 s74, exec_lo, s76
	s_or_b32 s62, s74, s62
	s_and_not1_b32 s63, s63, exec_lo
	s_and_b32 s74, s72, exec_lo
	s_delay_alu instid0(SALU_CYCLE_1)
	s_or_b32 s63, s63, s74
	s_and_not1_b32 exec_lo, exec_lo, s62
	s_cbranch_execz .LBB10_1809
.LBB10_1805:                            ;   Parent Loop BB10_47 Depth=1
                                        ;     Parent Loop BB10_1701 Depth=2
                                        ; =>    This Inner Loop Header: Depth=3
	s_add_co_i32 s73, s73, 1
	s_delay_alu instid0(SALU_CYCLE_1) | instskip(SKIP_1) | instid1(SALU_CYCLE_1)
	s_cmp_lg_u32 s73, 0x2710
	s_cselect_b32 s74, -1, 0
	s_and_b32 vcc_lo, exec_lo, s74
	s_cbranch_vccz .LBB10_1807
; %bb.1806:                             ;   in Loop: Header=BB10_1805 Depth=3
	s_mov_b32 s76, -1
	s_or_b32 s72, s72, exec_lo
	s_and_saveexec_b32 s75, s74
	s_cbranch_execz .LBB10_1804
	s_branch .LBB10_1808
.LBB10_1807:                            ;   in Loop: Header=BB10_1805 Depth=3
	s_trap 2
	ds_load_b64 v[12:13], v0
	s_and_not1_b32 s74, s74, exec_lo
	s_mov_b32 s73, 0
	s_wait_loadcnt_dscnt 0x0
	flat_load_b32 v2, v[12:13] scope:SCOPE_SYS
	s_wait_loadcnt_dscnt 0x0
	global_inv scope:SCOPE_SYS
	v_cmp_eq_u32_e32 vcc_lo, 0, v2
	s_and_b32 s75, vcc_lo, exec_lo
	s_delay_alu instid0(SALU_CYCLE_1)
	s_or_b32 s74, s74, s75
	s_mov_b32 s76, -1
	s_or_b32 s72, s72, exec_lo
	s_and_saveexec_b32 s75, s74
	s_cbranch_execz .LBB10_1804
.LBB10_1808:                            ;   in Loop: Header=BB10_1805 Depth=3
	s_sleep 1
	s_trap 2
	ds_load_b64 v[12:13], v0
	s_wait_dscnt 0x0
	s_and_not1_b32 s72, s72, exec_lo
	v_cmp_ge_u64_e32 vcc_lo, v[12:13], v[80:81]
	s_or_not1_b32 s76, vcc_lo, exec_lo
	s_branch .LBB10_1804
.LBB10_1809:                            ;   in Loop: Header=BB10_1701 Depth=2
	s_or_b32 exec_lo, exec_lo, s62
	s_and_saveexec_b32 s62, s63
	s_delay_alu instid0(SALU_CYCLE_1)
	s_xor_b32 s62, exec_lo, s62
	s_cbranch_execz .LBB10_1811
; %bb.1810:                             ;   in Loop: Header=BB10_1701 Depth=2
	ds_store_b32 v0, v121
	s_trap 2
.LBB10_1811:                            ;   in Loop: Header=BB10_1701 Depth=2
	s_or_b32 exec_lo, exec_lo, s61
	;;#ASMSTART
	s_wakeup
	;;#ASMEND
.LBB10_1812:                            ;   in Loop: Header=BB10_1701 Depth=2
	s_or_b32 exec_lo, exec_lo, s60
.LBB10_1813:                            ;   in Loop: Header=BB10_1701 Depth=2
	s_and_not1_saveexec_b32 s41, s41
	s_cbranch_execz .LBB10_1815
; %bb.1814:                             ;   in Loop: Header=BB10_1701 Depth=2
	global_wb scope:SCOPE_DEV
	s_wait_storecnt 0x0
	s_wait_loadcnt_dscnt 0x0
	global_inv scope:SCOPE_DEV
	s_barrier_signal -1
	s_barrier_wait -1
.LBB10_1815:                            ;   in Loop: Header=BB10_1701 Depth=2
	s_or_b32 exec_lo, exec_lo, s41
	s_delay_alu instid0(SALU_CYCLE_1) | instskip(SKIP_1) | instid1(SALU_CYCLE_1)
	s_or_b32 exec_lo, exec_lo, s40
	s_and_saveexec_b32 s40, s10
	s_xor_b32 s40, exec_lo, s40
	s_cbranch_execnz .LBB10_1773
.LBB10_1816:                            ;   in Loop: Header=BB10_1701 Depth=2
	s_and_not1_saveexec_b32 s13, s40
	s_cbranch_execz .LBB10_1835
.LBB10_1817:                            ;   in Loop: Header=BB10_1701 Depth=2
	s_and_saveexec_b32 s40, s3
	s_delay_alu instid0(SALU_CYCLE_1)
	s_xor_b32 s40, exec_lo, s40
	s_cbranch_execz .LBB10_1832
; %bb.1818:                             ;   in Loop: Header=BB10_1701 Depth=2
	s_and_saveexec_b32 s41, s6
	s_cbranch_execz .LBB10_1831
; %bb.1819:                             ;   in Loop: Header=BB10_1701 Depth=2
	s_mov_b32 s61, exec_lo
	s_mov_b32 s60, exec_lo
	v_mbcnt_lo_u32_b32 v2, s61, 0
	;;#ASMSTART
	s_waitcnt lgkmcnt(0) vmcnt(0)
	;;#ASMEND
	s_delay_alu instid0(VALU_DEP_1)
	v_cmpx_eq_u32_e32 0, v2
	s_cbranch_execz .LBB10_1821
; %bb.1820:                             ;   in Loop: Header=BB10_1701 Depth=2
	s_bcnt1_i32_b32 s61, s61
	s_delay_alu instid0(SALU_CYCLE_1)
	v_mov_b32_e32 v2, s61
	s_wait_storecnt 0x0
	s_wait_loadcnt_dscnt 0x0
	ds_add_u64 v0, v[2:3]
	s_trap 2
.LBB10_1821:                            ;   in Loop: Header=BB10_1701 Depth=2
	s_or_b32 exec_lo, exec_lo, s60
	s_trap 2
	ds_load_b64 v[12:13], v0
	s_wait_dscnt 0x0
	v_add_nc_u64_e32 v[80:81], v[80:81], v[84:85]
	s_mov_b32 s60, exec_lo
	s_delay_alu instid0(VALU_DEP_1)
	v_cmpx_lt_u64_e64 v[12:13], v[80:81]
	s_cbranch_execz .LBB10_1830
; %bb.1822:                             ;   in Loop: Header=BB10_1701 Depth=2
	s_mov_b32 s61, 0
	s_mov_b32 s72, 0
                                        ; implicit-def: $sgpr62
                                        ; implicit-def: $sgpr63
	s_branch .LBB10_1824
.LBB10_1823:                            ;   in Loop: Header=BB10_1824 Depth=3
	s_or_b32 exec_lo, exec_lo, s74
	s_delay_alu instid0(SALU_CYCLE_1) | instskip(NEXT) | instid1(SALU_CYCLE_1)
	s_and_b32 s73, exec_lo, s75
	s_or_b32 s61, s73, s61
	s_and_not1_b32 s62, s62, exec_lo
	s_and_b32 s73, s63, exec_lo
	s_delay_alu instid0(SALU_CYCLE_1)
	s_or_b32 s62, s62, s73
	s_and_not1_b32 exec_lo, exec_lo, s61
	s_cbranch_execz .LBB10_1828
.LBB10_1824:                            ;   Parent Loop BB10_47 Depth=1
                                        ;     Parent Loop BB10_1701 Depth=2
                                        ; =>    This Inner Loop Header: Depth=3
	s_add_co_i32 s72, s72, 1
	s_delay_alu instid0(SALU_CYCLE_1) | instskip(SKIP_1) | instid1(SALU_CYCLE_1)
	s_cmp_lg_u32 s72, 0x2710
	s_cselect_b32 s73, -1, 0
	s_and_b32 vcc_lo, exec_lo, s73
	s_cbranch_vccz .LBB10_1826
; %bb.1825:                             ;   in Loop: Header=BB10_1824 Depth=3
	s_mov_b32 s75, -1
	s_or_b32 s63, s63, exec_lo
	s_and_saveexec_b32 s74, s73
	s_cbranch_execz .LBB10_1823
	s_branch .LBB10_1827
.LBB10_1826:                            ;   in Loop: Header=BB10_1824 Depth=3
	s_trap 2
	ds_load_b64 v[12:13], v0
	s_and_not1_b32 s73, s73, exec_lo
	s_mov_b32 s72, 0
	s_wait_storecnt 0x0
	s_wait_loadcnt_dscnt 0x0
	flat_load_b32 v2, v[12:13] scope:SCOPE_SYS
	s_wait_loadcnt_dscnt 0x0
	global_inv scope:SCOPE_SYS
	v_cmp_eq_u32_e32 vcc_lo, 0, v2
	s_and_b32 s74, vcc_lo, exec_lo
	s_delay_alu instid0(SALU_CYCLE_1)
	s_or_b32 s73, s73, s74
	s_mov_b32 s75, -1
	s_or_b32 s63, s63, exec_lo
	s_and_saveexec_b32 s74, s73
	s_cbranch_execz .LBB10_1823
.LBB10_1827:                            ;   in Loop: Header=BB10_1824 Depth=3
	s_sleep 1
	s_trap 2
	ds_load_b64 v[12:13], v0
	s_wait_dscnt 0x0
	s_and_not1_b32 s63, s63, exec_lo
	v_cmp_ge_u64_e32 vcc_lo, v[12:13], v[80:81]
	s_or_not1_b32 s75, vcc_lo, exec_lo
	s_branch .LBB10_1823
.LBB10_1828:                            ;   in Loop: Header=BB10_1701 Depth=2
	s_or_b32 exec_lo, exec_lo, s61
	s_and_saveexec_b32 s61, s62
	s_delay_alu instid0(SALU_CYCLE_1)
	s_xor_b32 s61, exec_lo, s61
	s_cbranch_execz .LBB10_1830
; %bb.1829:                             ;   in Loop: Header=BB10_1701 Depth=2
	ds_store_b32 v0, v121
	s_trap 2
.LBB10_1830:                            ;   in Loop: Header=BB10_1701 Depth=2
	s_or_b32 exec_lo, exec_lo, s60
	;;#ASMSTART
	s_wakeup
	;;#ASMEND
.LBB10_1831:                            ;   in Loop: Header=BB10_1701 Depth=2
	s_or_b32 exec_lo, exec_lo, s41
.LBB10_1832:                            ;   in Loop: Header=BB10_1701 Depth=2
	s_and_not1_saveexec_b32 s40, s40
	s_cbranch_execz .LBB10_1834
; %bb.1833:                             ;   in Loop: Header=BB10_1701 Depth=2
	;;#ASMSTART
	s_waitcnt lgkmcnt(0) vmcnt(0)
	;;#ASMEND
	s_barrier_signal -1
	s_barrier_wait -1
.LBB10_1834:                            ;   in Loop: Header=BB10_1701 Depth=2
	s_or_b32 exec_lo, exec_lo, s40
.LBB10_1835:                            ;   in Loop: Header=BB10_1701 Depth=2
	s_delay_alu instid0(SALU_CYCLE_1) | instskip(SKIP_2) | instid1(VALU_DEP_1)
	s_or_b32 exec_lo, exec_lo, s13
	v_and_b32_e32 v2, 32, v30
	s_mov_b32 s13, exec_lo
	v_cmpx_ne_u32_e32 0, v2
	s_cbranch_execz .LBB10_1700
; %bb.1836:                             ;   in Loop: Header=BB10_1701 Depth=2
	v_add_nc_u64_e32 v[60:61], 2, v[60:61]
	global_wb scope:SCOPE_SYS
	s_wait_storecnt 0x0
	s_wait_loadcnt_dscnt 0x0
	flat_store_b64 v[64:65], v[60:61] scope:SCOPE_SYS
	s_branch .LBB10_1700
.LBB10_1837:                            ;   in Loop: Header=BB10_47 Depth=1
	s_or_b32 exec_lo, exec_lo, s15
.LBB10_1838:                            ;   in Loop: Header=BB10_47 Depth=1
	s_delay_alu instid0(SALU_CYCLE_1) | instskip(NEXT) | instid1(SALU_CYCLE_1)
	s_or_b32 exec_lo, exec_lo, s14
	s_mov_b32 s14, exec_lo
	v_cmpx_gt_i32_e32 2, v2
	s_cbranch_execz .LBB10_46
; %bb.1839:                             ;   in Loop: Header=BB10_47 Depth=1
	v_cmp_eq_u32_e64 s18, 0, v2
	s_mov_b32 s15, 0
	s_branch .LBB10_1841
.LBB10_1840:                            ;   in Loop: Header=BB10_1841 Depth=2
	s_wait_xcnt 0x0
	s_or_b32 exec_lo, exec_lo, s13
	v_add_nc_u32_e32 v8, v23, v8
	s_mov_b32 s18, 0
	s_and_not1_b32 exec_lo, exec_lo, s15
	s_cbranch_execz .LBB10_45
.LBB10_1841:                            ;   Parent Loop BB10_47 Depth=1
                                        ; =>  This Loop Header: Depth=2
                                        ;       Child Loop BB10_1847 Depth 3
                                        ;       Child Loop BB10_1871 Depth 3
	;; [unrolled: 1-line block ×3, first 2 shown]
	v_and_b32_e32 v2, 4, v30
	s_mov_b32 s27, exec_lo
	s_delay_alu instid0(VALU_DEP_1)
	v_cmpx_ne_u32_e32 0, v2
	s_cbranch_execz .LBB10_1863
; %bb.1842:                             ;   in Loop: Header=BB10_1841 Depth=2
	v_add_nc_u64_e32 v[10:11], 2, v[60:61]
	s_mov_b32 s40, exec_lo
	s_wait_loadcnt_dscnt 0x1
	s_delay_alu instid0(VALU_DEP_1)
	v_cmpx_lt_u64_e64 v[82:83], v[10:11]
	s_cbranch_execz .LBB10_1854
; %bb.1843:                             ;   in Loop: Header=BB10_1841 Depth=2
	v_and_b32_e32 v2, 64, v30
	s_mov_b32 s41, 0
	s_mov_b32 s63, 0
                                        ; implicit-def: $sgpr60
                                        ; implicit-def: $sgpr61
                                        ; implicit-def: $sgpr62
	s_delay_alu instid0(VALU_DEP_1)
	v_cmp_eq_u32_e32 vcc_lo, 0, v2
	s_branch .LBB10_1847
.LBB10_1844:                            ;   in Loop: Header=BB10_1847 Depth=3
	s_wait_loadcnt_dscnt 0x0
	v_cmp_ge_u64_e64 s13, v[82:83], v[10:11]
	s_or_b32 s74, s74, exec_lo
	s_or_not1_b32 s73, s13, exec_lo
.LBB10_1845:                            ;   in Loop: Header=BB10_1847 Depth=3
	s_or_b32 exec_lo, exec_lo, s76
	s_delay_alu instid0(SALU_CYCLE_1)
	s_and_not1_b32 s13, s62, exec_lo
	s_and_b32 s62, s74, exec_lo
	s_and_not1_b32 s61, s61, exec_lo
	s_and_b32 s73, s73, exec_lo
	s_or_b32 s62, s13, s62
	s_or_b32 s61, s61, s73
.LBB10_1846:                            ;   in Loop: Header=BB10_1847 Depth=3
	s_or_b32 exec_lo, exec_lo, s72
	s_delay_alu instid0(SALU_CYCLE_1) | instskip(NEXT) | instid1(SALU_CYCLE_1)
	s_and_b32 s13, exec_lo, s61
	s_or_b32 s41, s13, s41
	s_and_not1_b32 s13, s60, exec_lo
	s_and_b32 s60, s62, exec_lo
	s_delay_alu instid0(SALU_CYCLE_1)
	s_or_b32 s60, s13, s60
	s_and_not1_b32 exec_lo, exec_lo, s41
	s_cbranch_execz .LBB10_1851
.LBB10_1847:                            ;   Parent Loop BB10_47 Depth=1
                                        ;     Parent Loop BB10_1841 Depth=2
                                        ; =>    This Inner Loop Header: Depth=3
	s_sleep 1
	s_wait_loadcnt_dscnt 0x0
	flat_load_b64 v[82:83], v[64:65] scope:SCOPE_SYS
	s_or_b32 s62, s62, exec_lo
	s_or_b32 s61, s61, exec_lo
                                        ; implicit-def: $vgpr2
	s_wait_xcnt 0x0
	s_and_saveexec_b32 s72, vcc_lo
	s_cbranch_execz .LBB10_1846
; %bb.1848:                             ;   in Loop: Header=BB10_1847 Depth=3
	s_cmp_lt_i32 s63, 0x270f
	s_mov_b32 s73, -1
	s_cselect_b32 s75, -1, 0
	s_cmp_gt_i32 s63, 0x270e
	s_cbranch_scc0 .LBB10_1850
; %bb.1849:                             ;   in Loop: Header=BB10_1847 Depth=3
	s_trap 2
	ds_load_b64 v[12:13], v0
	s_and_not1_b32 s63, s75, exec_lo
	s_mov_b32 s74, 0
	s_wait_storecnt 0x0
	s_wait_loadcnt_dscnt 0x0
	flat_load_b32 v2, v[12:13] scope:SCOPE_SYS
	s_wait_loadcnt_dscnt 0x0
	global_inv scope:SCOPE_SYS
	v_cmp_eq_u32_e64 s13, 0, v2
	s_and_b32 s13, s13, exec_lo
	s_delay_alu instid0(SALU_CYCLE_1)
	s_or_b32 s75, s63, s13
	s_mov_b32 s63, 0
	s_and_saveexec_b32 s76, s75
	s_cbranch_execz .LBB10_1845
	s_branch .LBB10_1844
.LBB10_1850:                            ;   in Loop: Header=BB10_1847 Depth=3
	s_add_co_i32 s63, s63, 1
	s_mov_b32 s74, -1
                                        ; implicit-def: $vgpr2
	s_and_saveexec_b32 s76, s75
	s_cbranch_execz .LBB10_1845
	s_branch .LBB10_1844
.LBB10_1851:                            ;   in Loop: Header=BB10_1841 Depth=2
	s_or_b32 exec_lo, exec_lo, s41
	s_xor_b32 s13, s60, -1
	s_delay_alu instid0(SALU_CYCLE_1) | instskip(NEXT) | instid1(SALU_CYCLE_1)
	s_and_saveexec_b32 s41, s13
	s_xor_b32 s13, exec_lo, s41
	s_cbranch_execz .LBB10_1853
; %bb.1852:                             ;   in Loop: Header=BB10_1841 Depth=2
	v_or_b32_e32 v30, 64, v30
	s_wait_storecnt 0x0
	s_wait_loadcnt_dscnt 0x0
	ds_store_b32 v0, v2
	s_trap 2
.LBB10_1853:                            ;   in Loop: Header=BB10_1841 Depth=2
	s_or_b32 exec_lo, exec_lo, s13
.LBB10_1854:                            ;   in Loop: Header=BB10_1841 Depth=2
	s_delay_alu instid0(SALU_CYCLE_1) | instskip(SKIP_3) | instid1(VALU_DEP_1)
	s_or_b32 exec_lo, exec_lo, s40
	v_and_b32_e32 v2, 0x100, v30
	s_mov_b32 s13, -1
	;;#ASMSTART
	s_wakeup
	;;#ASMEND
                                        ; implicit-def: $vgpr12_vgpr13
	v_cmp_ne_u32_e32 vcc_lo, 0, v2
	v_and_b32_e32 v2, 7, v60
	s_and_saveexec_b32 s40, vcc_lo
	s_cbranch_execz .LBB10_1858
; %bb.1855:                             ;   in Loop: Header=BB10_1841 Depth=2
	s_delay_alu instid0(VALU_DEP_1)
	v_mad_nc_u64_u32 v[14:15], v2, 24, v[6:7]
	s_mov_b32 s41, exec_lo
                                        ; implicit-def: $vgpr12_vgpr13
	flat_load_b32 v9, v[14:15]
	s_wait_loadcnt_dscnt 0x0
	v_cmp_ne_u32_e32 vcc_lo, 1, v9
	s_wait_xcnt 0x0
	v_cmpx_eq_u32_e32 1, v9
	s_cbranch_execz .LBB10_1857
; %bb.1856:                             ;   in Loop: Header=BB10_1841 Depth=2
	flat_load_b32 v12, v[14:15] offset:4 scope:SCOPE_SYS
	s_wait_loadcnt_dscnt 0x0
	v_ashrrev_i32_e32 v13, 31, v12
	s_delay_alu instid0(VALU_DEP_1)
	v_lshrrev_b64 v[12:13], 1, v[12:13]
.LBB10_1857:                            ;   in Loop: Header=BB10_1841 Depth=2
	s_wait_xcnt 0x0
	s_or_b32 exec_lo, exec_lo, s41
	s_delay_alu instid0(SALU_CYCLE_1)
	s_or_not1_b32 s13, vcc_lo, exec_lo
.LBB10_1858:                            ;   in Loop: Header=BB10_1841 Depth=2
	s_or_b32 exec_lo, exec_lo, s40
	s_and_saveexec_b32 s40, s13
; %bb.1859:                             ;   in Loop: Header=BB10_1841 Depth=2
	v_mul_u64_e32 v[12:13], v[2:3], v[66:67]
; %bb.1860:                             ;   in Loop: Header=BB10_1841 Depth=2
	s_or_b32 exec_lo, exec_lo, s40
	v_and_b32_e32 v2, 0x2000, v30
	s_delay_alu instid0(VALU_DEP_2)
	v_lshl_add_u64 v[12:13], v[12:13], 1, v[68:69]
	s_mov_b32 s13, exec_lo
	ds_store_b64 v0, v[12:13] offset:720
	v_cmpx_ne_u32_e32 0, v2
	s_cbranch_execz .LBB10_1862
; %bb.1861:                             ;   in Loop: Header=BB10_1841 Depth=2
	ds_load_b64 v[12:13], v0 offset:872
	s_wait_dscnt 0x0
	v_add_nc_u64_e32 v[12:13], 1, v[12:13]
	ds_store_b64 v0, v[12:13] offset:872
.LBB10_1862:                            ;   in Loop: Header=BB10_1841 Depth=2
	s_or_b32 exec_lo, exec_lo, s13
	v_mov_b64_e32 v[60:61], v[10:11]
.LBB10_1863:                            ;   in Loop: Header=BB10_1841 Depth=2
	s_or_b32 exec_lo, exec_lo, s27
	s_xor_b32 s13, s18, -1
	s_delay_alu instid0(SALU_CYCLE_1) | instskip(NEXT) | instid1(SALU_CYCLE_1)
	s_and_b32 s13, exec_lo, s13
	s_or_b32 s15, s13, s15
	s_and_saveexec_b32 s13, s2
	s_cbranch_execz .LBB10_1882
; %bb.1864:                             ;   in Loop: Header=BB10_1841 Depth=2
	s_and_saveexec_b32 s18, s3
	s_delay_alu instid0(SALU_CYCLE_1)
	s_xor_b32 s18, exec_lo, s18
	s_cbranch_execz .LBB10_1879
; %bb.1865:                             ;   in Loop: Header=BB10_1841 Depth=2
	s_and_saveexec_b32 s27, s6
	s_cbranch_execz .LBB10_1878
; %bb.1866:                             ;   in Loop: Header=BB10_1841 Depth=2
	s_mov_b32 s41, exec_lo
	s_mov_b32 s40, exec_lo
	v_mbcnt_lo_u32_b32 v2, s41, 0
	global_wb scope:SCOPE_DEV
	s_wait_storecnt 0x0
	s_wait_loadcnt_dscnt 0x0
	global_inv scope:SCOPE_DEV
	v_cmpx_eq_u32_e32 0, v2
	s_cbranch_execz .LBB10_1868
; %bb.1867:                             ;   in Loop: Header=BB10_1841 Depth=2
	s_bcnt1_i32_b32 s41, s41
	s_delay_alu instid0(SALU_CYCLE_1)
	v_mov_b32_e32 v2, s41
	s_wait_loadcnt 0x0
	ds_add_u64 v0, v[2:3]
	s_trap 2
.LBB10_1868:                            ;   in Loop: Header=BB10_1841 Depth=2
	s_or_b32 exec_lo, exec_lo, s40
	s_trap 2
	ds_load_b64 v[10:11], v0
	s_wait_dscnt 0x0
	v_add_nc_u64_e32 v[80:81], v[80:81], v[84:85]
	s_mov_b32 s40, exec_lo
	s_delay_alu instid0(VALU_DEP_1)
	v_cmpx_lt_u64_e64 v[10:11], v[80:81]
	s_cbranch_execz .LBB10_1877
; %bb.1869:                             ;   in Loop: Header=BB10_1841 Depth=2
	s_mov_b32 s41, 0
	s_mov_b32 s62, 0
                                        ; implicit-def: $sgpr60
                                        ; implicit-def: $sgpr61
	s_branch .LBB10_1871
.LBB10_1870:                            ;   in Loop: Header=BB10_1871 Depth=3
	s_or_b32 exec_lo, exec_lo, s72
	s_delay_alu instid0(SALU_CYCLE_1) | instskip(NEXT) | instid1(SALU_CYCLE_1)
	s_and_b32 s63, exec_lo, s73
	s_or_b32 s41, s63, s41
	s_and_not1_b32 s60, s60, exec_lo
	s_and_b32 s63, s61, exec_lo
	s_delay_alu instid0(SALU_CYCLE_1)
	s_or_b32 s60, s60, s63
	s_and_not1_b32 exec_lo, exec_lo, s41
	s_cbranch_execz .LBB10_1875
.LBB10_1871:                            ;   Parent Loop BB10_47 Depth=1
                                        ;     Parent Loop BB10_1841 Depth=2
                                        ; =>    This Inner Loop Header: Depth=3
	s_add_co_i32 s62, s62, 1
	s_delay_alu instid0(SALU_CYCLE_1) | instskip(SKIP_1) | instid1(SALU_CYCLE_1)
	s_cmp_lg_u32 s62, 0x2710
	s_cselect_b32 s63, -1, 0
	s_and_b32 vcc_lo, exec_lo, s63
	s_cbranch_vccz .LBB10_1873
; %bb.1872:                             ;   in Loop: Header=BB10_1871 Depth=3
	s_mov_b32 s73, -1
	s_or_b32 s61, s61, exec_lo
	s_and_saveexec_b32 s72, s63
	s_cbranch_execz .LBB10_1870
	s_branch .LBB10_1874
.LBB10_1873:                            ;   in Loop: Header=BB10_1871 Depth=3
	s_trap 2
	ds_load_b64 v[10:11], v0
	s_and_not1_b32 s63, s63, exec_lo
	s_mov_b32 s62, 0
	s_wait_loadcnt_dscnt 0x0
	flat_load_b32 v2, v[10:11] scope:SCOPE_SYS
	s_wait_loadcnt_dscnt 0x0
	global_inv scope:SCOPE_SYS
	v_cmp_eq_u32_e32 vcc_lo, 0, v2
	s_and_b32 s72, vcc_lo, exec_lo
	s_delay_alu instid0(SALU_CYCLE_1)
	s_or_b32 s63, s63, s72
	s_mov_b32 s73, -1
	s_or_b32 s61, s61, exec_lo
	s_and_saveexec_b32 s72, s63
	s_cbranch_execz .LBB10_1870
.LBB10_1874:                            ;   in Loop: Header=BB10_1871 Depth=3
	s_sleep 1
	s_trap 2
	ds_load_b64 v[10:11], v0
	s_wait_dscnt 0x0
	s_and_not1_b32 s61, s61, exec_lo
	v_cmp_ge_u64_e32 vcc_lo, v[10:11], v[80:81]
	s_or_not1_b32 s73, vcc_lo, exec_lo
	s_branch .LBB10_1870
.LBB10_1875:                            ;   in Loop: Header=BB10_1841 Depth=2
	s_or_b32 exec_lo, exec_lo, s41
	s_and_saveexec_b32 s41, s60
	s_delay_alu instid0(SALU_CYCLE_1)
	s_xor_b32 s41, exec_lo, s41
	s_cbranch_execz .LBB10_1877
; %bb.1876:                             ;   in Loop: Header=BB10_1841 Depth=2
	ds_store_b32 v0, v121
	s_trap 2
.LBB10_1877:                            ;   in Loop: Header=BB10_1841 Depth=2
	s_or_b32 exec_lo, exec_lo, s40
	;;#ASMSTART
	s_wakeup
	;;#ASMEND
.LBB10_1878:                            ;   in Loop: Header=BB10_1841 Depth=2
	s_or_b32 exec_lo, exec_lo, s27
.LBB10_1879:                            ;   in Loop: Header=BB10_1841 Depth=2
	s_and_not1_saveexec_b32 s18, s18
	s_cbranch_execz .LBB10_1881
; %bb.1880:                             ;   in Loop: Header=BB10_1841 Depth=2
	global_wb scope:SCOPE_DEV
	s_wait_storecnt 0x0
	s_wait_loadcnt_dscnt 0x0
	global_inv scope:SCOPE_DEV
	s_barrier_signal -1
	s_barrier_wait -1
.LBB10_1881:                            ;   in Loop: Header=BB10_1841 Depth=2
	s_or_b32 exec_lo, exec_lo, s18
.LBB10_1882:                            ;   in Loop: Header=BB10_1841 Depth=2
	s_delay_alu instid0(SALU_CYCLE_1) | instskip(SKIP_1) | instid1(VALU_DEP_1)
	s_or_b32 exec_lo, exec_lo, s13
	v_sub_nc_u32_e32 v2, v22, v8
	v_min_i32_e32 v23, v23, v2
	s_and_saveexec_b32 s13, s10
	s_delay_alu instid0(SALU_CYCLE_1)
	s_xor_b32 s18, exec_lo, s13
	s_cbranch_execz .LBB10_1886
; %bb.1883:                             ;   in Loop: Header=BB10_1841 Depth=2
	s_trap 2
	ds_load_b32 v2, v0
	v_cmp_lt_i32_e32 vcc_lo, 0, v23
	s_wait_dscnt 0x0
	v_readfirstlane_b32 s13, v2
	v_and_b32_e32 v2, 16, v30
	s_cmp_eq_u32 s13, 0
	s_delay_alu instid0(VALU_DEP_1) | instskip(SKIP_1) | instid1(SALU_CYCLE_1)
	v_cmp_ne_u32_e64 s13, 0, v2
	s_cselect_b32 s27, -1, 0
	s_and_b32 s27, vcc_lo, s27
	s_delay_alu instid0(SALU_CYCLE_1) | instskip(NEXT) | instid1(SALU_CYCLE_1)
	s_and_b32 s27, s13, s27
	s_and_saveexec_b32 s13, s27
	s_cbranch_execz .LBB10_1885
; %bb.1884:                             ;   in Loop: Header=BB10_1841 Depth=2
	global_wb scope:SCOPE_SYS
	s_wait_loadcnt 0x0
	s_wait_storecnt 0x0
	global_inv scope:SCOPE_SYS
.LBB10_1885:                            ;   in Loop: Header=BB10_1841 Depth=2
	s_or_b32 exec_lo, exec_lo, s13
.LBB10_1886:                            ;   in Loop: Header=BB10_1841 Depth=2
	s_and_not1_saveexec_b32 s13, s18
	s_cbranch_execz .LBB10_1905
; %bb.1887:                             ;   in Loop: Header=BB10_1841 Depth=2
	s_and_saveexec_b32 s18, s3
	s_delay_alu instid0(SALU_CYCLE_1)
	s_xor_b32 s18, exec_lo, s18
	s_cbranch_execz .LBB10_1902
; %bb.1888:                             ;   in Loop: Header=BB10_1841 Depth=2
	s_and_saveexec_b32 s27, s6
	s_cbranch_execz .LBB10_1901
; %bb.1889:                             ;   in Loop: Header=BB10_1841 Depth=2
	s_mov_b32 s41, exec_lo
	s_mov_b32 s40, exec_lo
	v_mbcnt_lo_u32_b32 v2, s41, 0
	;;#ASMSTART
	s_waitcnt lgkmcnt(0) vmcnt(0)
	;;#ASMEND
	s_delay_alu instid0(VALU_DEP_1)
	v_cmpx_eq_u32_e32 0, v2
	s_cbranch_execz .LBB10_1891
; %bb.1890:                             ;   in Loop: Header=BB10_1841 Depth=2
	s_bcnt1_i32_b32 s41, s41
	s_delay_alu instid0(SALU_CYCLE_1)
	v_mov_b32_e32 v2, s41
	s_wait_storecnt 0x0
	s_wait_loadcnt_dscnt 0x0
	ds_add_u64 v0, v[2:3]
	s_trap 2
.LBB10_1891:                            ;   in Loop: Header=BB10_1841 Depth=2
	s_or_b32 exec_lo, exec_lo, s40
	s_trap 2
	ds_load_b64 v[10:11], v0
	s_wait_dscnt 0x0
	v_add_nc_u64_e32 v[80:81], v[80:81], v[84:85]
	s_mov_b32 s40, exec_lo
	s_delay_alu instid0(VALU_DEP_1)
	v_cmpx_lt_u64_e64 v[10:11], v[80:81]
	s_cbranch_execz .LBB10_1900
; %bb.1892:                             ;   in Loop: Header=BB10_1841 Depth=2
	s_mov_b32 s41, 0
	s_mov_b32 s62, 0
                                        ; implicit-def: $sgpr60
                                        ; implicit-def: $sgpr61
	s_branch .LBB10_1894
.LBB10_1893:                            ;   in Loop: Header=BB10_1894 Depth=3
	s_or_b32 exec_lo, exec_lo, s72
	s_delay_alu instid0(SALU_CYCLE_1) | instskip(NEXT) | instid1(SALU_CYCLE_1)
	s_and_b32 s63, exec_lo, s73
	s_or_b32 s41, s63, s41
	s_and_not1_b32 s60, s60, exec_lo
	s_and_b32 s63, s61, exec_lo
	s_delay_alu instid0(SALU_CYCLE_1)
	s_or_b32 s60, s60, s63
	s_and_not1_b32 exec_lo, exec_lo, s41
	s_cbranch_execz .LBB10_1898
.LBB10_1894:                            ;   Parent Loop BB10_47 Depth=1
                                        ;     Parent Loop BB10_1841 Depth=2
                                        ; =>    This Inner Loop Header: Depth=3
	s_add_co_i32 s62, s62, 1
	s_delay_alu instid0(SALU_CYCLE_1) | instskip(SKIP_1) | instid1(SALU_CYCLE_1)
	s_cmp_lg_u32 s62, 0x2710
	s_cselect_b32 s63, -1, 0
	s_and_b32 vcc_lo, exec_lo, s63
	s_cbranch_vccz .LBB10_1896
; %bb.1895:                             ;   in Loop: Header=BB10_1894 Depth=3
	s_mov_b32 s73, -1
	s_or_b32 s61, s61, exec_lo
	s_and_saveexec_b32 s72, s63
	s_cbranch_execz .LBB10_1893
	s_branch .LBB10_1897
.LBB10_1896:                            ;   in Loop: Header=BB10_1894 Depth=3
	s_trap 2
	ds_load_b64 v[10:11], v0
	s_and_not1_b32 s63, s63, exec_lo
	s_mov_b32 s62, 0
	s_wait_storecnt 0x0
	s_wait_loadcnt_dscnt 0x0
	flat_load_b32 v2, v[10:11] scope:SCOPE_SYS
	s_wait_loadcnt_dscnt 0x0
	global_inv scope:SCOPE_SYS
	v_cmp_eq_u32_e32 vcc_lo, 0, v2
	s_and_b32 s72, vcc_lo, exec_lo
	s_delay_alu instid0(SALU_CYCLE_1)
	s_or_b32 s63, s63, s72
	s_mov_b32 s73, -1
	s_or_b32 s61, s61, exec_lo
	s_and_saveexec_b32 s72, s63
	s_cbranch_execz .LBB10_1893
.LBB10_1897:                            ;   in Loop: Header=BB10_1894 Depth=3
	s_sleep 1
	s_trap 2
	ds_load_b64 v[10:11], v0
	s_wait_dscnt 0x0
	s_and_not1_b32 s61, s61, exec_lo
	v_cmp_ge_u64_e32 vcc_lo, v[10:11], v[80:81]
	s_or_not1_b32 s73, vcc_lo, exec_lo
	s_branch .LBB10_1893
.LBB10_1898:                            ;   in Loop: Header=BB10_1841 Depth=2
	s_or_b32 exec_lo, exec_lo, s41
	s_and_saveexec_b32 s41, s60
	s_delay_alu instid0(SALU_CYCLE_1)
	s_xor_b32 s41, exec_lo, s41
	s_cbranch_execz .LBB10_1900
; %bb.1899:                             ;   in Loop: Header=BB10_1841 Depth=2
	ds_store_b32 v0, v121
	s_trap 2
.LBB10_1900:                            ;   in Loop: Header=BB10_1841 Depth=2
	s_or_b32 exec_lo, exec_lo, s40
	;;#ASMSTART
	s_wakeup
	;;#ASMEND
.LBB10_1901:                            ;   in Loop: Header=BB10_1841 Depth=2
	s_or_b32 exec_lo, exec_lo, s27
.LBB10_1902:                            ;   in Loop: Header=BB10_1841 Depth=2
	s_and_not1_saveexec_b32 s18, s18
	s_cbranch_execz .LBB10_1904
; %bb.1903:                             ;   in Loop: Header=BB10_1841 Depth=2
	;;#ASMSTART
	s_waitcnt lgkmcnt(0) vmcnt(0)
	;;#ASMEND
	s_barrier_signal -1
	s_barrier_wait -1
.LBB10_1904:                            ;   in Loop: Header=BB10_1841 Depth=2
	s_or_b32 exec_lo, exec_lo, s18
.LBB10_1905:                            ;   in Loop: Header=BB10_1841 Depth=2
	s_delay_alu instid0(SALU_CYCLE_1) | instskip(SKIP_2) | instid1(VALU_DEP_1)
	s_or_b32 exec_lo, exec_lo, s13
	v_and_b32_e32 v2, 32, v30
	s_mov_b32 s13, exec_lo
	v_cmpx_ne_u32_e32 0, v2
	s_cbranch_execz .LBB10_1840
; %bb.1906:                             ;   in Loop: Header=BB10_1841 Depth=2
	v_add_nc_u64_e32 v[60:61], 2, v[60:61]
	global_wb scope:SCOPE_SYS
	s_wait_storecnt 0x0
	s_wait_loadcnt_dscnt 0x0
	flat_store_b64 v[64:65], v[60:61] scope:SCOPE_SYS
	s_branch .LBB10_1840
.LBB10_1907:
	s_or_b32 exec_lo, exec_lo, s59
	s_clause 0x1
	scratch_load_b64 v[22:23], off, s33 offset:196
	scratch_load_b32 v10, off, s33 offset:204
.LBB10_1908:
	s_wait_xcnt 0x0
	s_or_b32 exec_lo, exec_lo, s43
	v_and_b32_e32 v0, 0x800, v30
	s_mov_b32 s1, exec_lo
	s_delay_alu instid0(VALU_DEP_1)
	v_cmpx_eq_u32_e32 0, v0
	s_cbranch_execz .LBB10_1941
; %bb.1909:
	v_and_b32_e32 v0, 48, v30
	s_mov_b32 s0, exec_lo
	s_delay_alu instid0(VALU_DEP_1)
	v_cmpx_ne_u32_e32 0, v0
	s_cbranch_execz .LBB10_1911
; %bb.1910:
	s_wait_loadcnt 0x1
	flat_store_b64 v[22:23], v[60:61] offset:104
.LBB10_1911:
	s_wait_xcnt 0x0
	s_or_b32 exec_lo, exec_lo, s0
	v_and_b32_e32 v0, 0x88, v30
	s_mov_b32 s2, exec_lo
	s_delay_alu instid0(VALU_DEP_1)
	v_cmpx_eq_u32_e32 0x88, v0
	s_cbranch_execz .LBB10_1921
; %bb.1912:
	v_add_nc_u32_e32 v0, 6, v60
	s_mov_b32 s3, 0
	s_delay_alu instid0(VALU_DEP_1) | instskip(NEXT) | instid1(VALU_DEP_1)
	v_and_b32_e32 v0, 7, v0
	v_mad_nc_u64_u32 v[2:3], v0, 24, v[6:7]
	v_and_b32_e32 v0, 64, v30
	s_delay_alu instid0(VALU_DEP_1)
	v_cmp_eq_u32_e64 s0, 0, v0
	flat_load_b64 v[4:5], v[2:3] offset:8 scope:SCOPE_SYS
	s_wait_loadcnt_dscnt 0x0
	v_cmp_ne_u64_e32 vcc_lo, -1, v[4:5]
	s_and_b32 s0, vcc_lo, s0
	s_wait_xcnt 0x0
	s_and_b32 exec_lo, exec_lo, s0
	s_cbranch_execz .LBB10_1921
; %bb.1913:
	s_mov_b32 s5, 0
                                        ; implicit-def: $sgpr0
                                        ; implicit-def: $sgpr4
	s_branch .LBB10_1916
.LBB10_1914:                            ;   in Loop: Header=BB10_1916 Depth=1
	flat_load_b64 v[4:5], v[2:3] offset:8 scope:SCOPE_SYS
	s_wait_loadcnt 0x0
	s_and_not1_b32 s4, s4, exec_lo
	s_wait_dscnt 0x0
	v_cmp_eq_u64_e32 vcc_lo, -1, v[4:5]
	s_or_not1_b32 s7, vcc_lo, exec_lo
.LBB10_1915:                            ;   in Loop: Header=BB10_1916 Depth=1
	s_wait_xcnt 0x0
	s_or_b32 exec_lo, exec_lo, s10
	s_delay_alu instid0(SALU_CYCLE_1) | instskip(NEXT) | instid1(SALU_CYCLE_1)
	s_and_b32 s6, exec_lo, s7
	s_or_b32 s3, s6, s3
	s_and_not1_b32 s0, s0, exec_lo
	s_and_b32 s6, s4, exec_lo
	s_delay_alu instid0(SALU_CYCLE_1)
	s_or_b32 s0, s0, s6
	s_and_not1_b32 exec_lo, exec_lo, s3
	s_cbranch_execz .LBB10_1919
.LBB10_1916:                            ; =>This Inner Loop Header: Depth=1
	s_cmp_lt_i32 s5, 0x270f
	s_cselect_b32 s6, -1, 0
	s_delay_alu instid0(SALU_CYCLE_1)
	s_and_b32 vcc_lo, exec_lo, s6
	s_cbranch_vccnz .LBB10_1918
; %bb.1917:                             ;   in Loop: Header=BB10_1916 Depth=1
	s_trap 2
	ds_load_b64 v[4:5], v0
	s_and_not1_b32 s6, s6, exec_lo
	s_mov_b32 s5, 0
	s_wait_storecnt_dscnt 0x0
	flat_load_b32 v0, v[4:5] scope:SCOPE_SYS
	s_wait_loadcnt_dscnt 0x0
	global_inv scope:SCOPE_SYS
	v_cmp_eq_u32_e32 vcc_lo, 0, v0
	s_and_b32 s7, vcc_lo, exec_lo
	s_delay_alu instid0(SALU_CYCLE_1)
	s_or_b32 s6, s6, s7
	s_mov_b32 s7, -1
	s_or_b32 s4, s4, exec_lo
	s_wait_xcnt 0x0
	s_and_saveexec_b32 s10, s6
	s_cbranch_execz .LBB10_1915
	s_branch .LBB10_1914
.LBB10_1918:                            ;   in Loop: Header=BB10_1916 Depth=1
	s_add_co_i32 s5, s5, 1
                                        ; implicit-def: $vgpr0
	s_mov_b32 s7, -1
	s_or_b32 s4, s4, exec_lo
	s_and_saveexec_b32 s10, s6
	s_cbranch_execz .LBB10_1915
	s_branch .LBB10_1914
.LBB10_1919:
	s_or_b32 exec_lo, exec_lo, s3
	s_and_saveexec_b32 s3, s0
	s_delay_alu instid0(SALU_CYCLE_1)
	s_xor_b32 s3, exec_lo, s3
	s_cbranch_execz .LBB10_1921
; %bb.1920:
	s_wait_loadcnt 0x0
	s_wait_storecnt 0x0
	ds_store_b32 v0, v0
	s_trap 2
.LBB10_1921:
	s_or_b32 exec_lo, exec_lo, s2
	v_and_b32_e32 v0, 0x2000, v30
	s_mov_b32 s0, exec_lo
	s_delay_alu instid0(VALU_DEP_1)
	v_cmpx_ne_u32_e32 0, v0
	s_cbranch_execz .LBB10_1923
; %bb.1922:
	s_trap 2
	scratch_load_b64 v[4:5], off, s33 offset:208 th:TH_LOAD_LU ; 8-byte Folded Reload
	ds_load_b64 v[2:3], v0
	s_wait_loadcnt_dscnt 0x0
	flat_store_b64 v[4:5], v[2:3] offset:16
.LBB10_1923:
	s_wait_xcnt 0x0
	s_or_b32 exec_lo, exec_lo, s0
	v_cmp_ne_u32_e32 vcc_lo, 32, v1
	s_and_b32 exec_lo, exec_lo, vcc_lo
	s_cbranch_execz .LBB10_1941
; %bb.1924:
	s_mov_b32 s0, exec_lo
	s_wait_loadcnt 0x0
	v_cmpx_ne_u32_e64 v1, v10
	s_xor_b32 s0, exec_lo, s0
	s_cbranch_execz .LBB10_1939
; %bb.1925:
	v_and_b32_e32 v0, 31, v31
	s_mov_b32 s2, exec_lo
	s_delay_alu instid0(VALU_DEP_1)
	v_cmpx_eq_u32_e32 0, v0
	s_cbranch_execz .LBB10_1938
; %bb.1926:
	s_mov_b32 s4, exec_lo
	s_mov_b32 s3, exec_lo
	v_mbcnt_lo_u32_b32 v0, s4, 0
	global_wb scope:SCOPE_DEV
	s_wait_storecnt_dscnt 0x0
	global_inv scope:SCOPE_DEV
	v_cmpx_eq_u32_e32 0, v0
	s_cbranch_execz .LBB10_1928
; %bb.1927:
	s_bcnt1_i32_b32 s4, s4
	s_delay_alu instid0(SALU_CYCLE_1)
	v_dual_mov_b32 v3, 0 :: v_dual_mov_b32 v2, s4
	s_wait_loadcnt 0x0
	ds_add_u64 v0, v[2:3]
	s_trap 2
.LBB10_1928:
	s_or_b32 exec_lo, exec_lo, s3
	s_trap 2
	ds_load_b64 v[2:3], v0
	s_wait_dscnt 0x0
	v_dual_mov_b32 v1, 0 :: v_dual_lshrrev_b32 v0, 5, v1
	s_mov_b32 s3, exec_lo
	s_delay_alu instid0(VALU_DEP_1) | instskip(NEXT) | instid1(VALU_DEP_1)
	v_add_nc_u64_e32 v[0:1], v[80:81], v[0:1]
	v_cmpx_lt_u64_e64 v[2:3], v[0:1]
	s_cbranch_execz .LBB10_1937
; %bb.1929:
	s_mov_b32 s4, 0
	s_mov_b32 s7, 0
                                        ; implicit-def: $sgpr5
                                        ; implicit-def: $sgpr6
	s_branch .LBB10_1931
.LBB10_1930:                            ;   in Loop: Header=BB10_1931 Depth=1
	s_or_b32 exec_lo, exec_lo, s11
	s_delay_alu instid0(SALU_CYCLE_1) | instskip(NEXT) | instid1(SALU_CYCLE_1)
	s_and_b32 s10, exec_lo, s12
	s_or_b32 s4, s10, s4
	s_and_not1_b32 s5, s5, exec_lo
	s_and_b32 s10, s6, exec_lo
	s_delay_alu instid0(SALU_CYCLE_1)
	s_or_b32 s5, s5, s10
	s_and_not1_b32 exec_lo, exec_lo, s4
	s_cbranch_execz .LBB10_1935
.LBB10_1931:                            ; =>This Inner Loop Header: Depth=1
	s_add_co_i32 s7, s7, 1
	s_delay_alu instid0(SALU_CYCLE_1) | instskip(SKIP_1) | instid1(SALU_CYCLE_1)
	s_cmp_lg_u32 s7, 0x2710
	s_cselect_b32 s10, -1, 0
	s_and_b32 vcc_lo, exec_lo, s10
	s_cbranch_vccz .LBB10_1933
; %bb.1932:                             ;   in Loop: Header=BB10_1931 Depth=1
	s_mov_b32 s12, -1
	s_or_b32 s6, s6, exec_lo
	s_and_saveexec_b32 s11, s10
	s_cbranch_execz .LBB10_1930
	s_branch .LBB10_1934
.LBB10_1933:                            ;   in Loop: Header=BB10_1931 Depth=1
	s_trap 2
	ds_load_b64 v[2:3], v0
	s_and_not1_b32 s10, s10, exec_lo
	s_mov_b32 s7, 0
	s_wait_loadcnt_dscnt 0x0
	flat_load_b32 v2, v[2:3] scope:SCOPE_SYS
	s_wait_loadcnt_dscnt 0x0
	global_inv scope:SCOPE_SYS
	v_cmp_eq_u32_e32 vcc_lo, 0, v2
	s_and_b32 s11, vcc_lo, exec_lo
	s_delay_alu instid0(SALU_CYCLE_1)
	s_or_b32 s10, s10, s11
	s_mov_b32 s12, -1
	s_or_b32 s6, s6, exec_lo
	s_and_saveexec_b32 s11, s10
	s_cbranch_execz .LBB10_1930
.LBB10_1934:                            ;   in Loop: Header=BB10_1931 Depth=1
	s_sleep 1
	s_trap 2
	ds_load_b64 v[2:3], v0
	s_wait_dscnt 0x0
	s_and_not1_b32 s6, s6, exec_lo
	v_cmp_ge_u64_e32 vcc_lo, v[2:3], v[0:1]
	s_or_not1_b32 s12, vcc_lo, exec_lo
	s_branch .LBB10_1930
.LBB10_1935:
	s_or_b32 exec_lo, exec_lo, s4
	s_and_saveexec_b32 s4, s5
	s_delay_alu instid0(SALU_CYCLE_1)
	s_xor_b32 s4, exec_lo, s4
	s_cbranch_execz .LBB10_1937
; %bb.1936:
	v_mov_b32_e32 v0, 1
	ds_store_b32 v0, v0
	s_trap 2
.LBB10_1937:
	s_or_b32 exec_lo, exec_lo, s3
	;;#ASMSTART
	s_wakeup
	;;#ASMEND
.LBB10_1938:
	s_or_b32 exec_lo, exec_lo, s2
.LBB10_1939:
	s_and_not1_saveexec_b32 s0, s0
	s_cbranch_execz .LBB10_1941
; %bb.1940:
	global_wb scope:SCOPE_DEV
	s_wait_storecnt 0x0
	s_wait_loadcnt_dscnt 0x0
	global_inv scope:SCOPE_DEV
	s_barrier_signal -1
	s_barrier_wait -1
.LBB10_1941:
	s_or_b32 exec_lo, exec_lo, s1
.LBB10_1942:
	s_and_not1_saveexec_b32 s21, s42
	s_cbranch_execz .LBB10_1944
; %bb.1943:
	s_get_pc_i64 s[0:1]
	s_add_nc_u64 s[0:1], s[0:1], __PRETTY_FUNCTION__._ZN10PrimitivesI12hip_bfloat168FuncProdIS0_E12FanSymmetricILi1EELi0E11ProtoSimpleILi2ELi2ELi0ELi4ELi0ELi0EELi0ELb0ELi0ELi0ELi0EEC2EiiPKiS9_PKvPvmhhhP15ncclDevWorkCollP14ncclDevWorkP2pii@rel64+4
	s_get_pc_i64 s[2:3]
	s_add_nc_u64 s[2:3], s[2:3], __assert_fail@rel64+4
	v_dual_mov_b32 v0, s0 :: v_dual_mov_b32 v1, s1
	s_swap_pc_i64 s[30:31], s[2:3]
	; divergent unreachable
.LBB10_1944:
	s_or_b32 exec_lo, exec_lo, s21
	s_clause 0x2e
	scratch_load_b32 v126, off, s33
	scratch_load_b32 v125, off, s33 offset:4
	scratch_load_b32 v124, off, s33 offset:8
	;; [unrolled: 1-line block ×46, first 2 shown]
	v_readlane_b32 s30, v127, 0
	v_readlane_b32 s31, v127, 1
	s_mov_b32 s32, s33
	s_wait_xcnt 0x0
	s_or_saveexec_b32 s0, -1
	scratch_load_b32 v127, off, s33 offset:216 ; 4-byte Folded Reload
	s_wait_xcnt 0x0
	s_mov_b32 exec_lo, s0
	s_mov_b32 s33, s79
	s_wait_loadcnt_dscnt 0x0
	s_set_pc_i64 s[30:31]
.Lfunc_end10:
	.size	_ZN12_GLOBAL__N_17runRingI12hip_bfloat168FuncProdIS1_E11ProtoSimpleILi2ELi2ELi0ELi4ELi0ELi0EELi0ELi0ELi4ELi0EEEviiP15ncclDevWorkColl, .Lfunc_end10-_ZN12_GLOBAL__N_17runRingI12hip_bfloat168FuncProdIS1_E11ProtoSimpleILi2ELi2ELi0ELi4ELi0ELi0EELi0ELi0ELi4ELi0EEEviiP15ncclDevWorkColl
                                        ; -- End function
	.set .L_ZN12_GLOBAL__N_17runRingI12hip_bfloat168FuncProdIS1_E11ProtoSimpleILi2ELi2ELi0ELi4ELi0ELi0EELi0ELi0ELi4ELi0EEEviiP15ncclDevWorkColl.num_vgpr, max(128, .L__assert_fail.num_vgpr)
	.set .L_ZN12_GLOBAL__N_17runRingI12hip_bfloat168FuncProdIS1_E11ProtoSimpleILi2ELi2ELi0ELi4ELi0ELi0EELi0ELi0ELi4ELi0EEEviiP15ncclDevWorkColl.num_agpr, max(0, .L__assert_fail.num_agpr)
	.set .L_ZN12_GLOBAL__N_17runRingI12hip_bfloat168FuncProdIS1_E11ProtoSimpleILi2ELi2ELi0ELi4ELi0ELi0EELi0ELi0ELi4ELi0EEEviiP15ncclDevWorkColl.numbered_sgpr, max(80, .L__assert_fail.numbered_sgpr)
	.set .L_ZN12_GLOBAL__N_17runRingI12hip_bfloat168FuncProdIS1_E11ProtoSimpleILi2ELi2ELi0ELi4ELi0ELi0EELi0ELi0ELi4ELi0EEEviiP15ncclDevWorkColl.num_named_barrier, max(0, .L__assert_fail.num_named_barrier)
	.set .L_ZN12_GLOBAL__N_17runRingI12hip_bfloat168FuncProdIS1_E11ProtoSimpleILi2ELi2ELi0ELi4ELi0ELi0EELi0ELi0ELi4ELi0EEEviiP15ncclDevWorkColl.private_seg_size, 224+max(.L__assert_fail.private_seg_size)
	.set .L_ZN12_GLOBAL__N_17runRingI12hip_bfloat168FuncProdIS1_E11ProtoSimpleILi2ELi2ELi0ELi4ELi0ELi0EELi0ELi0ELi4ELi0EEEviiP15ncclDevWorkColl.uses_vcc, or(1, .L__assert_fail.uses_vcc)
	.set .L_ZN12_GLOBAL__N_17runRingI12hip_bfloat168FuncProdIS1_E11ProtoSimpleILi2ELi2ELi0ELi4ELi0ELi0EELi0ELi0ELi4ELi0EEEviiP15ncclDevWorkColl.uses_flat_scratch, or(1, .L__assert_fail.uses_flat_scratch)
	.set .L_ZN12_GLOBAL__N_17runRingI12hip_bfloat168FuncProdIS1_E11ProtoSimpleILi2ELi2ELi0ELi4ELi0ELi0EELi0ELi0ELi4ELi0EEEviiP15ncclDevWorkColl.has_dyn_sized_stack, or(0, .L__assert_fail.has_dyn_sized_stack)
	.set .L_ZN12_GLOBAL__N_17runRingI12hip_bfloat168FuncProdIS1_E11ProtoSimpleILi2ELi2ELi0ELi4ELi0ELi0EELi0ELi0ELi4ELi0EEEviiP15ncclDevWorkColl.has_recursion, or(1, .L__assert_fail.has_recursion)
	.set .L_ZN12_GLOBAL__N_17runRingI12hip_bfloat168FuncProdIS1_E11ProtoSimpleILi2ELi2ELi0ELi4ELi0ELi0EELi0ELi0ELi4ELi0EEEviiP15ncclDevWorkColl.has_indirect_call, or(0, .L__assert_fail.has_indirect_call)
	.section	.AMDGPU.csdata,"",@progbits
; Function info:
; codeLenInByte = 67132
; TotalNumSgprs: 82
; NumVgprs: 128
; ScratchSize: 288
; MemoryBound: 1
	.text
	.p2align	2                               ; -- Begin function _Z49ncclDevFunc_AllReduce_RING_SIMPLE_Prod_bf16_0_0_4v
	.type	_Z49ncclDevFunc_AllReduce_RING_SIMPLE_Prod_bf16_0_0_4v,@function
_Z49ncclDevFunc_AllReduce_RING_SIMPLE_Prod_bf16_0_0_4v: ; @_Z49ncclDevFunc_AllReduce_RING_SIMPLE_Prod_bf16_0_0_4v
; %bb.0:
	s_wait_loadcnt_dscnt 0x0
	s_wait_kmcnt 0x0
	s_mov_b32 s95, s33
	s_mov_b32 s33, s32
	s_or_saveexec_b32 s0, -1
	scratch_store_b32 off, v42, s33 offset:12 ; 4-byte Folded Spill
	s_wait_xcnt 0x0
	s_mov_b32 exec_lo, s0
	s_add_co_i32 s32, s32, 32
	s_clause 0x2
	scratch_store_b32 off, v40, s33 offset:8
	; meta instruction
	scratch_store_b32 off, v41, s33 offset:4
	; meta instruction
	scratch_store_b32 off, v127, s33
	v_writelane_b32 v42, s30, 0
	v_writelane_b32 v42, s31, 1
	s_trap 2
	ds_load_b32 v0, v0
	s_wait_xcnt 0x2
	v_mov_b32_e32 v40, v31
	s_wait_dscnt 0x0
	v_cmp_gt_i32_e32 vcc_lo, 1, v0
	s_cbranch_vccnz .LBB11_8
; %bb.1:
	s_wait_xcnt 0x1
	v_and_b32_e32 v41, 0x3ff, v40
	s_mov_b32 s90, s12
	s_mov_b64 s[88:89], s[8:9]
	s_mov_b32 s91, 0
	s_get_pc_i64 s[92:93]
	s_add_nc_u64 s[92:93], s[92:93], _ZN12_GLOBAL__N_17runRingI12hip_bfloat168FuncProdIS1_E11ProtoSimpleILi2ELi2ELi0ELi4ELi0ELi0EELi0ELi0ELi4ELi0EEEviiP15ncclDevWorkColl@rel64+4
	s_branch .LBB11_3
.LBB11_2:                               ;   in Loop: Header=BB11_3 Depth=1
	s_or_b32 exec_lo, exec_lo, s94
	s_trap 2
	ds_load_b32 v0, v0
	s_add_co_i32 s91, s91, 1
	s_wait_dscnt 0x0
	v_cmp_lt_i32_e32 vcc_lo, s91, v0
	s_cbranch_vccz .LBB11_8
.LBB11_3:                               ; =>This Inner Loop Header: Depth=1
	s_trap 2
	ds_load_b32 v0, v0
	s_cmp_eq_u32 s91, 0
	s_cbranch_scc1 .LBB11_6
; %bb.4:                                ;   in Loop: Header=BB11_3 Depth=1
	s_trap 2
	s_wait_dscnt 0x0
	ds_load_b32 v1, v0
	s_wait_dscnt 0x0
	v_xor_b32_e32 v1, v1, v0
	s_delay_alu instid0(VALU_DEP_1) | instskip(NEXT) | instid1(VALU_DEP_1)
	v_and_b32_e32 v1, 0xff0000, v1
	v_cmp_eq_u32_e32 vcc_lo, 0, v1
	s_cbranch_vccnz .LBB11_6
; %bb.5:                                ;   in Loop: Header=BB11_3 Depth=1
	s_wait_storecnt 0x0
	s_barrier_signal -1
	s_barrier_wait -1
	ds_load_b32 v0, v0
.LBB11_6:                               ;   in Loop: Header=BB11_3 Depth=1
	s_wait_dscnt 0x0
	v_lshrrev_b32_e32 v0, 11, v0
	s_mov_b32 s94, exec_lo
	s_delay_alu instid0(VALU_DEP_1) | instskip(SKIP_1) | instid1(VALU_DEP_1)
	v_and_b32_e32 v1, 0x1fe0, v0
	s_wait_xcnt 0x0
	v_cmpx_lt_u32_e64 v41, v1
	s_cbranch_execz .LBB11_2
; %bb.7:                                ;   in Loop: Header=BB11_3 Depth=1
	s_mov_b64 s[0:1], src_shared_base
	v_dual_mov_b32 v31, v40 :: v_dual_mov_b32 v0, v41
	v_mov_b32_e32 v3, s1
	s_mov_b64 s[8:9], s[88:89]
	s_mov_b32 s12, s90
	s_swap_pc_i64 s[30:31], s[92:93]
	s_branch .LBB11_2
.LBB11_8:
	s_clause 0x2
	scratch_load_b32 v127, off, s33
	scratch_load_b32 v41, off, s33 offset:4
	scratch_load_b32 v40, off, s33 offset:8
	v_readlane_b32 s30, v42, 0
	v_readlane_b32 s31, v42, 1
	s_mov_b32 s32, s33
	s_wait_xcnt 0x0
	s_or_saveexec_b32 s0, -1
	scratch_load_b32 v42, off, s33 offset:12 ; 4-byte Folded Reload
	s_wait_xcnt 0x0
	s_mov_b32 exec_lo, s0
	s_mov_b32 s33, s95
	s_wait_loadcnt 0x0
	s_set_pc_i64 s[30:31]
.Lfunc_end11:
	.size	_Z49ncclDevFunc_AllReduce_RING_SIMPLE_Prod_bf16_0_0_4v, .Lfunc_end11-_Z49ncclDevFunc_AllReduce_RING_SIMPLE_Prod_bf16_0_0_4v
                                        ; -- End function
	.set .L_Z49ncclDevFunc_AllReduce_RING_SIMPLE_Prod_bf16_0_0_4v.num_vgpr, max(128, .L_ZN12_GLOBAL__N_17runRingI12hip_bfloat168FuncProdIS1_E11ProtoSimpleILi2ELi2ELi0ELi4ELi0ELi0EELi0ELi0ELi4ELi0EEEviiP15ncclDevWorkColl.num_vgpr)
	.set .L_Z49ncclDevFunc_AllReduce_RING_SIMPLE_Prod_bf16_0_0_4v.num_agpr, max(0, .L_ZN12_GLOBAL__N_17runRingI12hip_bfloat168FuncProdIS1_E11ProtoSimpleILi2ELi2ELi0ELi4ELi0ELi0EELi0ELi0ELi4ELi0EEEviiP15ncclDevWorkColl.num_agpr)
	.set .L_Z49ncclDevFunc_AllReduce_RING_SIMPLE_Prod_bf16_0_0_4v.numbered_sgpr, max(96, .L_ZN12_GLOBAL__N_17runRingI12hip_bfloat168FuncProdIS1_E11ProtoSimpleILi2ELi2ELi0ELi4ELi0ELi0EELi0ELi0ELi4ELi0EEEviiP15ncclDevWorkColl.numbered_sgpr)
	.set .L_Z49ncclDevFunc_AllReduce_RING_SIMPLE_Prod_bf16_0_0_4v.num_named_barrier, max(0, .L_ZN12_GLOBAL__N_17runRingI12hip_bfloat168FuncProdIS1_E11ProtoSimpleILi2ELi2ELi0ELi4ELi0ELi0EELi0ELi0ELi4ELi0EEEviiP15ncclDevWorkColl.num_named_barrier)
	.set .L_Z49ncclDevFunc_AllReduce_RING_SIMPLE_Prod_bf16_0_0_4v.private_seg_size, 32+max(.L_ZN12_GLOBAL__N_17runRingI12hip_bfloat168FuncProdIS1_E11ProtoSimpleILi2ELi2ELi0ELi4ELi0ELi0EELi0ELi0ELi4ELi0EEEviiP15ncclDevWorkColl.private_seg_size)
	.set .L_Z49ncclDevFunc_AllReduce_RING_SIMPLE_Prod_bf16_0_0_4v.uses_vcc, or(1, .L_ZN12_GLOBAL__N_17runRingI12hip_bfloat168FuncProdIS1_E11ProtoSimpleILi2ELi2ELi0ELi4ELi0ELi0EELi0ELi0ELi4ELi0EEEviiP15ncclDevWorkColl.uses_vcc)
	.set .L_Z49ncclDevFunc_AllReduce_RING_SIMPLE_Prod_bf16_0_0_4v.uses_flat_scratch, or(1, .L_ZN12_GLOBAL__N_17runRingI12hip_bfloat168FuncProdIS1_E11ProtoSimpleILi2ELi2ELi0ELi4ELi0ELi0EELi0ELi0ELi4ELi0EEEviiP15ncclDevWorkColl.uses_flat_scratch)
	.set .L_Z49ncclDevFunc_AllReduce_RING_SIMPLE_Prod_bf16_0_0_4v.has_dyn_sized_stack, or(0, .L_ZN12_GLOBAL__N_17runRingI12hip_bfloat168FuncProdIS1_E11ProtoSimpleILi2ELi2ELi0ELi4ELi0ELi0EELi0ELi0ELi4ELi0EEEviiP15ncclDevWorkColl.has_dyn_sized_stack)
	.set .L_Z49ncclDevFunc_AllReduce_RING_SIMPLE_Prod_bf16_0_0_4v.has_recursion, or(1, .L_ZN12_GLOBAL__N_17runRingI12hip_bfloat168FuncProdIS1_E11ProtoSimpleILi2ELi2ELi0ELi4ELi0ELi0EELi0ELi0ELi4ELi0EEEviiP15ncclDevWorkColl.has_recursion)
	.set .L_Z49ncclDevFunc_AllReduce_RING_SIMPLE_Prod_bf16_0_0_4v.has_indirect_call, or(0, .L_ZN12_GLOBAL__N_17runRingI12hip_bfloat168FuncProdIS1_E11ProtoSimpleILi2ELi2ELi0ELi4ELi0ELi0EELi0ELi0ELi4ELi0EEEviiP15ncclDevWorkColl.has_indirect_call)
	.section	.AMDGPU.csdata,"",@progbits
; Function info:
; codeLenInByte = 464
; TotalNumSgprs: 98
; NumVgprs: 128
; ScratchSize: 320
; MemoryBound: 0
	.text
	.p2align	2                               ; -- Begin function _ZN12_GLOBAL__N_17runRingI12hip_bfloat168FuncProdIS1_E11ProtoSimpleILi2ELi2ELi0ELi4ELi0ELi0EELi0ELi0ELi4ELi1EEEviiP15ncclDevWorkColl
	.type	_ZN12_GLOBAL__N_17runRingI12hip_bfloat168FuncProdIS1_E11ProtoSimpleILi2ELi2ELi0ELi4ELi0ELi0EELi0ELi0ELi4ELi1EEEviiP15ncclDevWorkColl,@function
_ZN12_GLOBAL__N_17runRingI12hip_bfloat168FuncProdIS1_E11ProtoSimpleILi2ELi2ELi0ELi4ELi0ELi0EELi0ELi0ELi4ELi1EEEviiP15ncclDevWorkColl: ; @_ZN12_GLOBAL__N_17runRingI12hip_bfloat168FuncProdIS1_E11ProtoSimpleILi2ELi2ELi0ELi4ELi0ELi0EELi0ELi0ELi4ELi1EEEviiP15ncclDevWorkColl
; %bb.0:
	s_wait_loadcnt_dscnt 0x0
	s_wait_kmcnt 0x0
	s_mov_b32 s94, s33
	s_mov_b32 s33, s32
	s_or_saveexec_b32 s0, -1
	scratch_store_b32 off, v127, s33 offset:456 ; 4-byte Folded Spill
	s_wait_xcnt 0x0
	s_mov_b32 exec_lo, s0
	s_addk_co_i32 s32, 0x1d0
	s_clause 0x2e
	scratch_store_b32 off, v40, s33 offset:184
	; meta instruction
	scratch_store_b32 off, v41, s33 offset:180
	; meta instruction
	;; [unrolled: 2-line block ×46, first 2 shown]
	scratch_store_b32 off, v126, s33
	v_writelane_b32 v127, s30, 0
	v_writelane_b32 v127, s31, 1
	v_mov_b32_e32 v17, v1
	s_trap 2
	flat_load_b32 v1, v[2:3]
	ds_load_b32 v6, v0
	s_mov_b32 s0, exec_lo
                                        ; implicit-def: $vgpr4_vgpr5
                                        ; implicit-def: $vgpr10_vgpr11
                                        ; kill: killed $vgpr10_vgpr11
                                        ; implicit-def: $vgpr20_vgpr21
	s_wait_dscnt 0x0
	v_readfirstlane_b32 s16, v6
	s_wait_loadcnt 0x0
	v_and_b32_e32 v8, 0xff, v1
	s_wait_xcnt 0x0
	s_delay_alu instid0(VALU_DEP_1)
	v_cmpx_ne_u32_e64 v6, v8
	s_xor_b32 s0, exec_lo, s0
	s_cbranch_execz .LBB12_6
; %bb.1:
	v_bfe_u32 v7, v1, 8, 8
	v_not_b32_e32 v1, v8
	s_mov_b32 s1, exec_lo
                                        ; implicit-def: $vgpr4_vgpr5
                                        ; implicit-def: $vgpr8_vgpr9
                                        ; kill: killed $vgpr8_vgpr9
                                        ; implicit-def: $vgpr20_vgpr21
	s_delay_alu instid0(VALU_DEP_2)
	v_cmpx_ne_u32_e64 v6, v7
	s_xor_b32 s1, exec_lo, s1
	s_cbranch_execz .LBB12_3
; %bb.2:
	s_clause 0x1
	flat_load_b128 v[8:11], v[2:3] offset:72
	flat_load_b64 v[4:5], v[2:3] offset:96
	v_add_nc_u32_e32 v1, v6, v1
                                        ; implicit-def: $vgpr7
	s_wait_loadcnt_dscnt 0x101
	s_delay_alu instid0(VALU_DEP_1) | instskip(SKIP_3) | instid1(VALU_DEP_3)
	v_mad_nc_u64_u32 v[8:9], v10, v1, v[8:9]
	s_wait_loadcnt_dscnt 0x0
	v_lshrrev_b64 v[4:5], 13, v[4:5]
	v_mov_b64_e32 v[20:21], v[10:11]
	v_mad_u32 v6, v11, v1, v9
	v_ashrrev_i32_e32 v1, 31, v1
	s_delay_alu instid0(VALU_DEP_1)
	v_mad_u32 v9, v10, v1, v6
                                        ; implicit-def: $vgpr1
	scratch_store_b64 off, v[8:9], s33 offset:396 ; 8-byte Folded Spill
.LBB12_3:
	s_wait_xcnt 0x0
	s_and_not1_saveexec_b32 s1, s1
	s_cbranch_execz .LBB12_5
; %bb.4:
	s_clause 0x1
	flat_load_b128 v[8:11], v[2:3] offset:72
	flat_load_b128 v[20:23], v[2:3] offset:88
	v_add_nc_u32_e32 v1, v7, v1
	s_wait_loadcnt_dscnt 0x101
	s_delay_alu instid0(VALU_DEP_1) | instskip(NEXT) | instid1(VALU_DEP_1)
	v_mad_nc_u64_u32 v[6:7], v10, v1, v[8:9]
	v_mad_u32 v4, v11, v1, v7
	v_ashrrev_i32_e32 v1, 31, v1
	s_delay_alu instid0(VALU_DEP_1)
	v_mad_u32 v7, v10, v1, v4
	s_wait_loadcnt_dscnt 0x0
	v_lshrrev_b32_e32 v4, 2, v23
	scratch_store_b64 off, v[6:7], s33 offset:396 ; 8-byte Folded Spill
.LBB12_5:
	s_wait_xcnt 0x0
	s_or_b32 exec_lo, exec_lo, s1
.LBB12_6:
	s_and_not1_saveexec_b32 s0, s0
	s_cbranch_execz .LBB12_8
; %bb.7:
	s_clause 0x1
	flat_load_b64 v[4:5], v[2:3] offset:96
	flat_load_b64 v[20:21], v[2:3] offset:72
	v_mov_b64_e32 v[6:7], 0
	scratch_store_b64 off, v[6:7], s33 offset:396 ; 8-byte Folded Spill
	s_wait_loadcnt_dscnt 0x101
	v_lshlrev_b64_e32 v[4:5], 8, v[4:5]
.LBB12_8:
	s_wait_xcnt 0x0
	s_or_b32 exec_lo, exec_lo, s0
	s_trap 2
	ds_load_b64 v[6:7], v0
	s_mov_b32 s1, 0
	s_mov_b32 s2, exec_lo
	s_wait_dscnt 0x0
	v_cmp_ne_u32_e32 vcc_lo, -1, v6
	v_cndmask_b32_e64 v1, 0, 1, vcc_lo
	v_cmp_ne_u32_e32 vcc_lo, -1, v7
	s_delay_alu instid0(VALU_DEP_2) | instskip(NEXT) | instid1(VALU_DEP_1)
	v_add_co_ci_u32_e64 v8, null, 0, v1, vcc_lo
	v_lshlrev_b32_e32 v5, 1, v8
	s_delay_alu instid0(VALU_DEP_1)
	v_cmpx_le_u32_e64 v5, v17
	s_xor_b32 s42, exec_lo, s2
	s_cbranch_execz .LBB12_3545
; %bb.9:
	s_clause 0x3
	flat_load_b128 v[10:13], v[2:3] offset:16
	flat_load_b64 v[14:15], v[2:3] offset:104
	flat_load_u16 v7, v[2:3] offset:8
	flat_load_b32 v6, v[2:3] offset:4
	s_trap 2
	s_load_b32 s0, s[8:9], 0x0
	s_bfe_u32 s2, ttmp6, 0x4000c
	s_and_b32 s3, ttmp6, 15
	s_add_co_i32 s2, s2, 1
	s_getreg_b32 s4, hwreg(HW_REG_IB_STS2, 6, 4)
	s_mul_i32 s2, ttmp9, s2
	v_dual_mov_b32 v5, 0 :: v_dual_mov_b32 v126, 4
	s_add_co_i32 s3, s3, s2
	s_cmp_eq_u32 s4, 0
	ds_load_b32 v9, v0
	s_cselect_b32 s2, ttmp9, s3
	s_wait_kmcnt 0x0
	s_cmp_lt_u32 s2, s0
	s_cselect_b32 s0, 12, 18
	s_delay_alu instid0(SALU_CYCLE_1)
	s_add_nc_u64 s[0:1], s[8:9], s[0:1]
	global_load_u16 v5, v5, s[0:1]
	s_wait_xcnt 0x0
	s_mov_b32 s1, exec_lo
	s_wait_dscnt 0x0
	v_readfirstlane_b32 s6, v9
	v_cmpx_ge_i32_e64 v0, v1
	s_cbranch_execz .LBB12_19
; %bb.10:
	v_cmp_ge_u32_e64 s0, v0, v8
                                        ; implicit-def: $vgpr126
	s_and_saveexec_b32 s2, s0
	s_delay_alu instid0(SALU_CYCLE_1)
	s_xor_b32 s0, exec_lo, s2
	s_cbranch_execz .LBB12_16
; %bb.11:
	v_cndmask_b32_e64 v9, 0, 1, vcc_lo
	s_mov_b32 s2, exec_lo
	s_delay_alu instid0(VALU_DEP_1) | instskip(NEXT) | instid1(VALU_DEP_1)
	v_sub_nc_u32_e32 v9, v17, v9
	v_cmpx_ge_u32_e64 v0, v9
	s_xor_b32 s2, exec_lo, s2
; %bb.12:
                                        ; implicit-def: $vgpr8
; %bb.13:
	s_delay_alu instid0(SALU_CYCLE_1)
	s_or_saveexec_b32 s2, s2
	v_mov_b32_e32 v126, 16
	s_xor_b32 exec_lo, exec_lo, s2
; %bb.14:
	v_sub_nc_u32_e32 v8, v17, v8
	s_delay_alu instid0(VALU_DEP_1)
	v_cmp_lt_i32_e32 vcc_lo, v0, v8
	v_cndmask_b32_e64 v126, 32, 0, vcc_lo
; %bb.15:
	s_or_b32 exec_lo, exec_lo, s2
.LBB12_16:
	s_and_not1_saveexec_b32 s0, s0
; %bb.17:
	v_mov_b32_e32 v126, 8
; %bb.18:
	s_or_b32 exec_lo, exec_lo, s0
.LBB12_19:
	s_delay_alu instid0(SALU_CYCLE_1) | instskip(NEXT) | instid1(VALU_DEP_1)
	s_or_b32 exec_lo, exec_lo, s1
	v_dual_mov_b32 v16, -1 :: v_dual_bitop2_b32 v8, 36, v126 bitop3:0x40
	s_delay_alu instid0(VALU_DEP_1)
	v_cmp_ne_u32_e32 vcc_lo, 0, v8
	s_and_saveexec_b32 s0, vcc_lo
	s_cbranch_execz .LBB12_21
; %bb.20:
	s_trap 2
	ds_load_b32 v16, v0
.LBB12_21:
	s_or_b32 exec_lo, exec_lo, s0
	v_and_b32_e32 v8, 24, v126
	s_mov_b32 s1, exec_lo
	s_delay_alu instid0(VALU_DEP_1)
	v_cmpx_ne_u32_e32 0, v8
	s_cbranch_execz .LBB12_23
; %bb.22:
	s_trap 2
	s_wait_dscnt 0x0
	ds_load_b32 v16, v0
.LBB12_23:
	s_or_b32 exec_lo, exec_lo, s1
	s_wait_loadcnt 0x1
	v_lshrrev_b64 v[6:7], 31, v[6:7]
	v_mov_b64_e32 v[8:9], 0
	v_mov_b64_e32 v[18:19], 0
                                        ; implicit-def: $vgpr116_vgpr117
                                        ; implicit-def: $vgpr58_vgpr59
                                        ; implicit-def: $vgpr40_vgpr41
	s_delay_alu instid0(VALU_DEP_3)
	v_and_b32_e32 v6, 3, v6
	s_clause 0x1
	scratch_store_b128 off, v[8:11], s33 offset:272
	; meta instruction
	; meta instruction
	; meta instruction
	scratch_store_b64 off, v[8:9], s33 offset:296
                                        ; implicit-def: $vgpr8_vgpr9
                                        ; kill: killed $vgpr8_vgpr9
	v_and_b32_e32 v6, 0xffff, v6
	s_wait_xcnt 0x0
	s_and_saveexec_b32 s0, vcc_lo
	s_cbranch_execz .LBB12_33
; %bb.24:
	s_trap 2
	ds_load_b64 v[8:9], v0
	s_mov_b32 s1, exec_lo
                                        ; implicit-def: $vgpr18_vgpr19
                                        ; kill: killed $vgpr18_vgpr19
	s_wait_dscnt 0x0
	v_readfirstlane_b32 s2, v8
	v_readfirstlane_b32 s3, v9
	flat_load_b64 v[8:9], v16, s[2:3] scale_offset
	s_wait_loadcnt_dscnt 0x0
	v_mad_nc_u64_u32 v[8:9], 0xa8, v6, v[8:9]
	flat_load_b32 v7, v[8:9] offset:640
	s_wait_loadcnt_dscnt 0x0
	v_cmpx_eq_u32_e32 1, v7
	s_cbranch_execz .LBB12_26
; %bb.25:
	flat_load_b64 v[22:23], v[8:9] offset:648
	v_or_b32_e32 v126, 0x2000, v126
	s_wait_loadcnt_dscnt 0x0
	flat_load_b64 v[18:19], v[22:23]
	s_trap 2
	scratch_store_b64 off, v[22:23], s33 offset:448 ; 8-byte Folded Spill
	s_wait_loadcnt_dscnt 0x0
	ds_store_b64 v0, v[18:19]
	flat_load_b64 v[18:19], v[22:23] offset:8
	s_wait_loadcnt_dscnt 0x0
	ds_store_b64 v0, v[18:19]
	flat_load_b64 v[18:19], v[22:23] offset:16
	s_wait_loadcnt_dscnt 0x0
	ds_store_b64 v0, v[18:19]
.LBB12_26:
	s_wait_xcnt 0x0
	s_or_b32 exec_lo, exec_lo, s1
	flat_load_b64 v[18:19], v[8:9] offset:608
	v_and_b32_e32 v7, 32, v126
	s_mov_b32 s1, exec_lo
                                        ; implicit-def: $vgpr40_vgpr41
	s_wait_loadcnt_dscnt 0x0
	v_add_nc_u64_e32 v[116:117], 3, v[18:19]
	s_delay_alu instid0(VALU_DEP_1)
	v_and_b32_e32 v116, -4, v116
	s_wait_xcnt 0x0
	v_cmpx_ne_u32_e32 0, v7
	s_cbranch_execz .LBB12_28
; %bb.27:
	flat_load_b64 v[40:41], v[8:9] offset:560
	global_wb scope:SCOPE_SYS
	s_wait_storecnt 0x0
	s_wait_xcnt 0x0
	s_wait_loadcnt_dscnt 0x0
	flat_store_b64 v[40:41], v[116:117] scope:SCOPE_SYS
.LBB12_28:
	s_wait_xcnt 0x0
	s_or_b32 exec_lo, exec_lo, s1
	v_mov_b64_e32 v[22:23], 0
	v_add_nc_u64_e32 v[18:19], 0x1f8, v[8:9]
	v_and_b32_e32 v7, 4, v126
	s_mov_b32 s1, exec_lo
                                        ; implicit-def: $vgpr58_vgpr59
	s_clause 0x1
	scratch_store_b128 off, v[22:25], s33 offset:272
	; meta instruction
	scratch_store_b64 off, v[22:23], s33 offset:296
                                        ; implicit-def: $vgpr22_vgpr23
                                        ; kill: killed $vgpr22_vgpr23
	s_wait_xcnt 0x0
	v_cmpx_ne_u32_e32 0, v7
	s_cbranch_execz .LBB12_32
; %bb.29:
	v_and_b32_e32 v7, 0x800, v126
	s_mov_b32 s2, exec_lo
	s_delay_alu instid0(VALU_DEP_1)
	v_cmpx_eq_u32_e32 0, v7
	s_cbranch_execz .LBB12_31
; %bb.30:
	s_trap 2
	ds_store_b64 v0, v[18:19]
.LBB12_31:
	s_or_b32 exec_lo, exec_lo, s2
	flat_load_b64 v[40:41], v[8:9] offset:552
                                        ; kill: killed $vgpr8_vgpr9
	s_wait_loadcnt_dscnt 0x0
	flat_load_b64 v[58:59], v[40:41] scope:SCOPE_SYS
	s_clause 0x2
	flat_load_b32 v7, v[8:9] offset:576
	flat_load_b64 v[24:25], v[8:9] offset:600
	flat_load_b64 v[22:23], v[8:9] offset:520
	s_wait_xcnt 0x0
	v_or_b32_e32 v8, 0x100, v126
	s_wait_loadcnt_dscnt 0x101
	v_cmp_eq_u64_e32 vcc_lo, 0, v[24:25]
	s_wait_loadcnt_dscnt 0x0
	scratch_store_b64 off, v[22:23], s33 offset:264 ; 8-byte Folded Spill
	s_wait_xcnt 0x0
	v_dual_ashrrev_i32 v22, 1, v7 :: v_dual_cndmask_b32 v126, v8, v126, vcc_lo
	scratch_store_b64 off, v[22:23], s33 offset:296 ; 8-byte Folded Spill
	s_wait_xcnt 0x0
	v_mov_b64_e32 v[22:23], v[24:25]
	scratch_store_b128 off, v[22:25], s33 offset:272 ; 16-byte Folded Spill
.LBB12_32:
	s_wait_xcnt 0x0
	s_or_b32 exec_lo, exec_lo, s1
.LBB12_33:
	s_delay_alu instid0(SALU_CYCLE_1) | instskip(SKIP_2) | instid1(VALU_DEP_1)
	s_or_b32 exec_lo, exec_lo, s0
	v_and_b32_e32 v7, 24, v126
	s_mov_b32 s0, exec_lo
                                        ; implicit-def: $vgpr8_vgpr9
                                        ; kill: killed $vgpr8_vgpr9
	v_cmpx_ne_u32_e32 0, v7
	s_cbranch_execz .LBB12_41
; %bb.34:
	s_trap 2
	ds_load_b64 v[8:9], v0
	s_wait_dscnt 0x0
	v_readfirstlane_b32 s2, v8
	v_readfirstlane_b32 s3, v9
	flat_load_b64 v[8:9], v16, s[2:3] scale_offset
	s_wait_loadcnt_dscnt 0x0
	v_mad_nc_u64_u32 v[18:19], 0xa8, v6, v[8:9]
	v_or_b32_e32 v6, 0x100, v126
	flat_load_b128 v[22:25], v[18:19] offset:96
	s_wait_loadcnt_dscnt 0x0
	v_cmp_eq_u64_e32 vcc_lo, 0, v[22:23]
	scratch_store_b128 off, v[22:25], s33 offset:272 ; 16-byte Folded Spill
	v_cndmask_b32_e32 v126, v6, v126, vcc_lo
	s_delay_alu instid0(VALU_DEP_1) | instskip(NEXT) | instid1(VALU_DEP_1)
	v_and_b32_e32 v6, 16, v126
	v_cmp_ne_u32_e32 vcc_lo, 0, v6
                                        ; implicit-def: $vgpr6_vgpr7
                                        ; kill: killed $vgpr6_vgpr7
	s_wait_xcnt 0x0
	s_and_saveexec_b32 s1, vcc_lo
	s_cbranch_execz .LBB12_36
; %bb.35:
	s_clause 0x1
	flat_load_b64 v[40:41], v[18:19] offset:48
	flat_load_b64 v[6:7], v[18:19] offset:120
	s_wait_loadcnt_dscnt 0x0
	scratch_store_b64 off, v[6:7], s33 offset:288 ; 8-byte Folded Spill
	flat_load_b64 v[6:7], v[18:19] offset:16
	s_wait_loadcnt_dscnt 0x0
	scratch_store_b64 off, v[6:7], s33 offset:264 ; 8-byte Folded Spill
.LBB12_36:
	s_wait_xcnt 0x0
	s_or_b32 exec_lo, exec_lo, s1
	scratch_load_b128 v[6:9], off, s33 offset:272 ; 16-byte Folded Reload
	s_wait_loadcnt 0x0
	v_and_b32_e32 v6, 8, v126
	s_mov_b32 s1, exec_lo
	v_add_nc_u64_e32 v[116:117], 3, v[8:9]
	s_delay_alu instid0(VALU_DEP_1)
	v_and_b32_e32 v116, -4, v116
	s_wait_xcnt 0x0
	v_cmpx_ne_u32_e32 0, v6
	s_cbranch_execz .LBB12_40
; %bb.37:
	v_and_b32_e32 v6, 0x800, v126
	s_mov_b32 s2, exec_lo
	s_delay_alu instid0(VALU_DEP_1)
	v_cmpx_eq_u32_e32 0, v6
	s_cbranch_execz .LBB12_39
; %bb.38:
	s_trap 2
	ds_store_b64 v0, v[18:19]
.LBB12_39:
	s_or_b32 exec_lo, exec_lo, s2
	flat_load_b64 v[40:41], v[18:19] offset:56
	s_wait_loadcnt_dscnt 0x0
	flat_load_b64 v[58:59], v[40:41] scope:SCOPE_SYS
	s_clause 0x1
	flat_load_b32 v6, v[18:19] offset:72
	flat_load_b64 v[8:9], v[18:19] offset:16
	s_wait_loadcnt_dscnt 0x101
	v_ashrrev_i32_e32 v6, 1, v6
	s_wait_loadcnt_dscnt 0x0
	s_clause 0x1
	scratch_store_b64 off, v[8:9], s33 offset:264
	scratch_store_b64 off, v[6:7], s33 offset:296
.LBB12_40:
	s_wait_xcnt 0x0
	s_or_b32 exec_lo, exec_lo, s1
.LBB12_41:
	s_delay_alu instid0(SALU_CYCLE_1)
	s_or_b32 exec_lo, exec_lo, s0
	v_cmp_eq_u32_e64 s0, 0, v0
	s_and_saveexec_b32 s1, s0
	s_cbranch_execz .LBB12_43
; %bb.42:
	flat_load_b64 v[6:7], v[2:3] offset:32
	v_dual_mov_b32 v8, v12 :: v_dual_mov_b32 v9, v13
	ds_store_2addr_b64 v0, v[8:9], v[10:11] offset1:1
	s_trap 2
	s_wait_loadcnt_dscnt 0x1
	ds_store_b64 v0, v[6:7]
	ds_store_b64 v0, v[14:15]
.LBB12_43:
	s_wait_xcnt 0x0
	s_or_b32 exec_lo, exec_lo, s1
	v_mov_b64_e32 v[56:57], 0
	s_wait_loadcnt 0x0
	v_and_b32_e32 v8, 0xffff, v5
	s_mov_b32 s43, exec_lo
	v_cmpx_lt_i64_e32 0, v[20:21]
	s_cbranch_execz .LBB12_3511
; %bb.44:
	scratch_load_b64 v[6:7], off, s33 offset:296 ; 8-byte Folded Reload
	flat_load_b32 v5, v[2:3] offset:4
	scratch_store_b32 off, v8, s33 offset:440 ; 4-byte Folded Spill
	v_cmp_ne_u32_e64 s3, v17, v8
	scratch_load_b64 v[8:9], off, s33 offset:288 ; 8-byte Folded Reload
	v_and_b32_e32 v2, 0x1fffff00, v4
	v_dual_mov_b32 v3, 0 :: v_dual_bitop2_b32 v4, 31, v31 bitop3:0x40
	s_ashr_i32 s7, s6, 31
	s_ashr_i32 s17, s16, 31
	s_lshr_b32 s7, s7, 29
	s_delay_alu instid0(VALU_DEP_1)
	v_mul_u64_e32 v[10:11], s[16:17], v[2:3]
	s_add_co_i32 s7, s6, s7
	v_cmp_eq_u32_e64 s6, 0, v4
	s_add_co_i32 s44, s16, s16
	s_not_b32 s10, s16
	s_ashr_i32 s11, s7, 4
	s_cmp_gt_i32 s16, 0
	v_cmp_ge_i32_e32 vcc_lo, v0, v17
	s_cselect_b32 s10, s10, -1
	s_ashr_i32 s7, s7, 31
	s_add_co_i32 s24, s10, s44
	s_lshr_b32 s7, s7, 28
	s_ashr_i32 s25, s24, 31
	s_add_co_i32 s11, s11, s7
	v_mov_b64_e32 v[56:57], 0
	s_ashr_i32 s45, s11, 4
	s_cmp_gt_i32 s16, 2
	v_cmp_eq_u32_e64 s1, 32, v17
	s_cselect_b32 s46, -1, 0
	s_add_co_i32 s13, s16, 1
	s_add_co_i32 s47, s33, 0xf0
	s_add_co_i32 s56, s33, 0xd0
	s_add_co_i32 s57, s33, 0xf0
	s_add_co_i32 s58, s33, 0xd0
	s_add_co_i32 s59, s33, 0xf0
	s_add_co_i32 s60, s33, 0xd0
	v_cmp_ne_u32_e64 s2, 32, v17
	s_mov_b32 s19, 0
	s_mov_b64 s[20:21], 0xffffffff
	s_add_nc_u64 s[22:23], s[16:17], -1
	s_mov_b32 s73, 0
	v_dual_mov_b32 v61, v3 :: v_dual_lshrrev_b32 v60, 5, v17
	scratch_store_b64 off, v[2:3], s33 offset:352 ; 8-byte Folded Spill
	v_lshl_add_u32 v78, v60, 10, 0xfffffc00
	v_lshl_add_u32 v88, v60, 11, 0xfffff800
	s_delay_alu instid0(VALU_DEP_2) | instskip(NEXT) | instid1(VALU_DEP_1)
	v_dual_lshlrev_b32 v12, 9, v60 :: v_dual_ashrrev_i32 v79, 31, v78
	v_dual_mov_b32 v121, v12 :: v_dual_add_nc_u32 v90, 0xfffffe00, v12
	s_delay_alu instid0(VALU_DEP_2)
	v_add_nc_u64_e32 v[104:105], 0x400, v[78:79]
	s_wait_loadcnt 0x2
	v_ashrrev_i32_e32 v7, 31, v6
	s_wait_loadcnt 0x0
	v_cmp_eq_u64_e64 s4, 0, v[8:9]
	s_clause 0x1
	scratch_store_b64 off, v[6:7], s33 offset:296
	scratch_store_b32 off, v17, s33 offset:444
	s_wait_xcnt 0x1
	v_ashrrev_i32_e32 v6, 31, v0
	v_cmp_ne_u64_e64 s5, 0, v[8:9]
	v_mov_b64_e32 v[8:9], 0
	s_delay_alu instid0(VALU_DEP_3) | instskip(SKIP_2) | instid1(VALU_DEP_2)
	v_lshrrev_b32_e32 v4, 27, v6
	v_lshl_add_u32 v6, v60, 12, 0xfffff000
	v_lshlrev_b32_e32 v76, 6, v60
	v_dual_add_nc_u32 v2, v0, v4 :: v_dual_ashrrev_i32 v7, 31, v6
	scratch_store_b32 off, v31, s33 offset:428 ; 4-byte Folded Spill
	v_ashrrev_i32_e32 v89, 31, v88
	v_subrev_nc_u32_e32 v92, 64, v76
	v_ashrrev_i32_e32 v12, 5, v2
	scratch_store_b64 off, v[6:7], s33 offset:304 ; 8-byte Folded Spill
	s_wait_xcnt 0x0
	v_add_nc_u64_e32 v[6:7], 0x1000, v[6:7]
	v_and_b32_e32 v2, 0xffffffe0, v2
	v_add_nc_u64_e32 v[106:107], 0x800, v[88:89]
	v_dual_ashrrev_i32 v91, 31, v90 :: v_dual_ashrrev_i32 v93, 31, v92
	v_lshlrev_b32_e32 v4, 11, v12
	scratch_store_b64 off, v[6:7], s33 offset:256 ; 8-byte Folded Spill
	s_wait_dscnt 0x0
	s_wait_xcnt 0x0
	v_dual_sub_nc_u32 v6, v0, v2 :: v_dual_bitop2_b32 v2, 1, v5 bitop3:0x40
	scratch_store_b32 off, v12, s33 offset:312 ; 4-byte Folded Spill
	v_lshlrev_b32_e32 v0, 4, v6
	v_cmp_eq_u32_e64 s10, 1, v2
	v_cmp_gt_i32_e64 s7, 1, v6
	v_cmp_lt_i32_e64 s11, v6, v1
	v_cmp_le_i32_e64 s12, v6, v1
	v_lshl_add_u32 v0, v12, 12, v0
	s_xor_b32 s61, s10, -1
	s_cmp_ge_i32 s13, s16
	s_cselect_b32 s14, s16, 0
	s_delay_alu instid0(VALU_DEP_1)
	v_sub_nc_u32_e32 v4, v0, v4
	v_ashrrev_i32_e32 v1, 31, v0
	s_sub_co_i32 s28, s13, s14
	s_add_co_i32 s62, s16, -2
	s_xor_b32 s63, vcc_lo, -1
	v_ashrrev_i32_e32 v5, 31, v4
	s_ashr_i32 s26, s17, 31
	s_sub_co_i32 s72, 0, s16
	s_ashr_i32 s29, s28, 31
	s_clause 0x3
	scratch_store_b64 off, v[18:19], s33 offset:432
	scratch_store_b64 off, v[0:1], s33 offset:336
	scratch_store_b32 off, v6, s33 offset:316
	scratch_store_b64 off, v[4:5], s33 offset:328
	s_trap 2
	s_clause 0x1
	scratch_store_b128 off, v[20:23], s33 offset:404
	scratch_store_b64 off, v[10:11], s33 offset:420
	s_branch .LBB12_47
.LBB12_45:                              ;   in Loop: Header=BB12_47 Depth=1
	s_or_b32 exec_lo, exec_lo, s15
.LBB12_46:                              ;   in Loop: Header=BB12_47 Depth=1
	s_delay_alu instid0(SALU_CYCLE_1)
	s_or_b32 exec_lo, exec_lo, s14
	s_wait_loadcnt 0x0
	s_clause 0x2
	scratch_load_b64 v[8:9], off, s33 offset:368 th:TH_LOAD_LU
	scratch_load_b64 v[10:11], off, s33 offset:420
	scratch_load_b128 v[20:23], off, s33 offset:404
	s_wait_loadcnt 0x1
	v_add_nc_u64_e32 v[8:9], v[8:9], v[10:11]
	s_wait_loadcnt 0x0
	s_delay_alu instid0(VALU_DEP_1)
	v_cmp_ge_i64_e32 vcc_lo, v[8:9], v[20:21]
	s_or_b32 s73, vcc_lo, s73
	s_wait_xcnt 0x0
	s_and_not1_b32 exec_lo, exec_lo, s73
	s_cbranch_execz .LBB12_3510
.LBB12_47:                              ; =>This Loop Header: Depth=1
                                        ;     Child Loop BB12_57 Depth 2
                                        ;       Child Loop BB12_65 Depth 3
                                        ;       Child Loop BB12_89 Depth 3
                                        ;       Child Loop BB12_110 Depth 3
                                        ;       Child Loop BB12_135 Depth 3
                                        ;       Child Loop BB12_147 Depth 3
                                        ;       Child Loop BB12_163 Depth 3
                                        ;       Child Loop BB12_174 Depth 3
                                        ;       Child Loop BB12_188 Depth 3
                                        ;       Child Loop BB12_211 Depth 3
                                        ;     Child Loop BB12_230 Depth 2
                                        ;       Child Loop BB12_236 Depth 3
                                        ;       Child Loop BB12_260 Depth 3
	;; [unrolled: 1-line block ×3, first 2 shown]
                                        ;     Child Loop BB12_304 Depth 2
                                        ;       Child Loop BB12_307 Depth 3
                                        ;         Child Loop BB12_315 Depth 4
                                        ;         Child Loop BB12_343 Depth 4
	;; [unrolled: 1-line block ×5, first 2 shown]
                                        ;           Child Loop BB12_788 Depth 5
                                        ;           Child Loop BB12_825 Depth 5
                                        ;         Child Loop BB12_902 Depth 4
                                        ;         Child Loop BB12_1105 Depth 4
                                        ;           Child Loop BB12_1106 Depth 5
                                        ;           Child Loop BB12_1115 Depth 5
                                        ;         Child Loop BB12_1134 Depth 4
                                        ;         Child Loop BB12_1153 Depth 4
                                        ;       Child Loop BB12_1172 Depth 3
                                        ;         Child Loop BB12_1178 Depth 4
                                        ;         Child Loop BB12_1206 Depth 4
	;; [unrolled: 1-line block ×3, first 2 shown]
                                        ;     Child Loop BB12_1247 Depth 2
                                        ;       Child Loop BB12_1255 Depth 3
                                        ;       Child Loop BB12_1283 Depth 3
                                        ;       Child Loop BB12_1302 Depth 3
                                        ;       Child Loop BB12_1325 Depth 3
                                        ;       Child Loop BB12_1725 Depth 3
                                        ;         Child Loop BB12_1726 Depth 4
                                        ;         Child Loop BB12_1761 Depth 4
	;; [unrolled: 1-line block ×4, first 2 shown]
                                        ;       Child Loop BB12_1837 Depth 3
                                        ;       Child Loop BB12_1845 Depth 3
	;; [unrolled: 1-line block ×3, first 2 shown]
                                        ;         Child Loop BB12_2051 Depth 4
                                        ;         Child Loop BB12_2058 Depth 4
	;; [unrolled: 1-line block ×4, first 2 shown]
                                        ;       Child Loop BB12_2077 Depth 3
                                        ;       Child Loop BB12_2089 Depth 3
	;; [unrolled: 1-line block ×3, first 2 shown]
                                        ;         Child Loop BB12_2488 Depth 4
                                        ;         Child Loop BB12_2525 Depth 4
                                        ;       Child Loop BB12_2602 Depth 3
                                        ;       Child Loop BB12_2805 Depth 3
                                        ;         Child Loop BB12_2806 Depth 4
                                        ;         Child Loop BB12_2815 Depth 4
                                        ;       Child Loop BB12_2834 Depth 3
                                        ;       Child Loop BB12_2857 Depth 3
                                        ;     Child Loop BB12_2876 Depth 2
                                        ;       Child Loop BB12_2882 Depth 3
                                        ;       Child Loop BB12_2910 Depth 3
	;; [unrolled: 1-line block ×3, first 2 shown]
                                        ;     Child Loop BB12_2951 Depth 2
                                        ;       Child Loop BB12_2954 Depth 3
                                        ;         Child Loop BB12_2962 Depth 4
                                        ;         Child Loop BB12_2990 Depth 4
	;; [unrolled: 1-line block ×5, first 2 shown]
                                        ;           Child Loop BB12_3052 Depth 5
                                        ;           Child Loop BB12_3057 Depth 5
                                        ;         Child Loop BB12_3063 Depth 4
                                        ;         Child Loop BB12_3071 Depth 4
	;; [unrolled: 1-line block ×3, first 2 shown]
                                        ;           Child Loop BB12_3083 Depth 5
                                        ;           Child Loop BB12_3088 Depth 5
                                        ;         Child Loop BB12_3092 Depth 4
                                        ;         Child Loop BB12_3104 Depth 4
	;; [unrolled: 1-line block ×7, first 2 shown]
                                        ;       Child Loop BB12_3197 Depth 3
                                        ;         Child Loop BB12_3203 Depth 4
                                        ;         Child Loop BB12_3231 Depth 4
	;; [unrolled: 1-line block ×3, first 2 shown]
                                        ;     Child Loop BB12_3275 Depth 2
                                        ;       Child Loop BB12_3283 Depth 3
                                        ;       Child Loop BB12_3307 Depth 3
	;; [unrolled: 1-line block ×9, first 2 shown]
                                        ;     Child Loop BB12_3444 Depth 2
                                        ;       Child Loop BB12_3450 Depth 3
                                        ;       Child Loop BB12_3474 Depth 3
	;; [unrolled: 1-line block ×3, first 2 shown]
	s_wait_xcnt 0x4
	v_sub_nc_u64_e32 v[0:1], v[20:21], v[8:9]
	s_mov_b32 s40, exec_lo
	s_clause 0x1
	scratch_store_b64 off, v[8:9], s33 offset:368
	scratch_store_b64 off, v[0:1], s33 offset:344
	s_wait_xcnt 0x0
	v_cmpx_lt_i64_e64 v[0:1], v[10:11]
	s_cbranch_execz .LBB12_53
; %bb.48:                               ;   in Loop: Header=BB12_47 Depth=1
	scratch_load_b64 v[0:1], off, s33 offset:344 ; 8-byte Folded Reload
	v_mov_b32_e32 v4, v3
	s_wait_loadcnt 0x0
	v_add_nc_u64_e32 v[0:1], s[22:23], v[0:1]
	s_delay_alu instid0(VALU_DEP_1) | instskip(NEXT) | instid1(VALU_DEP_1)
	v_or_b32_e32 v5, s17, v1
	v_cmp_ne_u64_e32 vcc_lo, 0, v[4:5]
                                        ; implicit-def: $vgpr4_vgpr5
	s_wait_xcnt 0x0
	s_and_saveexec_b32 s13, vcc_lo
	s_delay_alu instid0(SALU_CYCLE_1)
	s_xor_b32 s41, exec_lo, s13
	s_cbranch_execz .LBB12_50
; %bb.49:                               ;   in Loop: Header=BB12_47 Depth=1
	s_mov_b32 s27, s26
	v_dual_mov_b32 v9, v3 :: v_dual_ashrrev_i32 v4, 31, v1
	s_add_nc_u64 s[14:15], s[16:17], s[26:27]
	v_mov_b32_e32 v13, v3
	s_xor_b64 s[14:15], s[14:15], s[26:27]
	s_delay_alu instid0(VALU_DEP_2) | instskip(SKIP_3) | instid1(VALU_DEP_1)
	v_mov_b32_e32 v5, v4
	s_cvt_f32_u32 s13, s14
	s_cvt_f32_u32 s18, s15
	s_sub_nc_u64 s[76:77], 0, s[14:15]
	v_add_nc_u64_e32 v[0:1], v[0:1], v[4:5]
	s_delay_alu instid0(SALU_CYCLE_1) | instskip(NEXT) | instid1(SALU_CYCLE_3)
	s_fmamk_f32 s13, s18, 0x4f800000, s13
	v_s_rcp_f32 s13, s13
	s_delay_alu instid0(VALU_DEP_1) | instskip(NEXT) | instid1(VALU_DEP_2)
	v_xor_b32_e32 v2, v0, v4
	v_xor_b32_e32 v8, v1, v4
	;; [unrolled: 1-line block ×3, first 2 shown]
	s_delay_alu instid0(TRANS32_DEP_1) | instskip(NEXT) | instid1(SALU_CYCLE_3)
	s_mul_f32 s13, s13, 0x5f7ffffc
	s_mul_f32 s18, s13, 0x2f800000
	s_delay_alu instid0(SALU_CYCLE_3) | instskip(NEXT) | instid1(SALU_CYCLE_3)
	s_trunc_f32 s18, s18
	s_fmamk_f32 s13, s18, 0xcf800000, s13
	s_cvt_u32_f32 s75, s18
	s_delay_alu instid0(SALU_CYCLE_2) | instskip(NEXT) | instid1(SALU_CYCLE_3)
	s_cvt_u32_f32 s74, s13
	s_mul_u64 s[78:79], s[76:77], s[74:75]
	s_delay_alu instid0(SALU_CYCLE_1)
	s_mul_hi_u32 s89, s74, s79
	s_mul_i32 s88, s74, s79
	s_mul_hi_u32 s18, s74, s78
	s_mul_i32 s27, s75, s78
	s_add_nc_u64 s[88:89], s[18:19], s[88:89]
	s_mul_hi_u32 s13, s75, s78
	s_mul_hi_u32 s90, s75, s79
	s_add_co_u32 s18, s88, s27
	s_add_co_ci_u32 s18, s89, s13
	s_mul_i32 s78, s75, s79
	s_add_co_ci_u32 s79, s90, 0
	s_delay_alu instid0(SALU_CYCLE_1) | instskip(NEXT) | instid1(SALU_CYCLE_1)
	s_add_nc_u64 s[78:79], s[18:19], s[78:79]
	s_add_co_u32 s74, s74, s78
	s_cselect_b32 s13, -1, 0
	s_delay_alu instid0(SALU_CYCLE_1) | instskip(SKIP_1) | instid1(SALU_CYCLE_1)
	s_cmp_lg_u32 s13, 0
	s_add_co_ci_u32 s75, s75, s79
	s_mul_u64 s[76:77], s[76:77], s[74:75]
	s_delay_alu instid0(SALU_CYCLE_1)
	s_mul_hi_u32 s79, s74, s77
	s_mul_i32 s78, s74, s77
	s_mul_hi_u32 s18, s74, s76
	s_mul_i32 s27, s75, s76
	s_add_nc_u64 s[78:79], s[18:19], s[78:79]
	s_mul_hi_u32 s13, s75, s76
	s_mul_hi_u32 s88, s75, s77
	s_add_co_u32 s18, s78, s27
	s_add_co_ci_u32 s18, s79, s13
	s_mul_i32 s76, s75, s77
	s_add_co_ci_u32 s77, s88, 0
	s_delay_alu instid0(SALU_CYCLE_1) | instskip(NEXT) | instid1(SALU_CYCLE_1)
	s_add_nc_u64 s[76:77], s[18:19], s[76:77]
	s_add_co_u32 s74, s74, s76
	s_cselect_b32 s13, -1, 0
	v_mul_hi_u32 v12, v2, s74
	s_cmp_lg_u32 s13, 0
	s_add_co_ci_u32 s18, s75, s77
	s_and_b64 s[76:77], s[74:75], s[20:21]
	v_mul_u64_e32 v[6:7], s[18:19], v[2:3]
	v_mul_u64_e32 v[0:1], s[76:77], v[8:9]
	;; [unrolled: 1-line block ×3, first 2 shown]
	s_delay_alu instid0(VALU_DEP_3) | instskip(NEXT) | instid1(VALU_DEP_1)
	v_add_nc_u64_e32 v[6:7], v[12:13], v[6:7]
	v_add_co_u32 v0, vcc_lo, v6, v0
	s_delay_alu instid0(VALU_DEP_2) | instskip(NEXT) | instid1(VALU_DEP_4)
	v_add_co_ci_u32_e32 v12, vcc_lo, v7, v1, vcc_lo
	v_add_co_ci_u32_e32 v11, vcc_lo, 0, v11, vcc_lo
	s_delay_alu instid0(VALU_DEP_1) | instskip(NEXT) | instid1(VALU_DEP_1)
	v_add_nc_u64_e32 v[0:1], v[12:13], v[10:11]
	v_mul_u64_e32 v[6:7], s[14:15], v[0:1]
	s_delay_alu instid0(VALU_DEP_1) | instskip(NEXT) | instid1(VALU_DEP_2)
	v_sub_nc_u32_e32 v5, v8, v7
	v_sub_co_u32 v2, vcc_lo, v2, v6
	s_delay_alu instid0(VALU_DEP_1) | instskip(NEXT) | instid1(VALU_DEP_3)
	v_sub_co_ci_u32_e64 v10, null, v8, v7, vcc_lo
	v_subrev_co_ci_u32_e64 v5, null, s15, v5, vcc_lo
	s_delay_alu instid0(VALU_DEP_3) | instskip(SKIP_1) | instid1(VALU_DEP_3)
	v_sub_co_u32 v6, s13, v2, s14
	v_add_nc_u64_e32 v[8:9], 1, v[0:1]
	v_subrev_co_ci_u32_e64 v5, null, 0, v5, s13
	s_delay_alu instid0(VALU_DEP_3) | instskip(SKIP_1) | instid1(VALU_DEP_3)
	v_cmp_le_u32_e32 vcc_lo, s14, v6
	v_cndmask_b32_e64 v6, 0, -1, vcc_lo
	v_cmp_le_u32_e32 vcc_lo, s15, v5
	v_cndmask_b32_e64 v7, 0, -1, vcc_lo
	;; [unrolled: 2-line block ×4, first 2 shown]
	v_cmp_eq_u32_e32 vcc_lo, s15, v5
	v_cndmask_b32_e32 v5, v7, v6, vcc_lo
	v_cmp_eq_u32_e32 vcc_lo, s15, v10
	v_add_nc_u64_e32 v[6:7], 2, v[0:1]
	v_cndmask_b32_e32 v2, v11, v2, vcc_lo
	s_delay_alu instid0(VALU_DEP_4) | instskip(NEXT) | instid1(VALU_DEP_2)
	v_cmp_ne_u32_e32 vcc_lo, 0, v5
	v_cmp_ne_u32_e64 s13, 0, v2
	s_delay_alu instid0(VALU_DEP_4) | instskip(NEXT) | instid1(VALU_DEP_1)
	v_dual_cndmask_b32 v5, v9, v7 :: v_dual_cndmask_b32 v2, v8, v6
	v_dual_cndmask_b32 v1, v1, v5, s13 :: v_dual_cndmask_b32 v0, v0, v2, s13
	s_delay_alu instid0(VALU_DEP_1) | instskip(NEXT) | instid1(VALU_DEP_2)
	v_dual_mov_b32 v5, v4 :: v_dual_bitop2_b32 v1, v1, v4 bitop3:0x14
	v_xor_b32_e32 v0, v0, v4
	s_delay_alu instid0(VALU_DEP_1)
	v_sub_nc_u64_e32 v[4:5], v[0:1], v[4:5]
                                        ; implicit-def: $vgpr0_vgpr1
.LBB12_50:                              ;   in Loop: Header=BB12_47 Depth=1
	s_and_not1_saveexec_b32 s13, s41
	s_cbranch_execz .LBB12_52
; %bb.51:                               ;   in Loop: Header=BB12_47 Depth=1
	v_cvt_f32_u32_e32 v1, s16
	s_delay_alu instid0(VALU_DEP_1) | instskip(SKIP_1) | instid1(TRANS32_DEP_1)
	v_rcp_iflag_f32_e32 v1, v1
	v_nop
	v_mul_f32_e32 v1, 0x4f7ffffe, v1
	s_delay_alu instid0(VALU_DEP_1) | instskip(NEXT) | instid1(VALU_DEP_1)
	v_cvt_u32_f32_e32 v1, v1
	v_mul_lo_u32 v2, s72, v1
	s_delay_alu instid0(VALU_DEP_1) | instskip(NEXT) | instid1(VALU_DEP_1)
	v_mul_hi_u32 v2, v1, v2
	v_add_nc_u32_e32 v1, v1, v2
	s_delay_alu instid0(VALU_DEP_1) | instskip(NEXT) | instid1(VALU_DEP_1)
	v_mul_hi_u32 v1, v0, v1
	v_mul_lo_u32 v2, v1, s16
	s_delay_alu instid0(VALU_DEP_1) | instskip(NEXT) | instid1(VALU_DEP_1)
	v_dual_sub_nc_u32 v0, v0, v2 :: v_dual_add_nc_u32 v2, 1, v1
	v_subrev_nc_u32_e32 v4, s16, v0
	v_cmp_le_u32_e32 vcc_lo, s16, v0
	s_delay_alu instid0(VALU_DEP_2) | instskip(NEXT) | instid1(VALU_DEP_1)
	v_dual_cndmask_b32 v0, v0, v4 :: v_dual_cndmask_b32 v1, v1, v2
	v_cmp_le_u32_e32 vcc_lo, s16, v0
	s_delay_alu instid0(VALU_DEP_2) | instskip(NEXT) | instid1(VALU_DEP_1)
	v_add_nc_u32_e32 v2, 1, v1
	v_cndmask_b32_e32 v2, v1, v2, vcc_lo
	s_delay_alu instid0(VALU_DEP_1)
	v_mov_b64_e32 v[4:5], v[2:3]
.LBB12_52:                              ;   in Loop: Header=BB12_47 Depth=1
	s_or_b32 exec_lo, exec_lo, s13
	s_delay_alu instid0(VALU_DEP_1) | instskip(NEXT) | instid1(VALU_DEP_1)
	v_add_nc_u64_e32 v[0:1], 7, v[4:5]
	v_and_b32_e32 v0, -8, v0
	scratch_store_b64 off, v[0:1], s33 offset:352 ; 8-byte Folded Spill
.LBB12_53:                              ;   in Loop: Header=BB12_47 Depth=1
	s_wait_xcnt 0x0
	s_or_b32 exec_lo, exec_lo, s40
	s_clause 0x1
	scratch_load_b64 v[4:5], off, s33 offset:352
	scratch_load_b64 v[0:1], off, s33 offset:344
	s_wait_loadcnt 0x1
	v_mul_u64_e32 v[28:29], s[24:25], v[4:5]
	s_wait_loadcnt 0x0
	s_delay_alu instid0(VALU_DEP_1) | instskip(NEXT) | instid1(VALU_DEP_1)
	v_sub_nc_u64_e32 v[0:1], v[0:1], v[28:29]
	v_min_i64 v[0:1], v[4:5], v[0:1]
	s_clause 0x1
	scratch_load_b64 v[4:5], off, s33 offset:396
	scratch_load_b64 v[6:7], off, s33 offset:368
	v_max_i32_e32 v30, 0, v0
	v_cmp_lt_i32_e32 vcc_lo, 0, v0
	s_delay_alu instid0(VALU_DEP_2)
	v_add_nc_u32_e32 v1, 31, v30
	s_and_b32 s13, s63, vcc_lo
	s_wait_loadcnt 0x0
	v_add_nc_u64_e32 v[4:5], v[6:7], v[4:5]
	scratch_store_b64 off, v[4:5], s33 offset:320 ; 8-byte Folded Spill
	s_wait_xcnt 0x0
	v_dual_mov_b32 v4, 0 :: v_dual_lshrrev_b32 v1, 1, v1
	s_delay_alu instid0(VALU_DEP_1) | instskip(NEXT) | instid1(VALU_DEP_1)
	v_and_b32_e32 v2, 0x3ffffff0, v1
	v_dual_mov_b32 v1, 0 :: v_dual_max_i32 v0, s45, v2
	s_and_saveexec_b32 s14, s13
	s_cbranch_execz .LBB12_226
; %bb.54:                               ;   in Loop: Header=BB12_47 Depth=1
	v_mov_b32_e32 v4, 0
	s_mov_b32 s27, 1
	s_mov_b32 s18, -1
	s_mov_b32 s15, 0
	s_branch .LBB12_57
.LBB12_55:                              ;   in Loop: Header=BB12_57 Depth=2
	s_wait_xcnt 0x0
	s_or_b32 exec_lo, exec_lo, s40
	v_add_nc_u64_e32 v[116:117], 2, v[116:117]
	global_wb scope:SCOPE_SYS
	s_wait_storecnt 0x0
	s_wait_loadcnt_dscnt 0x0
	flat_store_b64 v[40:41], v[116:117] scope:SCOPE_SYS
.LBB12_56:                              ;   in Loop: Header=BB12_57 Depth=2
	s_wait_xcnt 0x0
	s_or_b32 exec_lo, exec_lo, s13
	v_dual_mov_b32 v1, s27 :: v_dual_add_nc_u32 v4, v0, v4
	s_xor_b32 s13, s18, -1
	s_mov_b32 s18, 0
	s_mov_b32 s27, 2
	s_delay_alu instid0(VALU_DEP_1) | instskip(SKIP_1) | instid1(SALU_CYCLE_1)
	v_cmp_ge_i32_e32 vcc_lo, v4, v30
	s_or_b32 s13, s13, vcc_lo
	s_and_b32 s13, exec_lo, s13
	s_delay_alu instid0(SALU_CYCLE_1) | instskip(NEXT) | instid1(SALU_CYCLE_1)
	s_or_b32 s15, s13, s15
	s_and_not1_b32 exec_lo, exec_lo, s15
	s_cbranch_execz .LBB12_225
.LBB12_57:                              ;   Parent Loop BB12_47 Depth=1
                                        ; =>  This Loop Header: Depth=2
                                        ;       Child Loop BB12_65 Depth 3
                                        ;       Child Loop BB12_89 Depth 3
                                        ;       Child Loop BB12_110 Depth 3
                                        ;       Child Loop BB12_135 Depth 3
                                        ;       Child Loop BB12_147 Depth 3
                                        ;       Child Loop BB12_163 Depth 3
                                        ;       Child Loop BB12_174 Depth 3
                                        ;       Child Loop BB12_188 Depth 3
                                        ;       Child Loop BB12_211 Depth 3
	s_and_saveexec_b32 s13, s0
	s_cbranch_execz .LBB12_59
; %bb.58:                               ;   in Loop: Header=BB12_57 Depth=2
	s_trap 2
	s_wait_loadcnt 0x0
	scratch_load_b64 v[8:9], off, s33 offset:320 ; 8-byte Folded Reload
	ds_load_b64 v[6:7], v0
	v_ashrrev_i32_e32 v5, 31, v4
	s_wait_loadcnt_dscnt 0x0
	v_lshl_add_u64 v[6:7], v[8:9], 1, v[6:7]
	s_delay_alu instid0(VALU_DEP_1) | instskip(NEXT) | instid1(VALU_DEP_1)
	v_lshl_add_u64 v[6:7], v[28:29], 1, v[6:7]
	v_lshl_add_u64 v[6:7], v[4:5], 1, v[6:7]
	ds_store_b64 v0, v[6:7]
	v_mov_b64_e32 v[6:7], 0
	ds_store_b64 v0, v[6:7]
.LBB12_59:                              ;   in Loop: Header=BB12_57 Depth=2
	s_wait_xcnt 0x0
	s_or_b32 exec_lo, exec_lo, s13
	v_dual_sub_nc_u32 v1, v30, v4 :: v_dual_bitop2_b32 v2, 8, v126 bitop3:0x40
	s_mov_b32 s40, exec_lo
	s_delay_alu instid0(VALU_DEP_1) | instskip(NEXT) | instid1(VALU_DEP_2)
	v_min_i32_e32 v0, v0, v1
	v_cmpx_ne_u32_e32 0, v2
	s_cbranch_execz .LBB12_81
; %bb.60:                               ;   in Loop: Header=BB12_57 Depth=2
	s_wait_dscnt 0x1
	v_add_nc_u64_e32 v[6:7], 8, v[58:59]
	s_wait_loadcnt 0x0
	v_add_nc_u64_e32 v[8:9], 2, v[116:117]
	s_mov_b32 s41, exec_lo
	s_delay_alu instid0(VALU_DEP_1)
	v_cmpx_lt_u64_e64 v[6:7], v[8:9]
	s_cbranch_execz .LBB12_72
; %bb.61:                               ;   in Loop: Header=BB12_57 Depth=2
	v_and_b32_e32 v1, 64, v126
	s_mov_b32 s74, 0
	s_mov_b32 s78, 0
                                        ; implicit-def: $sgpr75
                                        ; implicit-def: $sgpr76
                                        ; implicit-def: $sgpr77
	s_delay_alu instid0(VALU_DEP_1)
	v_cmp_eq_u32_e32 vcc_lo, 0, v1
	s_branch .LBB12_65
.LBB12_62:                              ;   in Loop: Header=BB12_65 Depth=3
	s_wait_loadcnt_dscnt 0x0
	v_add_nc_u64_e32 v[6:7], 8, v[58:59]
	s_or_b32 s89, s89, exec_lo
	s_delay_alu instid0(VALU_DEP_1)
	v_cmp_ge_u64_e64 s13, v[6:7], v[8:9]
	s_or_not1_b32 s88, s13, exec_lo
.LBB12_63:                              ;   in Loop: Header=BB12_65 Depth=3
	s_or_b32 exec_lo, exec_lo, s91
	s_delay_alu instid0(SALU_CYCLE_1)
	s_and_not1_b32 s13, s77, exec_lo
	s_and_b32 s77, s89, exec_lo
	s_and_not1_b32 s76, s76, exec_lo
	s_and_b32 s88, s88, exec_lo
	s_or_b32 s77, s13, s77
	s_or_b32 s76, s76, s88
.LBB12_64:                              ;   in Loop: Header=BB12_65 Depth=3
	s_or_b32 exec_lo, exec_lo, s79
	s_delay_alu instid0(SALU_CYCLE_1) | instskip(NEXT) | instid1(SALU_CYCLE_1)
	s_and_b32 s13, exec_lo, s76
	s_or_b32 s74, s13, s74
	s_and_not1_b32 s13, s75, exec_lo
	s_and_b32 s75, s77, exec_lo
	s_delay_alu instid0(SALU_CYCLE_1)
	s_or_b32 s75, s13, s75
	s_and_not1_b32 exec_lo, exec_lo, s74
	s_cbranch_execz .LBB12_69
.LBB12_65:                              ;   Parent Loop BB12_47 Depth=1
                                        ;     Parent Loop BB12_57 Depth=2
                                        ; =>    This Inner Loop Header: Depth=3
	s_sleep 1
	s_wait_loadcnt_dscnt 0x0
	flat_load_b64 v[58:59], v[40:41] scope:SCOPE_SYS
	s_or_b32 s77, s77, exec_lo
	s_or_b32 s76, s76, exec_lo
                                        ; implicit-def: $vgpr1
	s_wait_xcnt 0x0
	s_and_saveexec_b32 s79, vcc_lo
	s_cbranch_execz .LBB12_64
; %bb.66:                               ;   in Loop: Header=BB12_65 Depth=3
	s_cmp_lt_i32 s78, 0x270f
	s_mov_b32 s88, -1
	s_cselect_b32 s90, -1, 0
	s_cmp_gt_i32 s78, 0x270e
	s_cbranch_scc0 .LBB12_68
; %bb.67:                               ;   in Loop: Header=BB12_65 Depth=3
	s_trap 2
	ds_load_b64 v[6:7], v0
	s_and_not1_b32 s78, s90, exec_lo
	s_mov_b32 s89, 0
	s_wait_storecnt 0x0
	s_wait_loadcnt_dscnt 0x0
	flat_load_b32 v1, v[6:7] scope:SCOPE_SYS
	s_wait_loadcnt_dscnt 0x0
	global_inv scope:SCOPE_SYS
	v_cmp_eq_u32_e64 s13, 0, v1
	s_and_b32 s13, s13, exec_lo
	s_delay_alu instid0(SALU_CYCLE_1)
	s_or_b32 s90, s78, s13
	s_mov_b32 s78, 0
	s_wait_xcnt 0x0
	s_and_saveexec_b32 s91, s90
	s_cbranch_execz .LBB12_63
	s_branch .LBB12_62
.LBB12_68:                              ;   in Loop: Header=BB12_65 Depth=3
	s_add_co_i32 s78, s78, 1
	s_mov_b32 s89, -1
                                        ; implicit-def: $vgpr1
	s_and_saveexec_b32 s91, s90
	s_cbranch_execz .LBB12_63
	s_branch .LBB12_62
.LBB12_69:                              ;   in Loop: Header=BB12_57 Depth=2
	s_or_b32 exec_lo, exec_lo, s74
	s_xor_b32 s13, s75, -1
	s_delay_alu instid0(SALU_CYCLE_1) | instskip(NEXT) | instid1(SALU_CYCLE_1)
	s_and_saveexec_b32 s74, s13
	s_xor_b32 s13, exec_lo, s74
	s_cbranch_execz .LBB12_71
; %bb.70:                               ;   in Loop: Header=BB12_57 Depth=2
	v_or_b32_e32 v126, 64, v126
	s_wait_storecnt 0x0
	s_wait_loadcnt_dscnt 0x0
	ds_store_b32 v0, v1
	s_trap 2
.LBB12_71:                              ;   in Loop: Header=BB12_57 Depth=2
	s_or_b32 exec_lo, exec_lo, s13
.LBB12_72:                              ;   in Loop: Header=BB12_57 Depth=2
	s_delay_alu instid0(SALU_CYCLE_1)
	s_or_b32 exec_lo, exec_lo, s41
	v_and_b32_e32 v1, 0x100, v126
	v_and_b32_e32 v2, 7, v116
	s_mov_b32 s41, 0
	s_mov_b32 s13, exec_lo
	;;#ASMSTART
	s_wakeup
	;;#ASMEND
                                        ; implicit-def: $vgpr10_vgpr11
	v_cmpx_ne_u32_e32 0, v1
	s_xor_b32 s13, exec_lo, s13
	s_cbranch_execz .LBB12_93
; %bb.73:                               ;   in Loop: Header=BB12_57 Depth=2
	scratch_load_b128 v[10:13], off, s33 offset:272 ; 16-byte Folded Reload
	v_ashrrev_i32_e32 v1, 31, v0
	s_mov_b32 s41, -1
	s_mov_b32 s74, exec_lo
	s_delay_alu instid0(VALU_DEP_1)
	v_lshlrev_b64_e32 v[6:7], 1, v[0:1]
	s_wait_loadcnt 0x0
	v_mad_nc_u64_u32 v[12:13], v2, 24, v[10:11]
                                        ; implicit-def: $vgpr10_vgpr11
	s_clause 0x1
	flat_load_b32 v5, v[12:13]
	flat_store_b64 v[12:13], v[6:7] offset:8
	s_wait_loadcnt_dscnt 0x1
	s_wait_xcnt 0x0
	v_cmpx_eq_u32_e32 1, v5
	s_cbranch_execz .LBB12_75
; %bb.74:                               ;   in Loop: Header=BB12_57 Depth=2
	flat_load_b32 v6, v[12:13] offset:4 scope:SCOPE_SYS
	s_xor_b32 s41, exec_lo, -1
	s_wait_loadcnt_dscnt 0x0
	v_ashrrev_i32_e32 v7, 31, v6
	s_delay_alu instid0(VALU_DEP_1)
	v_lshrrev_b64 v[10:11], 1, v[6:7]
.LBB12_75:                              ;   in Loop: Header=BB12_57 Depth=2
	s_wait_xcnt 0x0
	s_or_b32 exec_lo, exec_lo, s74
	s_delay_alu instid0(SALU_CYCLE_1)
	s_and_b32 s41, s41, exec_lo
	s_and_not1_saveexec_b32 s13, s13
	s_cbranch_execnz .LBB12_94
.LBB12_76:                              ;   in Loop: Header=BB12_57 Depth=2
	s_or_b32 exec_lo, exec_lo, s13
	s_and_saveexec_b32 s13, s41
	s_cbranch_execz .LBB12_78
.LBB12_77:                              ;   in Loop: Header=BB12_57 Depth=2
	scratch_load_b64 v[6:7], off, s33 offset:296 ; 8-byte Folded Reload
	s_wait_loadcnt 0x0
	v_mul_u64_e32 v[10:11], v[2:3], v[6:7]
.LBB12_78:                              ;   in Loop: Header=BB12_57 Depth=2
	s_wait_xcnt 0x0
	s_or_b32 exec_lo, exec_lo, s13
	scratch_load_b64 v[6:7], off, s33 offset:264 ; 8-byte Folded Reload
	v_and_b32_e32 v1, 0x2000, v126
	s_mov_b32 s13, exec_lo
	s_wait_loadcnt 0x0
	v_lshl_add_u64 v[6:7], v[10:11], 1, v[6:7]
	ds_store_b64 v0, v[6:7] offset:784
	s_wait_xcnt 0x0
	v_cmpx_ne_u32_e32 0, v1
	s_cbranch_execz .LBB12_80
; %bb.79:                               ;   in Loop: Header=BB12_57 Depth=2
	ds_load_b64 v[6:7], v0 offset:872
	s_wait_dscnt 0x0
	v_add_nc_u64_e32 v[6:7], 1, v[6:7]
	ds_store_b64 v0, v[6:7] offset:872
.LBB12_80:                              ;   in Loop: Header=BB12_57 Depth=2
	s_or_b32 exec_lo, exec_lo, s13
	v_mov_b64_e32 v[116:117], v[8:9]
.LBB12_81:                              ;   in Loop: Header=BB12_57 Depth=2
	s_or_b32 exec_lo, exec_lo, s40
	s_and_saveexec_b32 s13, s2
	s_cbranch_execz .LBB12_102
; %bb.82:                               ;   in Loop: Header=BB12_57 Depth=2
	s_and_saveexec_b32 s40, s3
	s_delay_alu instid0(SALU_CYCLE_1)
	s_xor_b32 s40, exec_lo, s40
	s_cbranch_execz .LBB12_99
; %bb.83:                               ;   in Loop: Header=BB12_57 Depth=2
	s_and_saveexec_b32 s41, s6
	s_cbranch_execz .LBB12_98
; %bb.84:                               ;   in Loop: Header=BB12_57 Depth=2
	s_mov_b32 s75, exec_lo
	s_mov_b32 s74, exec_lo
	v_mbcnt_lo_u32_b32 v1, s75, 0
	global_wb scope:SCOPE_DEV
	s_wait_storecnt_dscnt 0x0
	global_inv scope:SCOPE_DEV
	v_cmpx_eq_u32_e32 0, v1
	s_cbranch_execz .LBB12_86
; %bb.85:                               ;   in Loop: Header=BB12_57 Depth=2
	s_bcnt1_i32_b32 s75, s75
	s_delay_alu instid0(SALU_CYCLE_1)
	v_mov_b32_e32 v2, s75
	s_wait_loadcnt 0x0
	ds_add_u64 v0, v[2:3]
	s_trap 2
.LBB12_86:                              ;   in Loop: Header=BB12_57 Depth=2
	s_or_b32 exec_lo, exec_lo, s74
	s_trap 2
	ds_load_b64 v[6:7], v0
	s_wait_dscnt 0x0
	v_add_nc_u64_e32 v[56:57], v[56:57], v[60:61]
	s_mov_b32 s74, exec_lo
	s_delay_alu instid0(VALU_DEP_1)
	v_cmpx_lt_u64_e64 v[6:7], v[56:57]
	s_cbranch_execz .LBB12_97
; %bb.87:                               ;   in Loop: Header=BB12_57 Depth=2
	s_mov_b32 s75, 0
	s_mov_b32 s78, 0
                                        ; implicit-def: $sgpr76
                                        ; implicit-def: $sgpr77
	s_branch .LBB12_89
.LBB12_88:                              ;   in Loop: Header=BB12_89 Depth=3
	s_or_b32 exec_lo, exec_lo, s88
	s_delay_alu instid0(SALU_CYCLE_1) | instskip(NEXT) | instid1(SALU_CYCLE_1)
	s_and_b32 s79, exec_lo, s89
	s_or_b32 s75, s79, s75
	s_and_not1_b32 s76, s76, exec_lo
	s_and_b32 s79, s77, exec_lo
	s_delay_alu instid0(SALU_CYCLE_1)
	s_or_b32 s76, s76, s79
	s_and_not1_b32 exec_lo, exec_lo, s75
	s_cbranch_execz .LBB12_95
.LBB12_89:                              ;   Parent Loop BB12_47 Depth=1
                                        ;     Parent Loop BB12_57 Depth=2
                                        ; =>    This Inner Loop Header: Depth=3
	s_add_co_i32 s78, s78, 1
	s_delay_alu instid0(SALU_CYCLE_1) | instskip(SKIP_1) | instid1(SALU_CYCLE_1)
	s_cmp_lg_u32 s78, 0x2710
	s_cselect_b32 s79, -1, 0
	s_and_b32 vcc_lo, exec_lo, s79
	s_cbranch_vccz .LBB12_91
; %bb.90:                               ;   in Loop: Header=BB12_89 Depth=3
	s_mov_b32 s89, -1
	s_or_b32 s77, s77, exec_lo
	s_and_saveexec_b32 s88, s79
	s_cbranch_execz .LBB12_88
	s_branch .LBB12_92
.LBB12_91:                              ;   in Loop: Header=BB12_89 Depth=3
	s_trap 2
	ds_load_b64 v[6:7], v0
	s_and_not1_b32 s79, s79, exec_lo
	s_mov_b32 s78, 0
	s_wait_loadcnt_dscnt 0x0
	flat_load_b32 v1, v[6:7] scope:SCOPE_SYS
	s_wait_loadcnt_dscnt 0x0
	global_inv scope:SCOPE_SYS
	v_cmp_eq_u32_e32 vcc_lo, 0, v1
	s_and_b32 s88, vcc_lo, exec_lo
	s_delay_alu instid0(SALU_CYCLE_1)
	s_or_b32 s79, s79, s88
	s_mov_b32 s89, -1
	s_or_b32 s77, s77, exec_lo
	s_wait_xcnt 0x0
	s_and_saveexec_b32 s88, s79
	s_cbranch_execz .LBB12_88
.LBB12_92:                              ;   in Loop: Header=BB12_89 Depth=3
	s_sleep 1
	s_trap 2
	ds_load_b64 v[6:7], v0
	s_wait_dscnt 0x0
	s_and_not1_b32 s77, s77, exec_lo
	v_cmp_ge_u64_e32 vcc_lo, v[6:7], v[56:57]
	s_or_not1_b32 s89, vcc_lo, exec_lo
	s_branch .LBB12_88
.LBB12_93:                              ;   in Loop: Header=BB12_57 Depth=2
	s_and_not1_saveexec_b32 s13, s13
	s_cbranch_execz .LBB12_76
.LBB12_94:                              ;   in Loop: Header=BB12_57 Depth=2
	s_or_b32 s41, s41, exec_lo
	s_or_b32 exec_lo, exec_lo, s13
	s_and_saveexec_b32 s13, s41
	s_cbranch_execnz .LBB12_77
	s_branch .LBB12_78
.LBB12_95:                              ;   in Loop: Header=BB12_57 Depth=2
	s_or_b32 exec_lo, exec_lo, s75
	s_and_saveexec_b32 s75, s76
	s_delay_alu instid0(SALU_CYCLE_1)
	s_xor_b32 s75, exec_lo, s75
	s_cbranch_execz .LBB12_97
; %bb.96:                               ;   in Loop: Header=BB12_57 Depth=2
	v_mov_b32_e32 v1, 1
	ds_store_b32 v0, v1
	s_trap 2
.LBB12_97:                              ;   in Loop: Header=BB12_57 Depth=2
	s_or_b32 exec_lo, exec_lo, s74
	;;#ASMSTART
	s_wakeup
	;;#ASMEND
.LBB12_98:                              ;   in Loop: Header=BB12_57 Depth=2
	s_or_b32 exec_lo, exec_lo, s41
.LBB12_99:                              ;   in Loop: Header=BB12_57 Depth=2
	s_and_not1_saveexec_b32 s40, s40
	s_cbranch_execz .LBB12_101
; %bb.100:                              ;   in Loop: Header=BB12_57 Depth=2
	global_wb scope:SCOPE_DEV
	s_wait_storecnt 0x0
	s_wait_loadcnt_dscnt 0x0
	global_inv scope:SCOPE_DEV
	s_barrier_signal -1
	s_barrier_wait -1
.LBB12_101:                             ;   in Loop: Header=BB12_57 Depth=2
	s_or_b32 exec_lo, exec_lo, s40
.LBB12_102:                             ;   in Loop: Header=BB12_57 Depth=2
	s_delay_alu instid0(SALU_CYCLE_1) | instskip(SKIP_4) | instid1(VALU_DEP_1)
	s_or_b32 exec_lo, exec_lo, s13
	s_trap 2
	ds_load_b32 v1, v0
	v_and_b32_e32 v2, 0x4000, v126
	s_xor_b32 s13, s1, -1
	v_cmp_ne_u32_e32 vcc_lo, 0, v2
	s_and_b32 s40, s13, vcc_lo
	s_delay_alu instid0(SALU_CYCLE_1)
	s_and_saveexec_b32 s13, s40
	s_cbranch_execz .LBB12_121
; %bb.103:                              ;   in Loop: Header=BB12_57 Depth=2
	s_and_saveexec_b32 s40, s3
	s_delay_alu instid0(SALU_CYCLE_1)
	s_xor_b32 s40, exec_lo, s40
	s_cbranch_execz .LBB12_118
; %bb.104:                              ;   in Loop: Header=BB12_57 Depth=2
	s_and_saveexec_b32 s41, s6
	s_cbranch_execz .LBB12_117
; %bb.105:                              ;   in Loop: Header=BB12_57 Depth=2
	s_mov_b32 s75, exec_lo
	s_mov_b32 s74, exec_lo
	v_mbcnt_lo_u32_b32 v2, s75, 0
	global_wb scope:SCOPE_DEV
	s_wait_storecnt 0x0
	s_wait_loadcnt_dscnt 0x0
	global_inv scope:SCOPE_DEV
	v_cmpx_eq_u32_e32 0, v2
	s_cbranch_execz .LBB12_107
; %bb.106:                              ;   in Loop: Header=BB12_57 Depth=2
	s_bcnt1_i32_b32 s75, s75
	s_delay_alu instid0(SALU_CYCLE_1)
	v_mov_b32_e32 v2, s75
	s_wait_loadcnt 0x0
	ds_add_u64 v0, v[2:3]
	s_trap 2
.LBB12_107:                             ;   in Loop: Header=BB12_57 Depth=2
	s_or_b32 exec_lo, exec_lo, s74
	s_trap 2
	ds_load_b64 v[6:7], v0
	s_wait_dscnt 0x0
	v_add_nc_u64_e32 v[56:57], v[56:57], v[60:61]
	s_mov_b32 s74, exec_lo
	s_delay_alu instid0(VALU_DEP_1)
	v_cmpx_lt_u64_e64 v[6:7], v[56:57]
	s_cbranch_execz .LBB12_116
; %bb.108:                              ;   in Loop: Header=BB12_57 Depth=2
	s_mov_b32 s75, 0
	s_mov_b32 s78, 0
                                        ; implicit-def: $sgpr76
                                        ; implicit-def: $sgpr77
	s_branch .LBB12_110
.LBB12_109:                             ;   in Loop: Header=BB12_110 Depth=3
	s_or_b32 exec_lo, exec_lo, s88
	s_delay_alu instid0(SALU_CYCLE_1) | instskip(NEXT) | instid1(SALU_CYCLE_1)
	s_and_b32 s79, exec_lo, s89
	s_or_b32 s75, s79, s75
	s_and_not1_b32 s76, s76, exec_lo
	s_and_b32 s79, s77, exec_lo
	s_delay_alu instid0(SALU_CYCLE_1)
	s_or_b32 s76, s76, s79
	s_and_not1_b32 exec_lo, exec_lo, s75
	s_cbranch_execz .LBB12_114
.LBB12_110:                             ;   Parent Loop BB12_47 Depth=1
                                        ;     Parent Loop BB12_57 Depth=2
                                        ; =>    This Inner Loop Header: Depth=3
	s_add_co_i32 s78, s78, 1
	s_delay_alu instid0(SALU_CYCLE_1) | instskip(SKIP_1) | instid1(SALU_CYCLE_1)
	s_cmp_lg_u32 s78, 0x2710
	s_cselect_b32 s79, -1, 0
	s_and_b32 vcc_lo, exec_lo, s79
	s_cbranch_vccz .LBB12_112
; %bb.111:                              ;   in Loop: Header=BB12_110 Depth=3
	s_mov_b32 s89, -1
	s_or_b32 s77, s77, exec_lo
	s_and_saveexec_b32 s88, s79
	s_cbranch_execz .LBB12_109
	s_branch .LBB12_113
.LBB12_112:                             ;   in Loop: Header=BB12_110 Depth=3
	s_trap 2
	ds_load_b64 v[6:7], v0
	s_and_not1_b32 s79, s79, exec_lo
	s_mov_b32 s78, 0
	s_wait_loadcnt_dscnt 0x0
	flat_load_b32 v2, v[6:7] scope:SCOPE_SYS
	s_wait_loadcnt_dscnt 0x0
	global_inv scope:SCOPE_SYS
	v_cmp_eq_u32_e32 vcc_lo, 0, v2
	s_and_b32 s88, vcc_lo, exec_lo
	s_delay_alu instid0(SALU_CYCLE_1)
	s_or_b32 s79, s79, s88
	s_mov_b32 s89, -1
	s_or_b32 s77, s77, exec_lo
	s_wait_xcnt 0x0
	s_and_saveexec_b32 s88, s79
	s_cbranch_execz .LBB12_109
.LBB12_113:                             ;   in Loop: Header=BB12_110 Depth=3
	s_sleep 1
	s_trap 2
	ds_load_b64 v[6:7], v0
	s_wait_dscnt 0x0
	s_and_not1_b32 s77, s77, exec_lo
	v_cmp_ge_u64_e32 vcc_lo, v[6:7], v[56:57]
	s_or_not1_b32 s89, vcc_lo, exec_lo
	s_branch .LBB12_109
.LBB12_114:                             ;   in Loop: Header=BB12_57 Depth=2
	s_or_b32 exec_lo, exec_lo, s75
	s_and_saveexec_b32 s75, s76
	s_delay_alu instid0(SALU_CYCLE_1)
	s_xor_b32 s75, exec_lo, s75
	s_cbranch_execz .LBB12_116
; %bb.115:                              ;   in Loop: Header=BB12_57 Depth=2
	v_mov_b32_e32 v2, 1
	ds_store_b32 v0, v2
	s_trap 2
.LBB12_116:                             ;   in Loop: Header=BB12_57 Depth=2
	s_or_b32 exec_lo, exec_lo, s74
	;;#ASMSTART
	s_wakeup
	;;#ASMEND
.LBB12_117:                             ;   in Loop: Header=BB12_57 Depth=2
	s_or_b32 exec_lo, exec_lo, s41
.LBB12_118:                             ;   in Loop: Header=BB12_57 Depth=2
	s_and_not1_saveexec_b32 s40, s40
	s_cbranch_execz .LBB12_120
; %bb.119:                              ;   in Loop: Header=BB12_57 Depth=2
	global_wb scope:SCOPE_DEV
	s_wait_storecnt 0x0
	s_wait_loadcnt_dscnt 0x0
	global_inv scope:SCOPE_DEV
	s_barrier_signal -1
	s_barrier_wait -1
.LBB12_120:                             ;   in Loop: Header=BB12_57 Depth=2
	s_or_b32 exec_lo, exec_lo, s40
.LBB12_121:                             ;   in Loop: Header=BB12_57 Depth=2
	s_delay_alu instid0(SALU_CYCLE_1)
	s_or_b32 exec_lo, exec_lo, s13
	s_trap 2
	ds_load_b64 v[118:119], v0
	s_wait_dscnt 0x0
	v_cmp_eq_u64_e32 vcc_lo, 0, v[118:119]
	s_cbranch_vccnz .LBB12_129
; %bb.122:                              ;   in Loop: Header=BB12_57 Depth=2
	s_trap 2
	ds_load_b64 v[62:63], v0
	s_wait_dscnt 0x0
	v_cmp_eq_u64_e32 vcc_lo, 0, v[62:63]
	s_cbranch_vccnz .LBB12_129
; %bb.123:                              ;   in Loop: Header=BB12_57 Depth=2
	s_mov_b32 s13, -1
	s_and_saveexec_b32 s40, s7
	s_cbranch_execz .LBB12_125
; %bb.124:                              ;   in Loop: Header=BB12_57 Depth=2
	ds_load_b32 v2, v0 offset:720
	s_wait_dscnt 0x0
	v_and_b32_e32 v2, 15, v2
	s_delay_alu instid0(VALU_DEP_1)
	v_cmp_eq_u32_e32 vcc_lo, 0, v2
	s_or_not1_b32 s13, vcc_lo, exec_lo
.LBB12_125:                             ;   in Loop: Header=BB12_57 Depth=2
	s_or_b32 exec_lo, exec_lo, s40
	s_and_saveexec_b32 s40, s11
	s_cbranch_execz .LBB12_127
; %bb.126:                              ;   in Loop: Header=BB12_57 Depth=2
	ds_load_b32 v2, v0 offset:784
	s_wait_dscnt 0x0
	v_and_b32_e32 v2, 15, v2
	s_delay_alu instid0(VALU_DEP_1) | instskip(SKIP_3) | instid1(SALU_CYCLE_1)
	v_cmp_eq_u32_e32 vcc_lo, 0, v2
	s_and_b32 s41, s13, vcc_lo
	s_and_not1_b32 s13, s13, exec_lo
	s_and_b32 s41, s41, exec_lo
	s_or_b32 s13, s13, s41
.LBB12_127:                             ;   in Loop: Header=BB12_57 Depth=2
	s_or_b32 exec_lo, exec_lo, s40
	s_xor_b32 s13, s13, -1
	s_mov_b32 s41, -1
	v_cndmask_b32_e64 v2, 0, 1, s13
	v_cmp_eq_u32_e64 s13, 0, v1
	s_delay_alu instid0(VALU_DEP_2)
	v_cmp_ne_u32_e32 vcc_lo, 0, v2
	s_cbranch_vccz .LBB12_130
; %bb.128:                              ;   in Loop: Header=BB12_57 Depth=2
	s_mov_b32 s41, 0
	s_mov_b32 s40, -1
	s_branch .LBB12_131
.LBB12_129:                             ;   in Loop: Header=BB12_57 Depth=2
	s_mov_b32 s13, 0
	s_and_saveexec_b32 s40, s2
	s_cbranch_execnz .LBB12_181
	s_branch .LBB12_199
.LBB12_130:                             ;   in Loop: Header=BB12_57 Depth=2
	s_mov_b32 s40, 0
.LBB12_131:                             ;   in Loop: Header=BB12_57 Depth=2
	v_dual_cndmask_b32 v1, 0, v0, s13 :: v_dual_mov_b32 v5, 0
	s_and_not1_b32 vcc_lo, exec_lo, s41
	s_delay_alu instid0(VALU_DEP_1)
	v_lshlrev_b32_e32 v2, 1, v1
	s_cbranch_vccnz .LBB12_139
; %bb.132:                              ;   in Loop: Header=BB12_57 Depth=2
	scratch_load_b32 v6, off, s33 offset:312 ; 4-byte Folded Reload
	s_wait_loadcnt 0x1
	scratch_load_b64 v[8:9], off, s33 offset:336 ; 8-byte Folded Reload
	v_ashrrev_i32_e32 v5, 31, v2
	s_mov_b32 s41, 0
	s_mov_b32 s13, exec_lo
                                        ; implicit-def: $vgpr12_vgpr13
                                        ; implicit-def: $vgpr16_vgpr17
                                        ; implicit-def: $vgpr20_vgpr21
                                        ; implicit-def: $vgpr24_vgpr25
                                        ; implicit-def: $vgpr32_vgpr33
                                        ; implicit-def: $vgpr36_vgpr37
                                        ; implicit-def: $vgpr48_vgpr49
	s_delay_alu instid0(VALU_DEP_1) | instskip(NEXT) | instid1(VALU_DEP_1)
	v_lshrrev_b32_e32 v5, 20, v5
	v_add_nc_u32_e32 v5, v2, v5
	s_delay_alu instid0(VALU_DEP_1) | instskip(SKIP_1) | instid1(VALU_DEP_1)
	v_ashrrev_i32_e32 v5, 12, v5
	s_wait_loadcnt 0x1
	v_sub_nc_u32_e32 v6, v5, v6
	s_wait_loadcnt 0x0
	v_add_nc_u64_e32 v[72:73], v[62:63], v[8:9]
                                        ; implicit-def: $vgpr8_vgpr9
	s_wait_xcnt 0x0
	s_delay_alu instid0(VALU_DEP_2)
	v_cmpx_lt_i32_e32 0, v6
	s_cbranch_execz .LBB12_141
; %bb.133:                              ;   in Loop: Header=BB12_57 Depth=2
	scratch_load_b64 v[8:9], off, s33 offset:336 ; 8-byte Folded Reload
	s_mov_b32 s75, 0
                                        ; implicit-def: $sgpr74
                                        ; implicit-def: $vgpr12_vgpr13
                                        ; implicit-def: $vgpr16_vgpr17
                                        ; implicit-def: $vgpr20_vgpr21
                                        ; implicit-def: $vgpr24_vgpr25
                                        ; implicit-def: $vgpr32_vgpr33
                                        ; implicit-def: $vgpr36_vgpr37
                                        ; implicit-def: $vgpr48_vgpr49
	s_wait_loadcnt 0x0
	v_add_nc_u64_e32 v[74:75], v[118:119], v[8:9]
                                        ; implicit-def: $vgpr8_vgpr9
	s_branch .LBB12_135
.LBB12_134:                             ;   in Loop: Header=BB12_135 Depth=3
	s_wait_xcnt 0x0
	s_or_b32 exec_lo, exec_lo, s76
	s_delay_alu instid0(VALU_DEP_1)
	v_sub_nc_u32_e32 v6, v6, v7
	s_clause 0x1
	global_store_b128 v[72:73], v[100:103], off th:TH_STORE_NT
	global_store_b128 v[72:73], v[112:115], off offset:512 th:TH_STORE_NT
	s_wait_loadcnt 0x0
	s_wait_xcnt 0x1
	v_add_nc_u64_e32 v[100:101], v[72:73], v[110:111]
	s_clause 0x5
	global_store_b128 v[72:73], v[68:71], off offset:1024 th:TH_STORE_NT
	global_store_b128 v[72:73], v[80:83], off offset:1536 th:TH_STORE_NT
	;; [unrolled: 1-line block ×6, first 2 shown]
	v_cmp_gt_i32_e32 vcc_lo, 1, v6
	v_add_nc_u64_e32 v[74:75], v[74:75], v[110:111]
	s_wait_xcnt 0x0
	v_add_nc_u64_e32 v[72:73], 0x1000, v[100:101]
	s_or_b32 s41, vcc_lo, s41
	s_and_not1_b32 s74, s74, exec_lo
	s_and_b32 s76, s75, exec_lo
	s_delay_alu instid0(SALU_CYCLE_1)
	s_or_b32 s74, s74, s76
	s_and_not1_b32 exec_lo, exec_lo, s41
	s_cbranch_execz .LBB12_140
.LBB12_135:                             ;   Parent Loop BB12_47 Depth=1
                                        ;     Parent Loop BB12_57 Depth=2
                                        ; =>    This Inner Loop Header: Depth=3
	s_clause 0x7
	global_load_b128 v[100:103], v[74:75], off th:TH_LOAD_NT
	global_load_b128 v[112:115], v[74:75], off offset:512 th:TH_LOAD_NT
	global_load_b128 v[68:71], v[74:75], off offset:1024 th:TH_LOAD_NT
	;; [unrolled: 1-line block ×7, first 2 shown]
	s_wait_xcnt 0x0
	s_and_saveexec_b32 s76, s75
	s_cbranch_execz .LBB12_137
; %bb.136:                              ;   in Loop: Header=BB12_135 Depth=3
	s_clause 0x7
	global_store_b128 v[72:73], v[8:11], off th:TH_STORE_NT
	global_store_b128 v[72:73], v[12:15], off offset:512 th:TH_STORE_NT
	global_store_b128 v[72:73], v[16:19], off offset:1024 th:TH_STORE_NT
	;; [unrolled: 1-line block ×7, first 2 shown]
	scratch_load_b64 v[42:43], off, s33 offset:256 ; 8-byte Folded Reload
	s_wait_loadcnt 0x0
	s_wait_xcnt 0x1
	v_add_nc_u64_e32 v[72:73], v[72:73], v[42:43]
.LBB12_137:                             ;   in Loop: Header=BB12_135 Depth=3
	s_wait_xcnt 0x0
	s_or_b32 exec_lo, exec_lo, s76
	scratch_load_b64 v[42:43], off, s33 offset:256 ; 8-byte Folded Reload
	v_dual_mov_b32 v7, 0 :: v_dual_sub_nc_u32 v6, v6, v60
	v_mov_b64_e32 v[110:111], 0
	s_delay_alu instid0(VALU_DEP_2)
	v_cmp_lt_i32_e64 s75, 0, v6
	s_wait_loadcnt 0x0
	v_add_nc_u64_e32 v[74:75], v[74:75], v[42:43]
	s_wait_xcnt 0x0
	s_and_saveexec_b32 s76, s75
	s_cbranch_execz .LBB12_134
; %bb.138:                              ;   in Loop: Header=BB12_135 Depth=3
	s_clause 0x7
	global_load_b128 v[8:11], v[74:75], off th:TH_LOAD_NT
	global_load_b128 v[12:15], v[74:75], off offset:512 th:TH_LOAD_NT
	global_load_b128 v[16:19], v[74:75], off offset:1024 th:TH_LOAD_NT
	;; [unrolled: 1-line block ×7, first 2 shown]
	scratch_load_b64 v[110:111], off, s33 offset:304 ; 8-byte Folded Reload
	s_wait_xcnt 0x1
	v_add_nc_u64_e32 v[74:75], 0x1000, v[74:75]
	v_mov_b32_e32 v7, v60
	s_branch .LBB12_134
.LBB12_139:                             ;   in Loop: Header=BB12_57 Depth=2
	s_wait_loadcnt 0x1
	scratch_load_b32 v14, off, s33 offset:316 ; 4-byte Folded Reload
	s_wait_loadcnt 0x1
	scratch_load_b32 v8, off, s33 offset:312 ; 4-byte Folded Reload
	s_wait_xcnt 0x0
	s_and_saveexec_b32 s13, s40
	s_cbranch_execnz .LBB12_160
	s_branch .LBB12_180
.LBB12_140:                             ;   in Loop: Header=BB12_57 Depth=2
	s_or_b32 exec_lo, exec_lo, s41
	s_delay_alu instid0(SALU_CYCLE_1)
	s_and_b32 s41, s74, exec_lo
.LBB12_141:                             ;   in Loop: Header=BB12_57 Depth=2
	s_or_b32 exec_lo, exec_lo, s13
	s_and_saveexec_b32 s13, s41
	s_cbranch_execz .LBB12_143
; %bb.142:                              ;   in Loop: Header=BB12_57 Depth=2
	s_clause 0x7
	global_store_b128 v[72:73], v[8:11], off th:TH_STORE_NT
	global_store_b128 v[72:73], v[12:15], off offset:512 th:TH_STORE_NT
	global_store_b128 v[72:73], v[16:19], off offset:1024 th:TH_STORE_NT
	;; [unrolled: 1-line block ×7, first 2 shown]
.LBB12_143:                             ;   in Loop: Header=BB12_57 Depth=2
	s_wait_xcnt 0x0
	s_or_b32 exec_lo, exec_lo, s13
	v_lshlrev_b32_e32 v7, 12, v5
	s_mov_b32 s41, exec_lo
                                        ; implicit-def: $vgpr5
                                        ; implicit-def: $vgpr14
                                        ; implicit-def: $vgpr8
	s_delay_alu instid0(VALU_DEP_1)
	v_cmpx_ne_u32_e64 v2, v7
	s_cbranch_execz .LBB12_159
; %bb.144:                              ;   in Loop: Header=BB12_57 Depth=2
	v_lshlrev_b32_e32 v5, 5, v6
	scratch_load_b32 v6, off, s33 offset:316 ; 4-byte Folded Reload
	v_sub_nc_u32_e32 v8, v2, v7
	s_mov_b32 s75, 0
	s_mov_b32 s74, exec_lo
	s_wait_loadcnt 0x0
	s_delay_alu instid0(VALU_DEP_1) | instskip(NEXT) | instid1(VALU_DEP_1)
	v_dual_ashrrev_i32 v10, 31, v8 :: v_dual_sub_nc_u32 v5, v6, v5
	v_ashrrev_i32_e32 v6, 31, v5
	s_delay_alu instid0(VALU_DEP_1) | instskip(NEXT) | instid1(VALU_DEP_1)
	v_lshrrev_b32_e32 v6, 27, v6
	v_add_nc_u32_e32 v6, v5, v6
	s_delay_alu instid0(VALU_DEP_1) | instskip(NEXT) | instid1(VALU_DEP_1)
	v_and_b32_e32 v9, 0xffffffe0, v6
	v_dual_sub_nc_u32 v20, v5, v9 :: v_dual_lshrrev_b32 v5, 23, v10
	s_delay_alu instid0(VALU_DEP_1) | instskip(NEXT) | instid1(VALU_DEP_2)
	v_dual_ashrrev_i32 v9, 5, v6 :: v_dual_lshlrev_b32 v6, 4, v20
	v_add_nc_u32_e32 v5, v8, v5
	s_delay_alu instid0(VALU_DEP_2) | instskip(NEXT) | instid1(VALU_DEP_2)
	v_lshl_add_u32 v12, v9, 9, v6
	v_and_b32_e32 v6, 0xfffffe00, v5
	s_delay_alu instid0(VALU_DEP_2) | instskip(NEXT) | instid1(VALU_DEP_2)
	v_dual_ashrrev_i32 v5, 9, v5 :: v_dual_add_nc_u32 v10, v12, v7
	v_sub_nc_u32_e32 v21, v8, v6
	s_delay_alu instid0(VALU_DEP_1) | instskip(NEXT) | instid1(VALU_DEP_3)
	v_cmp_lt_i32_e32 vcc_lo, 15, v21
	v_add_co_ci_u32_e64 v13, null, 0, v5, vcc_lo
	s_delay_alu instid0(VALU_DEP_4) | instskip(NEXT) | instid1(VALU_DEP_2)
	v_dual_ashrrev_i32 v11, 31, v10 :: v_dual_sub_nc_u32 v5, v8, v12
	v_sub_nc_u32_e32 v22, v13, v9
                                        ; implicit-def: $vgpr8_vgpr9
	s_delay_alu instid0(VALU_DEP_2) | instskip(SKIP_1) | instid1(VALU_DEP_3)
	v_add_nc_u64_e32 v[16:17], v[10:11], v[62:63]
	s_wait_xcnt 0x0
	v_cmpx_lt_i32_e32 15, v5
	s_cbranch_execz .LBB12_154
; %bb.145:                              ;   in Loop: Header=BB12_57 Depth=2
	v_add_nc_u64_e32 v[18:19], v[10:11], v[118:119]
	s_mov_b32 s77, 0
                                        ; implicit-def: $sgpr76
                                        ; implicit-def: $vgpr8_vgpr9
	s_branch .LBB12_147
.LBB12_146:                             ;   in Loop: Header=BB12_147 Depth=3
	s_or_b32 exec_lo, exec_lo, s13
	s_delay_alu instid0(VALU_DEP_1) | instskip(SKIP_3) | instid1(SALU_CYCLE_1)
	v_cmp_gt_i32_e64 s13, 16, v5
	s_or_b32 s75, s13, s75
	s_and_not1_b32 s13, s76, exec_lo
	s_and_b32 s76, s77, exec_lo
	s_or_b32 s76, s13, s76
	s_and_not1_b32 exec_lo, exec_lo, s75
	s_cbranch_execz .LBB12_153
.LBB12_147:                             ;   Parent Loop BB12_47 Depth=1
                                        ;     Parent Loop BB12_57 Depth=2
                                        ; =>    This Inner Loop Header: Depth=3
	global_load_b128 v[12:15], v[18:19], off th:TH_LOAD_NT
	s_wait_xcnt 0x0
	s_and_saveexec_b32 s13, s77
	s_cbranch_execz .LBB12_149
; %bb.148:                              ;   in Loop: Header=BB12_147 Depth=3
	v_add_nc_u64_e32 v[24:25], 0x200, v[90:91]
	global_store_b128 v[16:17], v[8:11], off th:TH_STORE_NT
	v_add_nc_u64_e32 v[24:25], v[16:17], v[24:25]
	s_wait_xcnt 0x0
	s_delay_alu instid0(VALU_DEP_1)
	v_mov_b64_e32 v[16:17], v[24:25]
.LBB12_149:                             ;   in Loop: Header=BB12_147 Depth=3
	s_or_b32 exec_lo, exec_lo, s13
	v_add_nc_u64_e32 v[24:25], 0x200, v[90:91]
	v_sub_nc_u32_e32 v5, v5, v121
	s_delay_alu instid0(VALU_DEP_1) | instskip(NEXT) | instid1(VALU_DEP_3)
	v_cmp_lt_i32_e64 s77, 15, v5
	v_add_nc_u64_e32 v[18:19], v[18:19], v[24:25]
	s_and_saveexec_b32 s13, s77
	s_cbranch_execz .LBB12_151
; %bb.150:                              ;   in Loop: Header=BB12_147 Depth=3
	global_load_b128 v[8:11], v[18:19], off th:TH_LOAD_NT
	s_wait_xcnt 0x0
	v_add_nc_u64_e32 v[18:19], 0x200, v[18:19]
.LBB12_151:                             ;   in Loop: Header=BB12_147 Depth=3
	s_or_b32 exec_lo, exec_lo, s13
	s_wait_loadcnt 0x0
	global_store_b128 v[16:17], v[12:15], off th:TH_STORE_NT
	s_wait_xcnt 0x0
	v_add_nc_u64_e32 v[16:17], 0x200, v[16:17]
	v_sub_nc_u32_e32 v22, v22, v60
	s_and_saveexec_b32 s13, s77
	s_cbranch_execz .LBB12_146
; %bb.152:                              ;   in Loop: Header=BB12_147 Depth=3
	v_add_nc_u64_e32 v[18:19], v[18:19], v[90:91]
	s_delay_alu instid0(VALU_DEP_3)
	v_add_nc_u64_e32 v[16:17], v[16:17], v[90:91]
	v_dual_sub_nc_u32 v22, v22, v60 :: v_dual_sub_nc_u32 v5, v5, v121
	s_branch .LBB12_146
.LBB12_153:                             ;   in Loop: Header=BB12_57 Depth=2
	s_or_b32 exec_lo, exec_lo, s75
	s_delay_alu instid0(SALU_CYCLE_1)
	s_and_b32 s75, s76, exec_lo
.LBB12_154:                             ;   in Loop: Header=BB12_57 Depth=2
	s_or_b32 exec_lo, exec_lo, s74
	s_and_saveexec_b32 s13, s75
	s_cbranch_execz .LBB12_156
; %bb.155:                              ;   in Loop: Header=BB12_57 Depth=2
	global_store_b128 v[16:17], v[8:11], off th:TH_STORE_NT
.LBB12_156:                             ;   in Loop: Header=BB12_57 Depth=2
	s_wait_xcnt 0x0
	s_or_b32 exec_lo, exec_lo, s13
	v_and_b32_e32 v9, 14, v2
	s_mov_b32 s75, s40
	s_mov_b32 s74, exec_lo
                                        ; implicit-def: $vgpr5
                                        ; implicit-def: $vgpr14
                                        ; implicit-def: $vgpr8
	s_delay_alu instid0(VALU_DEP_1) | instskip(NEXT) | instid1(VALU_DEP_1)
	v_cndmask_b32_e32 v2, v21, v9, vcc_lo
	v_cmpx_ne_u32_e32 0, v2
	s_cbranch_execz .LBB12_158
; %bb.157:                              ;   in Loop: Header=BB12_57 Depth=2
	v_cmp_lt_i32_e64 s13, 0, v22
	s_or_b32 s75, s40, exec_lo
	v_dual_sub_nc_u32 v8, v21, v9 :: v_dual_cndmask_b32 v5, 0, v60, s13
	s_delay_alu instid0(VALU_DEP_1) | instskip(NEXT) | instid1(VALU_DEP_1)
	v_sub_nc_u32_e32 v5, v5, v22
	v_lshl_add_u32 v10, v5, 5, v20
	s_delay_alu instid0(VALU_DEP_1) | instskip(NEXT) | instid1(VALU_DEP_1)
	v_ashrrev_i32_e32 v5, 31, v10
	v_lshrrev_b32_e32 v5, 27, v5
	s_delay_alu instid0(VALU_DEP_1) | instskip(NEXT) | instid1(VALU_DEP_1)
	v_dual_add_nc_u32 v9, v10, v5 :: v_dual_cndmask_b32 v5, 0, v8, vcc_lo
	v_and_b32_e32 v11, 0xffffffe0, v9
	s_delay_alu instid0(VALU_DEP_2) | instskip(NEXT) | instid1(VALU_DEP_2)
	v_add3_u32 v5, v6, v7, v5
	v_dual_ashrrev_i32 v8, 5, v9 :: v_dual_sub_nc_u32 v14, v10, v11
.LBB12_158:                             ;   in Loop: Header=BB12_57 Depth=2
	s_or_b32 exec_lo, exec_lo, s74
	s_delay_alu instid0(SALU_CYCLE_1) | instskip(SKIP_1) | instid1(SALU_CYCLE_1)
	s_and_not1_b32 s13, s40, exec_lo
	s_and_b32 s40, s75, exec_lo
	s_or_b32 s40, s13, s40
.LBB12_159:                             ;   in Loop: Header=BB12_57 Depth=2
	s_or_b32 exec_lo, exec_lo, s41
	s_and_saveexec_b32 s13, s40
	s_cbranch_execz .LBB12_180
.LBB12_160:                             ;   in Loop: Header=BB12_57 Depth=2
	s_wait_loadcnt 0x0
	v_dual_ashrrev_i32 v6, 31, v2 :: v_dual_lshlrev_b32 v7, 10, v8
	s_mov_b32 s41, 0
	s_mov_b32 s40, exec_lo
                                        ; implicit-def: $vgpr15
                                        ; implicit-def: $vgpr16
                                        ; implicit-def: $vgpr17
                                        ; implicit-def: $vgpr18
                                        ; implicit-def: $vgpr19
                                        ; implicit-def: $vgpr20
                                        ; implicit-def: $vgpr21
                                        ; implicit-def: $vgpr22
                                        ; implicit-def: $vgpr23
                                        ; implicit-def: $vgpr24
                                        ; implicit-def: $vgpr25
                                        ; implicit-def: $vgpr26
                                        ; implicit-def: $vgpr27
                                        ; implicit-def: $vgpr31
                                        ; implicit-def: $vgpr32
	s_delay_alu instid0(VALU_DEP_1) | instskip(NEXT) | instid1(VALU_DEP_1)
	v_lshrrev_b32_e32 v6, 22, v6
	v_add_nc_u32_e32 v6, v2, v6
	s_delay_alu instid0(VALU_DEP_1) | instskip(NEXT) | instid1(VALU_DEP_1)
	v_ashrrev_i32_e32 v6, 10, v6
	v_dual_lshlrev_b32 v9, 1, v14 :: v_dual_sub_nc_u32 v12, v6, v8
	s_delay_alu instid0(VALU_DEP_1) | instskip(NEXT) | instid1(VALU_DEP_1)
	v_add3_u32 v10, v5, v9, v7
                                        ; implicit-def: $vgpr7
	v_ashrrev_i32_e32 v11, 31, v10
	s_delay_alu instid0(VALU_DEP_1) | instskip(NEXT) | instid1(VALU_DEP_4)
	v_add_nc_u64_e32 v[8:9], v[62:63], v[10:11]
	v_cmpx_lt_i32_e32 0, v12
	s_cbranch_execz .LBB12_168
; %bb.161:                              ;   in Loop: Header=BB12_57 Depth=2
	v_add_nc_u64_e32 v[10:11], v[10:11], v[118:119]
	s_mov_b32 s75, 0
                                        ; implicit-def: $sgpr74
                                        ; implicit-def: $vgpr7
                                        ; implicit-def: $vgpr15
                                        ; implicit-def: $vgpr16
                                        ; implicit-def: $vgpr17
                                        ; implicit-def: $vgpr18
                                        ; implicit-def: $vgpr19
                                        ; implicit-def: $vgpr20
                                        ; implicit-def: $vgpr21
                                        ; implicit-def: $vgpr22
                                        ; implicit-def: $vgpr23
                                        ; implicit-def: $vgpr24
                                        ; implicit-def: $vgpr25
                                        ; implicit-def: $vgpr26
                                        ; implicit-def: $vgpr27
                                        ; implicit-def: $vgpr31
                                        ; implicit-def: $vgpr32
	s_branch .LBB12_163
.LBB12_162:                             ;   in Loop: Header=BB12_163 Depth=3
	s_or_b32 exec_lo, exec_lo, s76
	s_wait_loadcnt_dscnt 0xf0f
	flat_store_b16 v[8:9], v35 th:TH_STORE_NT
	s_wait_loadcnt_dscnt 0xe0f
	flat_store_b16 v[8:9], v36 offset:64 th:TH_STORE_NT
	s_wait_loadcnt_dscnt 0xd0f
	flat_store_b16 v[8:9], v37 offset:128 th:TH_STORE_NT
	;; [unrolled: 2-line block ×15, first 2 shown]
	s_wait_xcnt 0x0
	v_add_nc_u64_e32 v[8:9], v[8:9], v[12:13]
	v_add_nc_u64_e32 v[10:11], v[10:11], v[12:13]
	v_sub_nc_u32_e32 v12, v33, v34
	s_delay_alu instid0(VALU_DEP_1) | instskip(NEXT) | instid1(VALU_DEP_4)
	v_cmp_gt_i32_e32 vcc_lo, 1, v12
	v_add_nc_u64_e32 v[8:9], 0x400, v[8:9]
	s_or_b32 s41, vcc_lo, s41
	s_and_not1_b32 s74, s74, exec_lo
	s_and_b32 s76, s75, exec_lo
	s_delay_alu instid0(SALU_CYCLE_1)
	s_or_b32 s74, s74, s76
	s_and_not1_b32 exec_lo, exec_lo, s41
	s_cbranch_execz .LBB12_167
.LBB12_163:                             ;   Parent Loop BB12_47 Depth=1
                                        ;     Parent Loop BB12_57 Depth=2
                                        ; =>    This Inner Loop Header: Depth=3
	s_clause 0xf
	flat_load_u16 v35, v[10:11] th:TH_LOAD_NT
	flat_load_u16 v36, v[10:11] offset:64 th:TH_LOAD_NT
	flat_load_u16 v37, v[10:11] offset:128 th:TH_LOAD_NT
	;; [unrolled: 1-line block ×15, first 2 shown]
	s_wait_xcnt 0x0
	s_and_saveexec_b32 s76, s75
	s_cbranch_execz .LBB12_165
; %bb.164:                              ;   in Loop: Header=BB12_163 Depth=3
	s_clause 0xf
	flat_store_b16 v[8:9], v7 th:TH_STORE_NT
	flat_store_b16 v[8:9], v15 offset:64 th:TH_STORE_NT
	flat_store_b16 v[8:9], v16 offset:128 th:TH_STORE_NT
	;; [unrolled: 1-line block ×15, first 2 shown]
	s_wait_xcnt 0x0
	v_add_nc_u64_e32 v[8:9], v[8:9], v[104:105]
.LBB12_165:                             ;   in Loop: Header=BB12_163 Depth=3
	s_or_b32 exec_lo, exec_lo, s76
	v_dual_mov_b32 v34, 0 :: v_dual_sub_nc_u32 v33, v12, v60
	v_add_nc_u64_e32 v[10:11], v[10:11], v[104:105]
	v_mov_b64_e32 v[12:13], 0
	s_delay_alu instid0(VALU_DEP_3)
	v_cmp_lt_i32_e64 s75, 0, v33
	s_and_saveexec_b32 s76, s75
	s_cbranch_execz .LBB12_162
; %bb.166:                              ;   in Loop: Header=BB12_163 Depth=3
	s_clause 0xf
	flat_load_u16 v7, v[10:11] th:TH_LOAD_NT
	flat_load_u16 v15, v[10:11] offset:64 th:TH_LOAD_NT
	flat_load_u16 v16, v[10:11] offset:128 th:TH_LOAD_NT
	;; [unrolled: 1-line block ×15, first 2 shown]
	s_wait_xcnt 0x0
	v_add_nc_u64_e32 v[10:11], 0x400, v[10:11]
	v_mov_b64_e32 v[12:13], v[78:79]
	v_mov_b32_e32 v34, v60
	s_branch .LBB12_162
.LBB12_167:                             ;   in Loop: Header=BB12_57 Depth=2
	s_or_b32 exec_lo, exec_lo, s41
	s_delay_alu instid0(SALU_CYCLE_1)
	s_and_b32 s41, s74, exec_lo
.LBB12_168:                             ;   in Loop: Header=BB12_57 Depth=2
	s_or_b32 exec_lo, exec_lo, s40
	s_and_saveexec_b32 s40, s41
	s_cbranch_execz .LBB12_170
; %bb.169:                              ;   in Loop: Header=BB12_57 Depth=2
	s_clause 0xf
	flat_store_b16 v[8:9], v7 th:TH_STORE_NT
	flat_store_b16 v[8:9], v15 offset:64 th:TH_STORE_NT
	flat_store_b16 v[8:9], v16 offset:128 th:TH_STORE_NT
	;; [unrolled: 1-line block ×15, first 2 shown]
.LBB12_170:                             ;   in Loop: Header=BB12_57 Depth=2
	s_wait_xcnt 0x0
	s_or_b32 exec_lo, exec_lo, s40
	v_lshlrev_b32_e32 v6, 10, v6
	s_delay_alu instid0(VALU_DEP_1)
	v_cmp_ne_u32_e32 vcc_lo, v2, v6
	s_and_b32 exec_lo, exec_lo, vcc_lo
	s_cbranch_execz .LBB12_180
; %bb.171:                              ;   in Loop: Header=BB12_57 Depth=2
	v_lshlrev_b32_e32 v7, 5, v12
	s_delay_alu instid0(VALU_DEP_1) | instskip(NEXT) | instid1(VALU_DEP_1)
	v_sub_nc_u32_e32 v7, v14, v7
	v_ashrrev_i32_e32 v8, 31, v7
	s_delay_alu instid0(VALU_DEP_1) | instskip(NEXT) | instid1(VALU_DEP_1)
	v_lshrrev_b32_e32 v8, 27, v8
	v_add_nc_u32_e32 v8, v7, v8
	s_delay_alu instid0(VALU_DEP_1) | instskip(NEXT) | instid1(VALU_DEP_1)
	v_and_b32_e32 v9, 0x7fffffe0, v8
	v_sub_nc_u32_e32 v7, v7, v9
	s_delay_alu instid0(VALU_DEP_1) | instskip(NEXT) | instid1(VALU_DEP_1)
	v_dual_lshlrev_b32 v7, 1, v7 :: v_dual_lshlrev_b32 v8, 1, v8
	v_and_b32_e32 v8, 0xffffffc0, v8
	s_delay_alu instid0(VALU_DEP_1) | instskip(NEXT) | instid1(VALU_DEP_1)
	v_add3_u32 v7, v8, v7, v6
	v_sub_nc_u32_e32 v6, v2, v7
	s_delay_alu instid0(VALU_DEP_1)
	v_cmp_lt_i32_e32 vcc_lo, 1, v6
	s_and_b32 exec_lo, exec_lo, vcc_lo
	s_cbranch_execz .LBB12_180
; %bb.172:                              ;   in Loop: Header=BB12_57 Depth=2
	v_add_nc_u32_e32 v10, v7, v5
	s_mov_b32 s74, 0
	s_mov_b32 s40, 0
                                        ; implicit-def: $sgpr41
                                        ; implicit-def: $vgpr2
	s_delay_alu instid0(VALU_DEP_1) | instskip(NEXT) | instid1(VALU_DEP_1)
	v_ashrrev_i32_e32 v11, 31, v10
	v_add_nc_u64_e32 v[8:9], v[62:63], v[10:11]
	v_add_nc_u64_e32 v[10:11], v[10:11], v[118:119]
	s_branch .LBB12_174
.LBB12_173:                             ;   in Loop: Header=BB12_174 Depth=3
	s_or_b32 exec_lo, exec_lo, s75
	s_delay_alu instid0(VALU_DEP_1) | instskip(NEXT) | instid1(VALU_DEP_2)
	v_sub_nc_u32_e32 v6, v6, v7
	v_add_nc_u64_e32 v[14:15], v[8:9], v[12:13]
	s_wait_loadcnt_dscnt 0x0
	flat_store_b16 v[8:9], v5 th:TH_STORE_NT
	v_add_nc_u64_e32 v[10:11], v[10:11], v[12:13]
	v_cmp_gt_i32_e32 vcc_lo, 2, v6
	s_wait_xcnt 0x0
	v_add_nc_u64_e32 v[8:9], 64, v[14:15]
	s_or_b32 s40, vcc_lo, s40
	s_and_not1_b32 s41, s41, exec_lo
	s_and_b32 s75, s74, exec_lo
	s_delay_alu instid0(SALU_CYCLE_1)
	s_or_b32 s41, s41, s75
	s_and_not1_b32 exec_lo, exec_lo, s40
	s_cbranch_execz .LBB12_178
.LBB12_174:                             ;   Parent Loop BB12_47 Depth=1
                                        ;     Parent Loop BB12_57 Depth=2
                                        ; =>    This Inner Loop Header: Depth=3
	flat_load_u16 v5, v[10:11] th:TH_LOAD_NT
	s_wait_xcnt 0x0
	s_and_saveexec_b32 s75, s74
	s_cbranch_execz .LBB12_176
; %bb.175:                              ;   in Loop: Header=BB12_174 Depth=3
	v_add_nc_u64_e32 v[12:13], 64, v[92:93]
	flat_store_b16 v[8:9], v2 th:TH_STORE_NT
	v_add_nc_u64_e32 v[12:13], v[8:9], v[12:13]
	s_wait_xcnt 0x0
	s_delay_alu instid0(VALU_DEP_1)
	v_mov_b64_e32 v[8:9], v[12:13]
.LBB12_176:                             ;   in Loop: Header=BB12_174 Depth=3
	s_or_b32 exec_lo, exec_lo, s75
	v_add_nc_u64_e32 v[12:13], 64, v[92:93]
	v_dual_mov_b32 v7, 0 :: v_dual_sub_nc_u32 v6, v6, v76
	s_delay_alu instid0(VALU_DEP_1) | instskip(NEXT) | instid1(VALU_DEP_3)
	v_cmp_lt_i32_e64 s74, 1, v6
	v_add_nc_u64_e32 v[10:11], v[10:11], v[12:13]
	v_mov_b64_e32 v[12:13], 0
	s_and_saveexec_b32 s75, s74
	s_cbranch_execz .LBB12_173
; %bb.177:                              ;   in Loop: Header=BB12_174 Depth=3
	flat_load_u16 v2, v[10:11] th:TH_LOAD_NT
	s_wait_xcnt 0x0
	v_add_nc_u64_e32 v[10:11], 64, v[10:11]
	v_mov_b64_e32 v[12:13], v[92:93]
	v_mov_b32_e32 v7, v76
	s_branch .LBB12_173
.LBB12_178:                             ;   in Loop: Header=BB12_57 Depth=2
	s_or_b32 exec_lo, exec_lo, s40
	s_delay_alu instid0(SALU_CYCLE_1)
	s_and_b32 exec_lo, exec_lo, s41
	s_cbranch_execz .LBB12_180
; %bb.179:                              ;   in Loop: Header=BB12_57 Depth=2
	flat_store_b16 v[8:9], v2 th:TH_STORE_NT
.LBB12_180:                             ;   in Loop: Header=BB12_57 Depth=2
	s_wait_xcnt 0x0
	s_or_b32 exec_lo, exec_lo, s13
	v_cmp_lt_i32_e64 s13, 0, v1
	s_and_saveexec_b32 s40, s2
	s_cbranch_execz .LBB12_199
.LBB12_181:                             ;   in Loop: Header=BB12_57 Depth=2
	s_and_saveexec_b32 s41, s3
	s_delay_alu instid0(SALU_CYCLE_1)
	s_xor_b32 s41, exec_lo, s41
	s_cbranch_execz .LBB12_196
; %bb.182:                              ;   in Loop: Header=BB12_57 Depth=2
	s_and_saveexec_b32 s74, s6
	s_cbranch_execz .LBB12_195
; %bb.183:                              ;   in Loop: Header=BB12_57 Depth=2
	s_mov_b32 s76, exec_lo
	s_mov_b32 s75, exec_lo
	v_mbcnt_lo_u32_b32 v1, s76, 0
	global_wb scope:SCOPE_DEV
	s_wait_storecnt 0x0
	s_wait_loadcnt_dscnt 0x0
	global_inv scope:SCOPE_DEV
	v_cmpx_eq_u32_e32 0, v1
	s_cbranch_execz .LBB12_185
; %bb.184:                              ;   in Loop: Header=BB12_57 Depth=2
	s_bcnt1_i32_b32 s76, s76
	s_delay_alu instid0(SALU_CYCLE_1)
	v_mov_b32_e32 v2, s76
	s_wait_loadcnt 0x0
	ds_add_u64 v0, v[2:3]
	s_trap 2
.LBB12_185:                             ;   in Loop: Header=BB12_57 Depth=2
	s_or_b32 exec_lo, exec_lo, s75
	s_trap 2
	ds_load_b64 v[6:7], v0
	s_wait_dscnt 0x0
	v_add_nc_u64_e32 v[56:57], v[56:57], v[60:61]
	s_mov_b32 s75, exec_lo
	s_delay_alu instid0(VALU_DEP_1)
	v_cmpx_lt_u64_e64 v[6:7], v[56:57]
	s_cbranch_execz .LBB12_194
; %bb.186:                              ;   in Loop: Header=BB12_57 Depth=2
	s_mov_b32 s76, 0
	s_mov_b32 s79, 0
                                        ; implicit-def: $sgpr77
                                        ; implicit-def: $sgpr78
	s_branch .LBB12_188
.LBB12_187:                             ;   in Loop: Header=BB12_188 Depth=3
	s_or_b32 exec_lo, exec_lo, s89
	s_delay_alu instid0(SALU_CYCLE_1) | instskip(NEXT) | instid1(SALU_CYCLE_1)
	s_and_b32 s88, exec_lo, s90
	s_or_b32 s76, s88, s76
	s_and_not1_b32 s77, s77, exec_lo
	s_and_b32 s88, s78, exec_lo
	s_delay_alu instid0(SALU_CYCLE_1)
	s_or_b32 s77, s77, s88
	s_and_not1_b32 exec_lo, exec_lo, s76
	s_cbranch_execz .LBB12_192
.LBB12_188:                             ;   Parent Loop BB12_47 Depth=1
                                        ;     Parent Loop BB12_57 Depth=2
                                        ; =>    This Inner Loop Header: Depth=3
	s_add_co_i32 s79, s79, 1
	s_delay_alu instid0(SALU_CYCLE_1) | instskip(SKIP_1) | instid1(SALU_CYCLE_1)
	s_cmp_lg_u32 s79, 0x2710
	s_cselect_b32 s88, -1, 0
	s_and_b32 vcc_lo, exec_lo, s88
	s_cbranch_vccz .LBB12_190
; %bb.189:                              ;   in Loop: Header=BB12_188 Depth=3
	s_mov_b32 s90, -1
	s_or_b32 s78, s78, exec_lo
	s_and_saveexec_b32 s89, s88
	s_cbranch_execz .LBB12_187
	s_branch .LBB12_191
.LBB12_190:                             ;   in Loop: Header=BB12_188 Depth=3
	s_trap 2
	ds_load_b64 v[6:7], v0
	s_and_not1_b32 s88, s88, exec_lo
	s_mov_b32 s79, 0
	s_wait_loadcnt_dscnt 0x0
	flat_load_b32 v1, v[6:7] scope:SCOPE_SYS
	s_wait_loadcnt_dscnt 0x0
	global_inv scope:SCOPE_SYS
	v_cmp_eq_u32_e32 vcc_lo, 0, v1
	s_and_b32 s89, vcc_lo, exec_lo
	s_delay_alu instid0(SALU_CYCLE_1)
	s_or_b32 s88, s88, s89
	s_mov_b32 s90, -1
	s_or_b32 s78, s78, exec_lo
	s_wait_xcnt 0x0
	s_and_saveexec_b32 s89, s88
	s_cbranch_execz .LBB12_187
.LBB12_191:                             ;   in Loop: Header=BB12_188 Depth=3
	s_sleep 1
	s_trap 2
	ds_load_b64 v[6:7], v0
	s_wait_dscnt 0x0
	s_and_not1_b32 s78, s78, exec_lo
	v_cmp_ge_u64_e32 vcc_lo, v[6:7], v[56:57]
	s_or_not1_b32 s90, vcc_lo, exec_lo
	s_branch .LBB12_187
.LBB12_192:                             ;   in Loop: Header=BB12_57 Depth=2
	s_or_b32 exec_lo, exec_lo, s76
	s_and_saveexec_b32 s76, s77
	s_delay_alu instid0(SALU_CYCLE_1)
	s_xor_b32 s76, exec_lo, s76
	s_cbranch_execz .LBB12_194
; %bb.193:                              ;   in Loop: Header=BB12_57 Depth=2
	v_mov_b32_e32 v1, 1
	ds_store_b32 v0, v1
	s_trap 2
.LBB12_194:                             ;   in Loop: Header=BB12_57 Depth=2
	s_or_b32 exec_lo, exec_lo, s75
	;;#ASMSTART
	s_wakeup
	;;#ASMEND
.LBB12_195:                             ;   in Loop: Header=BB12_57 Depth=2
	s_or_b32 exec_lo, exec_lo, s74
.LBB12_196:                             ;   in Loop: Header=BB12_57 Depth=2
	s_and_not1_saveexec_b32 s41, s41
	s_cbranch_execz .LBB12_198
; %bb.197:                              ;   in Loop: Header=BB12_57 Depth=2
	global_wb scope:SCOPE_DEV
	s_wait_storecnt 0x0
	s_wait_loadcnt_dscnt 0x0
	global_inv scope:SCOPE_DEV
	s_barrier_signal -1
	s_barrier_wait -1
.LBB12_198:                             ;   in Loop: Header=BB12_57 Depth=2
	s_or_b32 exec_lo, exec_lo, s41
.LBB12_199:                             ;   in Loop: Header=BB12_57 Depth=2
	s_delay_alu instid0(SALU_CYCLE_1) | instskip(SKIP_2) | instid1(SALU_CYCLE_1)
	s_or_b32 exec_lo, exec_lo, s40
	v_and_b32_e32 v1, 16, v126
	s_and_saveexec_b32 s40, s10
	s_xor_b32 s40, exec_lo, s40
	s_cbranch_execz .LBB12_203
; %bb.200:                              ;   in Loop: Header=BB12_57 Depth=2
	v_and_b32_e32 v1, 16, v126
	s_delay_alu instid0(VALU_DEP_1) | instskip(SKIP_2) | instid1(SALU_CYCLE_1)
	v_cmp_ne_u32_e32 vcc_lo, 0, v1
	v_and_b32_e32 v1, 16, v126
	s_and_b32 s41, vcc_lo, s13
	s_and_saveexec_b32 s13, s41
	s_cbranch_execz .LBB12_202
; %bb.201:                              ;   in Loop: Header=BB12_57 Depth=2
	v_mov_b32_e32 v1, 1
	global_wb scope:SCOPE_SYS
	s_wait_storecnt 0x0
	s_wait_loadcnt_dscnt 0x0
	global_inv scope:SCOPE_SYS
.LBB12_202:                             ;   in Loop: Header=BB12_57 Depth=2
	s_or_b32 exec_lo, exec_lo, s13
.LBB12_203:                             ;   in Loop: Header=BB12_57 Depth=2
	s_and_not1_saveexec_b32 s13, s40
	s_cbranch_execz .LBB12_222
; %bb.204:                              ;   in Loop: Header=BB12_57 Depth=2
	s_and_saveexec_b32 s40, s3
	s_delay_alu instid0(SALU_CYCLE_1)
	s_xor_b32 s40, exec_lo, s40
	s_cbranch_execz .LBB12_219
; %bb.205:                              ;   in Loop: Header=BB12_57 Depth=2
	s_and_saveexec_b32 s41, s6
	s_cbranch_execz .LBB12_218
; %bb.206:                              ;   in Loop: Header=BB12_57 Depth=2
	s_mov_b32 s75, exec_lo
	s_mov_b32 s74, exec_lo
	v_mbcnt_lo_u32_b32 v2, s75, 0
	;;#ASMSTART
	s_waitcnt lgkmcnt(0) vmcnt(0)
	;;#ASMEND
	s_delay_alu instid0(VALU_DEP_1)
	v_cmpx_eq_u32_e32 0, v2
	s_cbranch_execz .LBB12_208
; %bb.207:                              ;   in Loop: Header=BB12_57 Depth=2
	s_bcnt1_i32_b32 s75, s75
	s_delay_alu instid0(SALU_CYCLE_1)
	v_mov_b32_e32 v2, s75
	s_wait_storecnt 0x0
	s_wait_loadcnt_dscnt 0x0
	ds_add_u64 v0, v[2:3]
	s_trap 2
.LBB12_208:                             ;   in Loop: Header=BB12_57 Depth=2
	s_or_b32 exec_lo, exec_lo, s74
	s_trap 2
	ds_load_b64 v[6:7], v0
	s_wait_dscnt 0x0
	v_add_nc_u64_e32 v[56:57], v[56:57], v[60:61]
	s_mov_b32 s74, exec_lo
	s_delay_alu instid0(VALU_DEP_1)
	v_cmpx_lt_u64_e64 v[6:7], v[56:57]
	s_cbranch_execz .LBB12_217
; %bb.209:                              ;   in Loop: Header=BB12_57 Depth=2
	s_mov_b32 s75, 0
	s_mov_b32 s78, 0
                                        ; implicit-def: $sgpr76
                                        ; implicit-def: $sgpr77
	s_branch .LBB12_211
.LBB12_210:                             ;   in Loop: Header=BB12_211 Depth=3
	s_or_b32 exec_lo, exec_lo, s88
	s_delay_alu instid0(SALU_CYCLE_1) | instskip(NEXT) | instid1(SALU_CYCLE_1)
	s_and_b32 s79, exec_lo, s89
	s_or_b32 s75, s79, s75
	s_and_not1_b32 s76, s76, exec_lo
	s_and_b32 s79, s77, exec_lo
	s_delay_alu instid0(SALU_CYCLE_1)
	s_or_b32 s76, s76, s79
	s_and_not1_b32 exec_lo, exec_lo, s75
	s_cbranch_execz .LBB12_215
.LBB12_211:                             ;   Parent Loop BB12_47 Depth=1
                                        ;     Parent Loop BB12_57 Depth=2
                                        ; =>    This Inner Loop Header: Depth=3
	s_add_co_i32 s78, s78, 1
	s_delay_alu instid0(SALU_CYCLE_1) | instskip(SKIP_1) | instid1(SALU_CYCLE_1)
	s_cmp_lg_u32 s78, 0x2710
	s_cselect_b32 s79, -1, 0
	s_and_b32 vcc_lo, exec_lo, s79
	s_cbranch_vccz .LBB12_213
; %bb.212:                              ;   in Loop: Header=BB12_211 Depth=3
	s_mov_b32 s89, -1
	s_or_b32 s77, s77, exec_lo
	s_and_saveexec_b32 s88, s79
	s_cbranch_execz .LBB12_210
	s_branch .LBB12_214
.LBB12_213:                             ;   in Loop: Header=BB12_211 Depth=3
	s_trap 2
	ds_load_b64 v[6:7], v0
	s_and_not1_b32 s79, s79, exec_lo
	s_mov_b32 s78, 0
	s_wait_storecnt 0x0
	s_wait_loadcnt_dscnt 0x0
	flat_load_b32 v2, v[6:7] scope:SCOPE_SYS
	s_wait_loadcnt_dscnt 0x0
	global_inv scope:SCOPE_SYS
	v_cmp_eq_u32_e32 vcc_lo, 0, v2
	s_and_b32 s88, vcc_lo, exec_lo
	s_delay_alu instid0(SALU_CYCLE_1)
	s_or_b32 s79, s79, s88
	s_mov_b32 s89, -1
	s_or_b32 s77, s77, exec_lo
	s_wait_xcnt 0x0
	s_and_saveexec_b32 s88, s79
	s_cbranch_execz .LBB12_210
.LBB12_214:                             ;   in Loop: Header=BB12_211 Depth=3
	s_sleep 1
	s_trap 2
	ds_load_b64 v[6:7], v0
	s_wait_dscnt 0x0
	s_and_not1_b32 s77, s77, exec_lo
	v_cmp_ge_u64_e32 vcc_lo, v[6:7], v[56:57]
	s_or_not1_b32 s89, vcc_lo, exec_lo
	s_branch .LBB12_210
.LBB12_215:                             ;   in Loop: Header=BB12_57 Depth=2
	s_or_b32 exec_lo, exec_lo, s75
	s_and_saveexec_b32 s75, s76
	s_delay_alu instid0(SALU_CYCLE_1)
	s_xor_b32 s75, exec_lo, s75
	s_cbranch_execz .LBB12_217
; %bb.216:                              ;   in Loop: Header=BB12_57 Depth=2
	v_mov_b32_e32 v2, 1
	ds_store_b32 v0, v2
	s_trap 2
.LBB12_217:                             ;   in Loop: Header=BB12_57 Depth=2
	s_or_b32 exec_lo, exec_lo, s74
	;;#ASMSTART
	s_wakeup
	;;#ASMEND
.LBB12_218:                             ;   in Loop: Header=BB12_57 Depth=2
	s_or_b32 exec_lo, exec_lo, s41
.LBB12_219:                             ;   in Loop: Header=BB12_57 Depth=2
	s_and_not1_saveexec_b32 s40, s40
	s_cbranch_execz .LBB12_221
; %bb.220:                              ;   in Loop: Header=BB12_57 Depth=2
	;;#ASMSTART
	s_waitcnt lgkmcnt(0) vmcnt(0)
	;;#ASMEND
	s_barrier_signal -1
	s_barrier_wait -1
.LBB12_221:                             ;   in Loop: Header=BB12_57 Depth=2
	s_or_b32 exec_lo, exec_lo, s40
.LBB12_222:                             ;   in Loop: Header=BB12_57 Depth=2
	s_delay_alu instid0(SALU_CYCLE_1) | instskip(NEXT) | instid1(SALU_CYCLE_1)
	s_or_b32 exec_lo, exec_lo, s13
	s_mov_b32 s13, exec_lo
	v_cmpx_ne_u32_e32 0, v1
	s_cbranch_execz .LBB12_56
; %bb.223:                              ;   in Loop: Header=BB12_57 Depth=2
	s_and_saveexec_b32 s40, s5
	s_cbranch_execz .LBB12_55
; %bb.224:                              ;   in Loop: Header=BB12_57 Depth=2
	scratch_load_b64 v[6:7], off, s33 offset:288 ; 8-byte Folded Reload
	v_mov_b32_e32 v1, 1
	global_wb scope:SCOPE_SYS
	s_wait_storecnt 0x0
	s_wait_xcnt 0x0
	s_wait_loadcnt_dscnt 0x0
	flat_store_b32 v[6:7], v1 scope:SCOPE_SYS
	s_branch .LBB12_55
.LBB12_225:                             ;   in Loop: Header=BB12_47 Depth=1
	s_or_b32 exec_lo, exec_lo, s15
.LBB12_226:                             ;   in Loop: Header=BB12_47 Depth=1
	s_delay_alu instid0(SALU_CYCLE_1) | instskip(NEXT) | instid1(SALU_CYCLE_1)
	s_or_b32 exec_lo, exec_lo, s14
	s_mov_b32 s14, exec_lo
	v_cmpx_gt_i32_e32 2, v1
	s_cbranch_execz .LBB12_300
; %bb.227:                              ;   in Loop: Header=BB12_47 Depth=1
	v_cmp_eq_u32_e64 s18, 0, v1
	s_mov_b32 s15, 0
	s_branch .LBB12_230
.LBB12_228:                             ;   in Loop: Header=BB12_230 Depth=2
	s_wait_xcnt 0x0
	s_or_b32 exec_lo, exec_lo, s18
	v_add_nc_u64_e32 v[116:117], 2, v[116:117]
	global_wb scope:SCOPE_SYS
	s_wait_storecnt 0x0
	s_wait_loadcnt_dscnt 0x0
	flat_store_b64 v[40:41], v[116:117] scope:SCOPE_SYS
.LBB12_229:                             ;   in Loop: Header=BB12_230 Depth=2
	s_wait_xcnt 0x0
	s_or_b32 exec_lo, exec_lo, s13
	v_add_nc_u32_e32 v4, v0, v4
	s_mov_b32 s18, 0
	s_and_not1_b32 exec_lo, exec_lo, s15
	s_cbranch_execz .LBB12_299
.LBB12_230:                             ;   Parent Loop BB12_47 Depth=1
                                        ; =>  This Loop Header: Depth=2
                                        ;       Child Loop BB12_236 Depth 3
                                        ;       Child Loop BB12_260 Depth 3
	;; [unrolled: 1-line block ×3, first 2 shown]
	s_delay_alu instid0(VALU_DEP_1) | instskip(SKIP_1) | instid1(VALU_DEP_1)
	v_dual_sub_nc_u32 v1, v30, v4 :: v_dual_bitop2_b32 v2, 8, v126 bitop3:0x40
	s_mov_b32 s27, exec_lo
	v_min_i32_e32 v0, v0, v1
	s_delay_alu instid0(VALU_DEP_2)
	v_cmpx_ne_u32_e32 0, v2
	s_cbranch_execz .LBB12_252
; %bb.231:                              ;   in Loop: Header=BB12_230 Depth=2
	s_wait_dscnt 0x1
	v_add_nc_u64_e32 v[6:7], 8, v[58:59]
	s_wait_loadcnt 0x0
	v_add_nc_u64_e32 v[8:9], 2, v[116:117]
	s_mov_b32 s40, exec_lo
	s_delay_alu instid0(VALU_DEP_1)
	v_cmpx_lt_u64_e64 v[6:7], v[8:9]
	s_cbranch_execz .LBB12_243
; %bb.232:                              ;   in Loop: Header=BB12_230 Depth=2
	v_and_b32_e32 v1, 64, v126
	s_mov_b32 s41, 0
	s_mov_b32 s77, 0
                                        ; implicit-def: $sgpr74
                                        ; implicit-def: $sgpr75
                                        ; implicit-def: $sgpr76
	s_delay_alu instid0(VALU_DEP_1)
	v_cmp_eq_u32_e32 vcc_lo, 0, v1
	s_branch .LBB12_236
.LBB12_233:                             ;   in Loop: Header=BB12_236 Depth=3
	s_wait_loadcnt_dscnt 0x0
	v_add_nc_u64_e32 v[6:7], 8, v[58:59]
	s_or_b32 s88, s88, exec_lo
	s_delay_alu instid0(VALU_DEP_1)
	v_cmp_ge_u64_e64 s13, v[6:7], v[8:9]
	s_or_not1_b32 s79, s13, exec_lo
.LBB12_234:                             ;   in Loop: Header=BB12_236 Depth=3
	s_or_b32 exec_lo, exec_lo, s90
	s_delay_alu instid0(SALU_CYCLE_1)
	s_and_not1_b32 s13, s76, exec_lo
	s_and_b32 s76, s88, exec_lo
	s_and_not1_b32 s75, s75, exec_lo
	s_and_b32 s79, s79, exec_lo
	s_or_b32 s76, s13, s76
	s_or_b32 s75, s75, s79
.LBB12_235:                             ;   in Loop: Header=BB12_236 Depth=3
	s_or_b32 exec_lo, exec_lo, s78
	s_delay_alu instid0(SALU_CYCLE_1) | instskip(NEXT) | instid1(SALU_CYCLE_1)
	s_and_b32 s13, exec_lo, s75
	s_or_b32 s41, s13, s41
	s_and_not1_b32 s13, s74, exec_lo
	s_and_b32 s74, s76, exec_lo
	s_delay_alu instid0(SALU_CYCLE_1)
	s_or_b32 s74, s13, s74
	s_and_not1_b32 exec_lo, exec_lo, s41
	s_cbranch_execz .LBB12_240
.LBB12_236:                             ;   Parent Loop BB12_47 Depth=1
                                        ;     Parent Loop BB12_230 Depth=2
                                        ; =>    This Inner Loop Header: Depth=3
	s_sleep 1
	s_wait_loadcnt_dscnt 0x0
	flat_load_b64 v[58:59], v[40:41] scope:SCOPE_SYS
	s_or_b32 s76, s76, exec_lo
	s_or_b32 s75, s75, exec_lo
                                        ; implicit-def: $vgpr1
	s_wait_xcnt 0x0
	s_and_saveexec_b32 s78, vcc_lo
	s_cbranch_execz .LBB12_235
; %bb.237:                              ;   in Loop: Header=BB12_236 Depth=3
	s_cmp_lt_i32 s77, 0x270f
	s_mov_b32 s79, -1
	s_cselect_b32 s89, -1, 0
	s_cmp_gt_i32 s77, 0x270e
	s_cbranch_scc0 .LBB12_239
; %bb.238:                              ;   in Loop: Header=BB12_236 Depth=3
	s_trap 2
	ds_load_b64 v[6:7], v0
	s_and_not1_b32 s77, s89, exec_lo
	s_mov_b32 s88, 0
	s_wait_storecnt 0x0
	s_wait_loadcnt_dscnt 0x0
	flat_load_b32 v1, v[6:7] scope:SCOPE_SYS
	s_wait_loadcnt_dscnt 0x0
	global_inv scope:SCOPE_SYS
	v_cmp_eq_u32_e64 s13, 0, v1
	s_and_b32 s13, s13, exec_lo
	s_delay_alu instid0(SALU_CYCLE_1)
	s_or_b32 s89, s77, s13
	s_mov_b32 s77, 0
	s_wait_xcnt 0x0
	s_and_saveexec_b32 s90, s89
	s_cbranch_execz .LBB12_234
	s_branch .LBB12_233
.LBB12_239:                             ;   in Loop: Header=BB12_236 Depth=3
	s_add_co_i32 s77, s77, 1
	s_mov_b32 s88, -1
                                        ; implicit-def: $vgpr1
	s_and_saveexec_b32 s90, s89
	s_cbranch_execz .LBB12_234
	s_branch .LBB12_233
.LBB12_240:                             ;   in Loop: Header=BB12_230 Depth=2
	s_or_b32 exec_lo, exec_lo, s41
	s_xor_b32 s13, s74, -1
	s_delay_alu instid0(SALU_CYCLE_1) | instskip(NEXT) | instid1(SALU_CYCLE_1)
	s_and_saveexec_b32 s41, s13
	s_xor_b32 s13, exec_lo, s41
	s_cbranch_execz .LBB12_242
; %bb.241:                              ;   in Loop: Header=BB12_230 Depth=2
	v_or_b32_e32 v126, 64, v126
	s_wait_storecnt 0x0
	s_wait_loadcnt_dscnt 0x0
	ds_store_b32 v0, v1
	s_trap 2
.LBB12_242:                             ;   in Loop: Header=BB12_230 Depth=2
	s_or_b32 exec_lo, exec_lo, s13
.LBB12_243:                             ;   in Loop: Header=BB12_230 Depth=2
	s_delay_alu instid0(SALU_CYCLE_1)
	s_or_b32 exec_lo, exec_lo, s40
	v_and_b32_e32 v1, 0x100, v126
	v_and_b32_e32 v2, 7, v116
	s_mov_b32 s40, 0
	s_mov_b32 s13, exec_lo
	;;#ASMSTART
	s_wakeup
	;;#ASMEND
                                        ; implicit-def: $vgpr10_vgpr11
	v_cmpx_ne_u32_e32 0, v1
	s_xor_b32 s13, exec_lo, s13
	s_cbranch_execz .LBB12_264
; %bb.244:                              ;   in Loop: Header=BB12_230 Depth=2
	scratch_load_b128 v[10:13], off, s33 offset:272 ; 16-byte Folded Reload
	v_ashrrev_i32_e32 v1, 31, v0
	s_mov_b32 s40, -1
	s_mov_b32 s41, exec_lo
	s_delay_alu instid0(VALU_DEP_1)
	v_lshlrev_b64_e32 v[6:7], 1, v[0:1]
	s_wait_loadcnt 0x0
	v_mad_nc_u64_u32 v[12:13], v2, 24, v[10:11]
                                        ; implicit-def: $vgpr10_vgpr11
	s_clause 0x1
	flat_load_b32 v5, v[12:13]
	flat_store_b64 v[12:13], v[6:7] offset:8
	s_wait_loadcnt_dscnt 0x1
	s_wait_xcnt 0x0
	v_cmpx_eq_u32_e32 1, v5
	s_cbranch_execz .LBB12_246
; %bb.245:                              ;   in Loop: Header=BB12_230 Depth=2
	flat_load_b32 v6, v[12:13] offset:4 scope:SCOPE_SYS
	s_xor_b32 s40, exec_lo, -1
	s_wait_loadcnt_dscnt 0x0
	v_ashrrev_i32_e32 v7, 31, v6
	s_delay_alu instid0(VALU_DEP_1)
	v_lshrrev_b64 v[10:11], 1, v[6:7]
.LBB12_246:                             ;   in Loop: Header=BB12_230 Depth=2
	s_wait_xcnt 0x0
	s_or_b32 exec_lo, exec_lo, s41
	s_delay_alu instid0(SALU_CYCLE_1)
	s_and_b32 s40, s40, exec_lo
	s_and_not1_saveexec_b32 s13, s13
	s_cbranch_execnz .LBB12_265
.LBB12_247:                             ;   in Loop: Header=BB12_230 Depth=2
	s_or_b32 exec_lo, exec_lo, s13
	s_and_saveexec_b32 s13, s40
	s_cbranch_execz .LBB12_249
.LBB12_248:                             ;   in Loop: Header=BB12_230 Depth=2
	scratch_load_b64 v[6:7], off, s33 offset:296 ; 8-byte Folded Reload
	s_wait_loadcnt 0x0
	v_mul_u64_e32 v[10:11], v[2:3], v[6:7]
.LBB12_249:                             ;   in Loop: Header=BB12_230 Depth=2
	s_wait_xcnt 0x0
	s_or_b32 exec_lo, exec_lo, s13
	scratch_load_b64 v[6:7], off, s33 offset:264 ; 8-byte Folded Reload
	v_and_b32_e32 v1, 0x2000, v126
	s_mov_b32 s13, exec_lo
	s_wait_loadcnt 0x0
	v_lshl_add_u64 v[6:7], v[10:11], 1, v[6:7]
	ds_store_b64 v0, v[6:7] offset:784
	s_wait_xcnt 0x0
	v_cmpx_ne_u32_e32 0, v1
	s_cbranch_execz .LBB12_251
; %bb.250:                              ;   in Loop: Header=BB12_230 Depth=2
	ds_load_b64 v[6:7], v0 offset:872
	s_wait_dscnt 0x0
	v_add_nc_u64_e32 v[6:7], 1, v[6:7]
	ds_store_b64 v0, v[6:7] offset:872
.LBB12_251:                             ;   in Loop: Header=BB12_230 Depth=2
	s_or_b32 exec_lo, exec_lo, s13
	v_mov_b64_e32 v[116:117], v[8:9]
.LBB12_252:                             ;   in Loop: Header=BB12_230 Depth=2
	s_or_b32 exec_lo, exec_lo, s27
	s_xor_b32 s13, s18, -1
	s_delay_alu instid0(SALU_CYCLE_1) | instskip(NEXT) | instid1(SALU_CYCLE_1)
	s_and_b32 s13, exec_lo, s13
	s_or_b32 s15, s13, s15
	s_and_saveexec_b32 s13, s2
	s_cbranch_execz .LBB12_273
; %bb.253:                              ;   in Loop: Header=BB12_230 Depth=2
	s_and_saveexec_b32 s18, s3
	s_delay_alu instid0(SALU_CYCLE_1)
	s_xor_b32 s18, exec_lo, s18
	s_cbranch_execz .LBB12_270
; %bb.254:                              ;   in Loop: Header=BB12_230 Depth=2
	s_and_saveexec_b32 s27, s6
	s_cbranch_execz .LBB12_269
; %bb.255:                              ;   in Loop: Header=BB12_230 Depth=2
	s_mov_b32 s41, exec_lo
	s_mov_b32 s40, exec_lo
	v_mbcnt_lo_u32_b32 v1, s41, 0
	global_wb scope:SCOPE_DEV
	s_wait_storecnt 0x0
	s_wait_loadcnt_dscnt 0x0
	global_inv scope:SCOPE_DEV
	v_cmpx_eq_u32_e32 0, v1
	s_cbranch_execz .LBB12_257
; %bb.256:                              ;   in Loop: Header=BB12_230 Depth=2
	s_bcnt1_i32_b32 s41, s41
	s_delay_alu instid0(SALU_CYCLE_1)
	v_mov_b32_e32 v2, s41
	s_wait_loadcnt 0x0
	ds_add_u64 v0, v[2:3]
	s_trap 2
.LBB12_257:                             ;   in Loop: Header=BB12_230 Depth=2
	s_or_b32 exec_lo, exec_lo, s40
	s_trap 2
	ds_load_b64 v[6:7], v0
	s_wait_dscnt 0x0
	v_add_nc_u64_e32 v[56:57], v[56:57], v[60:61]
	s_mov_b32 s40, exec_lo
	s_delay_alu instid0(VALU_DEP_1)
	v_cmpx_lt_u64_e64 v[6:7], v[56:57]
	s_cbranch_execz .LBB12_268
; %bb.258:                              ;   in Loop: Header=BB12_230 Depth=2
	s_mov_b32 s41, 0
	s_mov_b32 s76, 0
                                        ; implicit-def: $sgpr74
                                        ; implicit-def: $sgpr75
	s_branch .LBB12_260
.LBB12_259:                             ;   in Loop: Header=BB12_260 Depth=3
	s_or_b32 exec_lo, exec_lo, s78
	s_delay_alu instid0(SALU_CYCLE_1) | instskip(NEXT) | instid1(SALU_CYCLE_1)
	s_and_b32 s77, exec_lo, s79
	s_or_b32 s41, s77, s41
	s_and_not1_b32 s74, s74, exec_lo
	s_and_b32 s77, s75, exec_lo
	s_delay_alu instid0(SALU_CYCLE_1)
	s_or_b32 s74, s74, s77
	s_and_not1_b32 exec_lo, exec_lo, s41
	s_cbranch_execz .LBB12_266
.LBB12_260:                             ;   Parent Loop BB12_47 Depth=1
                                        ;     Parent Loop BB12_230 Depth=2
                                        ; =>    This Inner Loop Header: Depth=3
	s_add_co_i32 s76, s76, 1
	s_delay_alu instid0(SALU_CYCLE_1) | instskip(SKIP_1) | instid1(SALU_CYCLE_1)
	s_cmp_lg_u32 s76, 0x2710
	s_cselect_b32 s77, -1, 0
	s_and_b32 vcc_lo, exec_lo, s77
	s_cbranch_vccz .LBB12_262
; %bb.261:                              ;   in Loop: Header=BB12_260 Depth=3
	s_mov_b32 s79, -1
	s_or_b32 s75, s75, exec_lo
	s_and_saveexec_b32 s78, s77
	s_cbranch_execz .LBB12_259
	s_branch .LBB12_263
.LBB12_262:                             ;   in Loop: Header=BB12_260 Depth=3
	s_trap 2
	ds_load_b64 v[6:7], v0
	s_and_not1_b32 s77, s77, exec_lo
	s_mov_b32 s76, 0
	s_wait_loadcnt_dscnt 0x0
	flat_load_b32 v1, v[6:7] scope:SCOPE_SYS
	s_wait_loadcnt_dscnt 0x0
	global_inv scope:SCOPE_SYS
	v_cmp_eq_u32_e32 vcc_lo, 0, v1
	s_and_b32 s78, vcc_lo, exec_lo
	s_delay_alu instid0(SALU_CYCLE_1)
	s_or_b32 s77, s77, s78
	s_mov_b32 s79, -1
	s_or_b32 s75, s75, exec_lo
	s_wait_xcnt 0x0
	s_and_saveexec_b32 s78, s77
	s_cbranch_execz .LBB12_259
.LBB12_263:                             ;   in Loop: Header=BB12_260 Depth=3
	s_sleep 1
	s_trap 2
	ds_load_b64 v[6:7], v0
	s_wait_dscnt 0x0
	s_and_not1_b32 s75, s75, exec_lo
	v_cmp_ge_u64_e32 vcc_lo, v[6:7], v[56:57]
	s_or_not1_b32 s79, vcc_lo, exec_lo
	s_branch .LBB12_259
.LBB12_264:                             ;   in Loop: Header=BB12_230 Depth=2
	s_and_not1_saveexec_b32 s13, s13
	s_cbranch_execz .LBB12_247
.LBB12_265:                             ;   in Loop: Header=BB12_230 Depth=2
	s_or_b32 s40, s40, exec_lo
	s_or_b32 exec_lo, exec_lo, s13
	s_and_saveexec_b32 s13, s40
	s_cbranch_execnz .LBB12_248
	s_branch .LBB12_249
.LBB12_266:                             ;   in Loop: Header=BB12_230 Depth=2
	s_or_b32 exec_lo, exec_lo, s41
	s_and_saveexec_b32 s41, s74
	s_delay_alu instid0(SALU_CYCLE_1)
	s_xor_b32 s41, exec_lo, s41
	s_cbranch_execz .LBB12_268
; %bb.267:                              ;   in Loop: Header=BB12_230 Depth=2
	v_mov_b32_e32 v1, 1
	ds_store_b32 v0, v1
	s_trap 2
.LBB12_268:                             ;   in Loop: Header=BB12_230 Depth=2
	s_or_b32 exec_lo, exec_lo, s40
	;;#ASMSTART
	s_wakeup
	;;#ASMEND
.LBB12_269:                             ;   in Loop: Header=BB12_230 Depth=2
	s_or_b32 exec_lo, exec_lo, s27
.LBB12_270:                             ;   in Loop: Header=BB12_230 Depth=2
	s_and_not1_saveexec_b32 s18, s18
	s_cbranch_execz .LBB12_272
; %bb.271:                              ;   in Loop: Header=BB12_230 Depth=2
	global_wb scope:SCOPE_DEV
	s_wait_storecnt 0x0
	s_wait_loadcnt_dscnt 0x0
	global_inv scope:SCOPE_DEV
	s_barrier_signal -1
	s_barrier_wait -1
.LBB12_272:                             ;   in Loop: Header=BB12_230 Depth=2
	s_or_b32 exec_lo, exec_lo, s18
.LBB12_273:                             ;   in Loop: Header=BB12_230 Depth=2
	s_delay_alu instid0(SALU_CYCLE_1) | instskip(SKIP_2) | instid1(SALU_CYCLE_1)
	s_or_b32 exec_lo, exec_lo, s13
	v_and_b32_e32 v1, 16, v126
	s_and_saveexec_b32 s13, s10
	s_xor_b32 s18, exec_lo, s13
	s_cbranch_execz .LBB12_277
; %bb.274:                              ;   in Loop: Header=BB12_230 Depth=2
	s_trap 2
	ds_load_b32 v1, v0
	v_cmp_lt_i32_e32 vcc_lo, 0, v0
	s_wait_dscnt 0x0
	v_readfirstlane_b32 s13, v1
	v_and_b32_e32 v1, 16, v126
	s_cmp_eq_u32 s13, 0
	s_delay_alu instid0(VALU_DEP_1) | instskip(SKIP_3) | instid1(SALU_CYCLE_1)
	v_cmp_ne_u32_e64 s13, 0, v1
	s_cselect_b32 s27, -1, 0
	v_and_b32_e32 v1, 16, v126
	s_and_b32 s27, vcc_lo, s27
	s_and_b32 s27, s13, s27
	s_delay_alu instid0(SALU_CYCLE_1)
	s_and_saveexec_b32 s13, s27
	s_cbranch_execz .LBB12_276
; %bb.275:                              ;   in Loop: Header=BB12_230 Depth=2
	v_mov_b32_e32 v1, 1
	global_wb scope:SCOPE_SYS
	s_wait_loadcnt 0x0
	s_wait_storecnt 0x0
	global_inv scope:SCOPE_SYS
.LBB12_276:                             ;   in Loop: Header=BB12_230 Depth=2
	s_or_b32 exec_lo, exec_lo, s13
.LBB12_277:                             ;   in Loop: Header=BB12_230 Depth=2
	s_and_not1_saveexec_b32 s13, s18
	s_cbranch_execz .LBB12_296
; %bb.278:                              ;   in Loop: Header=BB12_230 Depth=2
	s_and_saveexec_b32 s18, s3
	s_delay_alu instid0(SALU_CYCLE_1)
	s_xor_b32 s18, exec_lo, s18
	s_cbranch_execz .LBB12_293
; %bb.279:                              ;   in Loop: Header=BB12_230 Depth=2
	s_and_saveexec_b32 s27, s6
	s_cbranch_execz .LBB12_292
; %bb.280:                              ;   in Loop: Header=BB12_230 Depth=2
	s_mov_b32 s41, exec_lo
	s_mov_b32 s40, exec_lo
	v_mbcnt_lo_u32_b32 v2, s41, 0
	;;#ASMSTART
	s_waitcnt lgkmcnt(0) vmcnt(0)
	;;#ASMEND
	s_delay_alu instid0(VALU_DEP_1)
	v_cmpx_eq_u32_e32 0, v2
	s_cbranch_execz .LBB12_282
; %bb.281:                              ;   in Loop: Header=BB12_230 Depth=2
	s_bcnt1_i32_b32 s41, s41
	s_delay_alu instid0(SALU_CYCLE_1)
	v_mov_b32_e32 v2, s41
	s_wait_storecnt 0x0
	s_wait_loadcnt_dscnt 0x0
	ds_add_u64 v0, v[2:3]
	s_trap 2
.LBB12_282:                             ;   in Loop: Header=BB12_230 Depth=2
	s_or_b32 exec_lo, exec_lo, s40
	s_trap 2
	ds_load_b64 v[6:7], v0
	s_wait_dscnt 0x0
	v_add_nc_u64_e32 v[56:57], v[56:57], v[60:61]
	s_mov_b32 s40, exec_lo
	s_delay_alu instid0(VALU_DEP_1)
	v_cmpx_lt_u64_e64 v[6:7], v[56:57]
	s_cbranch_execz .LBB12_291
; %bb.283:                              ;   in Loop: Header=BB12_230 Depth=2
	s_mov_b32 s41, 0
	s_mov_b32 s76, 0
                                        ; implicit-def: $sgpr74
                                        ; implicit-def: $sgpr75
	s_branch .LBB12_285
.LBB12_284:                             ;   in Loop: Header=BB12_285 Depth=3
	s_or_b32 exec_lo, exec_lo, s78
	s_delay_alu instid0(SALU_CYCLE_1) | instskip(NEXT) | instid1(SALU_CYCLE_1)
	s_and_b32 s77, exec_lo, s79
	s_or_b32 s41, s77, s41
	s_and_not1_b32 s74, s74, exec_lo
	s_and_b32 s77, s75, exec_lo
	s_delay_alu instid0(SALU_CYCLE_1)
	s_or_b32 s74, s74, s77
	s_and_not1_b32 exec_lo, exec_lo, s41
	s_cbranch_execz .LBB12_289
.LBB12_285:                             ;   Parent Loop BB12_47 Depth=1
                                        ;     Parent Loop BB12_230 Depth=2
                                        ; =>    This Inner Loop Header: Depth=3
	s_add_co_i32 s76, s76, 1
	s_delay_alu instid0(SALU_CYCLE_1) | instskip(SKIP_1) | instid1(SALU_CYCLE_1)
	s_cmp_lg_u32 s76, 0x2710
	s_cselect_b32 s77, -1, 0
	s_and_b32 vcc_lo, exec_lo, s77
	s_cbranch_vccz .LBB12_287
; %bb.286:                              ;   in Loop: Header=BB12_285 Depth=3
	s_mov_b32 s79, -1
	s_or_b32 s75, s75, exec_lo
	s_and_saveexec_b32 s78, s77
	s_cbranch_execz .LBB12_284
	s_branch .LBB12_288
.LBB12_287:                             ;   in Loop: Header=BB12_285 Depth=3
	s_trap 2
	ds_load_b64 v[6:7], v0
	s_and_not1_b32 s77, s77, exec_lo
	s_mov_b32 s76, 0
	s_wait_storecnt 0x0
	s_wait_loadcnt_dscnt 0x0
	flat_load_b32 v2, v[6:7] scope:SCOPE_SYS
	s_wait_loadcnt_dscnt 0x0
	global_inv scope:SCOPE_SYS
	v_cmp_eq_u32_e32 vcc_lo, 0, v2
	s_and_b32 s78, vcc_lo, exec_lo
	s_delay_alu instid0(SALU_CYCLE_1)
	s_or_b32 s77, s77, s78
	s_mov_b32 s79, -1
	s_or_b32 s75, s75, exec_lo
	s_wait_xcnt 0x0
	s_and_saveexec_b32 s78, s77
	s_cbranch_execz .LBB12_284
.LBB12_288:                             ;   in Loop: Header=BB12_285 Depth=3
	s_sleep 1
	s_trap 2
	ds_load_b64 v[6:7], v0
	s_wait_dscnt 0x0
	s_and_not1_b32 s75, s75, exec_lo
	v_cmp_ge_u64_e32 vcc_lo, v[6:7], v[56:57]
	s_or_not1_b32 s79, vcc_lo, exec_lo
	s_branch .LBB12_284
.LBB12_289:                             ;   in Loop: Header=BB12_230 Depth=2
	s_or_b32 exec_lo, exec_lo, s41
	s_and_saveexec_b32 s41, s74
	s_delay_alu instid0(SALU_CYCLE_1)
	s_xor_b32 s41, exec_lo, s41
	s_cbranch_execz .LBB12_291
; %bb.290:                              ;   in Loop: Header=BB12_230 Depth=2
	v_mov_b32_e32 v2, 1
	ds_store_b32 v0, v2
	s_trap 2
.LBB12_291:                             ;   in Loop: Header=BB12_230 Depth=2
	s_or_b32 exec_lo, exec_lo, s40
	;;#ASMSTART
	s_wakeup
	;;#ASMEND
.LBB12_292:                             ;   in Loop: Header=BB12_230 Depth=2
	s_or_b32 exec_lo, exec_lo, s27
.LBB12_293:                             ;   in Loop: Header=BB12_230 Depth=2
	s_and_not1_saveexec_b32 s18, s18
	s_cbranch_execz .LBB12_295
; %bb.294:                              ;   in Loop: Header=BB12_230 Depth=2
	;;#ASMSTART
	s_waitcnt lgkmcnt(0) vmcnt(0)
	;;#ASMEND
	s_barrier_signal -1
	s_barrier_wait -1
.LBB12_295:                             ;   in Loop: Header=BB12_230 Depth=2
	s_or_b32 exec_lo, exec_lo, s18
.LBB12_296:                             ;   in Loop: Header=BB12_230 Depth=2
	s_delay_alu instid0(SALU_CYCLE_1) | instskip(NEXT) | instid1(SALU_CYCLE_1)
	s_or_b32 exec_lo, exec_lo, s13
	s_mov_b32 s13, exec_lo
	v_cmpx_ne_u32_e32 0, v1
	s_cbranch_execz .LBB12_229
; %bb.297:                              ;   in Loop: Header=BB12_230 Depth=2
	s_and_saveexec_b32 s18, s5
	s_cbranch_execz .LBB12_228
; %bb.298:                              ;   in Loop: Header=BB12_230 Depth=2
	scratch_load_b64 v[6:7], off, s33 offset:288 ; 8-byte Folded Reload
	v_mov_b32_e32 v1, 1
	global_wb scope:SCOPE_SYS
	s_wait_storecnt 0x0
	s_wait_xcnt 0x0
	s_wait_loadcnt_dscnt 0x0
	flat_store_b32 v[6:7], v1 scope:SCOPE_SYS
	s_branch .LBB12_228
.LBB12_299:                             ;   in Loop: Header=BB12_47 Depth=1
	s_or_b32 exec_lo, exec_lo, s15
.LBB12_300:                             ;   in Loop: Header=BB12_47 Depth=1
	s_delay_alu instid0(SALU_CYCLE_1) | instskip(NEXT) | instid1(SALU_CYCLE_1)
	s_or_b32 exec_lo, exec_lo, s14
	s_and_not1_b32 vcc_lo, exec_lo, s46
	s_cbranch_vccnz .LBB12_1244
; %bb.301:                              ;   in Loop: Header=BB12_47 Depth=1
	s_mov_b32 s18, 2
	s_branch .LBB12_304
.LBB12_302:                             ;   in Loop: Header=BB12_304 Depth=2
	s_or_b32 exec_lo, exec_lo, s15
.LBB12_303:                             ;   in Loop: Header=BB12_304 Depth=2
	s_delay_alu instid0(SALU_CYCLE_1) | instskip(SKIP_1) | instid1(SALU_CYCLE_1)
	s_or_b32 exec_lo, exec_lo, s14
	s_add_co_i32 s18, s18, 1
	s_cmp_eq_u32 s18, s16
	s_cbranch_scc1 .LBB12_1244
.LBB12_304:                             ;   Parent Loop BB12_47 Depth=1
                                        ; =>  This Loop Header: Depth=2
                                        ;       Child Loop BB12_307 Depth 3
                                        ;         Child Loop BB12_315 Depth 4
                                        ;         Child Loop BB12_343 Depth 4
	;; [unrolled: 1-line block ×5, first 2 shown]
                                        ;           Child Loop BB12_788 Depth 5
                                        ;           Child Loop BB12_825 Depth 5
                                        ;         Child Loop BB12_902 Depth 4
                                        ;         Child Loop BB12_1105 Depth 4
                                        ;           Child Loop BB12_1106 Depth 5
                                        ;           Child Loop BB12_1115 Depth 5
                                        ;         Child Loop BB12_1134 Depth 4
                                        ;         Child Loop BB12_1153 Depth 4
                                        ;       Child Loop BB12_1172 Depth 3
                                        ;         Child Loop BB12_1178 Depth 4
                                        ;         Child Loop BB12_1206 Depth 4
	;; [unrolled: 1-line block ×3, first 2 shown]
	s_clause 0x1
	scratch_load_b64 v[4:5], off, s33 offset:352
	scratch_load_b64 v[0:1], off, s33 offset:344
	s_sub_co_i32 s13, s44, s18
	s_mov_b32 s74, 0
	s_cmp_ge_i32 s13, s16
	v_mov_b32_e32 v28, 0
	s_cselect_b32 s14, s16, 0
	s_delay_alu instid0(SALU_CYCLE_1) | instskip(NEXT) | instid1(SALU_CYCLE_1)
	s_sub_co_i32 s14, s13, s14
	s_ashr_i32 s15, s14, 31
	s_wait_loadcnt 0x1
	v_mul_u64_e32 v[44:45], s[14:15], v[4:5]
	s_wait_loadcnt 0x0
	s_delay_alu instid0(VALU_DEP_1) | instskip(NEXT) | instid1(VALU_DEP_1)
	v_sub_nc_u64_e32 v[0:1], v[0:1], v[44:45]
	v_min_i64 v[4:5], v[4:5], v[0:1]
	s_delay_alu instid0(VALU_DEP_1) | instskip(SKIP_1) | instid1(VALU_DEP_2)
	v_max_i32_e32 v30, 0, v4
	v_cmp_lt_i32_e32 vcc_lo, 0, v4
	v_add_nc_u32_e32 v0, 31, v30
	s_and_b32 s13, s63, vcc_lo
	s_delay_alu instid0(VALU_DEP_1) | instskip(NEXT) | instid1(VALU_DEP_1)
	v_lshrrev_b32_e32 v0, 1, v0
	v_and_b32_e32 v1, 0x3ffffff0, v0
	s_delay_alu instid0(VALU_DEP_1)
	v_dual_mov_b32 v0, 0 :: v_dual_max_i32 v4, s45, v1
	s_wait_xcnt 0x0
	s_and_saveexec_b32 s27, s13
	s_cbranch_execz .LBB12_1169
; %bb.305:                              ;   in Loop: Header=BB12_304 Depth=2
	v_mov_b32_e32 v28, 0
	s_mov_b32 s76, 1
	s_mov_b32 s75, -1
	scratch_store_b64 off, v[44:45], s33 offset:360 ; 8-byte Folded Spill
	s_branch .LBB12_307
.LBB12_306:                             ;   in Loop: Header=BB12_307 Depth=3
	s_wait_xcnt 0x0
	s_or_b32 exec_lo, exec_lo, s13
	v_dual_add_nc_u32 v28, v4, v28 :: v_dual_mov_b32 v0, s76
	s_xor_b32 s13, s75, -1
	s_mov_b32 s75, 0
	s_mov_b32 s76, 2
	s_delay_alu instid0(VALU_DEP_1) | instskip(SKIP_1) | instid1(SALU_CYCLE_1)
	v_cmp_ge_i32_e32 vcc_lo, v28, v30
	s_or_b32 s13, s13, vcc_lo
	s_and_b32 s13, exec_lo, s13
	s_delay_alu instid0(SALU_CYCLE_1) | instskip(NEXT) | instid1(SALU_CYCLE_1)
	s_or_b32 s74, s13, s74
	s_and_not1_b32 exec_lo, exec_lo, s74
	s_cbranch_execz .LBB12_1168
.LBB12_307:                             ;   Parent Loop BB12_47 Depth=1
                                        ;     Parent Loop BB12_304 Depth=2
                                        ; =>    This Loop Header: Depth=3
                                        ;         Child Loop BB12_315 Depth 4
                                        ;         Child Loop BB12_343 Depth 4
	;; [unrolled: 1-line block ×5, first 2 shown]
                                        ;           Child Loop BB12_788 Depth 5
                                        ;           Child Loop BB12_825 Depth 5
                                        ;         Child Loop BB12_902 Depth 4
                                        ;         Child Loop BB12_1105 Depth 4
                                        ;           Child Loop BB12_1106 Depth 5
                                        ;           Child Loop BB12_1115 Depth 5
                                        ;         Child Loop BB12_1134 Depth 4
                                        ;         Child Loop BB12_1153 Depth 4
	s_wait_xcnt 0x0
	s_and_saveexec_b32 s13, s0
	s_cbranch_execz .LBB12_309
; %bb.308:                              ;   in Loop: Header=BB12_307 Depth=3
	s_trap 2
	scratch_load_b64 v[6:7], off, s33 offset:320 ; 8-byte Folded Reload
	ds_load_b64 v[0:1], v0
	v_ashrrev_i32_e32 v29, 31, v28
	s_wait_loadcnt_dscnt 0x0
	v_lshl_add_u64 v[0:1], v[6:7], 1, v[0:1]
	s_delay_alu instid0(VALU_DEP_1) | instskip(NEXT) | instid1(VALU_DEP_1)
	v_lshl_add_u64 v[0:1], v[44:45], 1, v[0:1]
	v_lshl_add_u64 v[0:1], v[28:29], 1, v[0:1]
	ds_store_b64 v0, v[0:1]
	v_mov_b64_e32 v[0:1], 0
	ds_store_b64 v0, v[0:1]
.LBB12_309:                             ;   in Loop: Header=BB12_307 Depth=3
	s_wait_xcnt 0x0
	s_or_b32 exec_lo, exec_lo, s13
	v_dual_sub_nc_u32 v0, v30, v28 :: v_dual_bitop2_b32 v1, 12, v126 bitop3:0x40
	s_mov_b32 s14, exec_lo
	s_delay_alu instid0(VALU_DEP_1) | instskip(NEXT) | instid1(VALU_DEP_2)
	v_min_i32_e32 v4, v4, v0
	v_cmpx_ne_u32_e32 0, v1
	s_cbranch_execz .LBB12_335
; %bb.310:                              ;   in Loop: Header=BB12_307 Depth=3
	v_and_b32_e32 v2, 8, v126
	v_add_nc_u64_e32 v[0:1], 2, v[116:117]
	s_mov_b32 s15, exec_lo
	s_wait_dscnt 0x1
	s_delay_alu instid0(VALU_DEP_2) | instskip(NEXT) | instid1(VALU_DEP_1)
	v_add_nc_u64_e32 v[6:7], v[58:59], v[2:3]
	v_cmpx_lt_u64_e64 v[6:7], v[0:1]
	s_cbranch_execz .LBB12_322
; %bb.311:                              ;   in Loop: Header=BB12_307 Depth=3
	v_and_b32_e32 v5, 64, v126
	s_mov_b32 s40, 0
	s_mov_b32 s79, 0
                                        ; implicit-def: $sgpr41
                                        ; implicit-def: $sgpr77
                                        ; implicit-def: $sgpr78
	s_delay_alu instid0(VALU_DEP_1)
	v_cmp_eq_u32_e32 vcc_lo, 0, v5
	s_branch .LBB12_315
.LBB12_312:                             ;   in Loop: Header=BB12_315 Depth=4
	s_wait_loadcnt_dscnt 0x0
	v_add_nc_u64_e32 v[6:7], v[58:59], v[2:3]
	s_or_b32 s90, s90, exec_lo
	s_delay_alu instid0(VALU_DEP_1)
	v_cmp_ge_u64_e64 s13, v[6:7], v[0:1]
	s_or_not1_b32 s89, s13, exec_lo
.LBB12_313:                             ;   in Loop: Header=BB12_315 Depth=4
	s_or_b32 exec_lo, exec_lo, s92
	s_delay_alu instid0(SALU_CYCLE_1)
	s_and_not1_b32 s13, s78, exec_lo
	s_and_b32 s78, s90, exec_lo
	s_and_not1_b32 s77, s77, exec_lo
	s_and_b32 s89, s89, exec_lo
	s_or_b32 s78, s13, s78
	s_or_b32 s77, s77, s89
.LBB12_314:                             ;   in Loop: Header=BB12_315 Depth=4
	s_or_b32 exec_lo, exec_lo, s88
	s_delay_alu instid0(SALU_CYCLE_1) | instskip(NEXT) | instid1(SALU_CYCLE_1)
	s_and_b32 s13, exec_lo, s77
	s_or_b32 s40, s13, s40
	s_and_not1_b32 s13, s41, exec_lo
	s_and_b32 s41, s78, exec_lo
	s_delay_alu instid0(SALU_CYCLE_1)
	s_or_b32 s41, s13, s41
	s_and_not1_b32 exec_lo, exec_lo, s40
	s_cbranch_execz .LBB12_319
.LBB12_315:                             ;   Parent Loop BB12_47 Depth=1
                                        ;     Parent Loop BB12_304 Depth=2
                                        ;       Parent Loop BB12_307 Depth=3
                                        ; =>      This Inner Loop Header: Depth=4
	s_sleep 1
	s_wait_loadcnt_dscnt 0x0
	flat_load_b64 v[58:59], v[40:41] scope:SCOPE_SYS
	s_or_b32 s78, s78, exec_lo
	s_or_b32 s77, s77, exec_lo
                                        ; implicit-def: $vgpr5
	s_wait_xcnt 0x0
	s_and_saveexec_b32 s88, vcc_lo
	s_cbranch_execz .LBB12_314
; %bb.316:                              ;   in Loop: Header=BB12_315 Depth=4
	s_cmp_lt_i32 s79, 0x270f
	s_mov_b32 s89, -1
	s_cselect_b32 s91, -1, 0
	s_cmp_gt_i32 s79, 0x270e
	s_cbranch_scc0 .LBB12_318
; %bb.317:                              ;   in Loop: Header=BB12_315 Depth=4
	s_trap 2
	ds_load_b64 v[6:7], v0
	s_and_not1_b32 s79, s91, exec_lo
	s_mov_b32 s90, 0
	s_wait_storecnt 0x0
	s_wait_loadcnt_dscnt 0x0
	flat_load_b32 v5, v[6:7] scope:SCOPE_SYS
	s_wait_loadcnt_dscnt 0x0
	global_inv scope:SCOPE_SYS
	v_cmp_eq_u32_e64 s13, 0, v5
	s_and_b32 s13, s13, exec_lo
	s_delay_alu instid0(SALU_CYCLE_1)
	s_or_b32 s91, s79, s13
	s_mov_b32 s79, 0
	s_wait_xcnt 0x0
	s_and_saveexec_b32 s92, s91
	s_cbranch_execz .LBB12_313
	s_branch .LBB12_312
.LBB12_318:                             ;   in Loop: Header=BB12_315 Depth=4
	s_add_co_i32 s79, s79, 1
	s_mov_b32 s90, -1
                                        ; implicit-def: $vgpr5
	s_and_saveexec_b32 s92, s91
	s_cbranch_execz .LBB12_313
	s_branch .LBB12_312
.LBB12_319:                             ;   in Loop: Header=BB12_307 Depth=3
	s_or_b32 exec_lo, exec_lo, s40
	s_xor_b32 s13, s41, -1
	s_delay_alu instid0(SALU_CYCLE_1) | instskip(NEXT) | instid1(SALU_CYCLE_1)
	s_and_saveexec_b32 s40, s13
	s_xor_b32 s13, exec_lo, s40
	s_cbranch_execz .LBB12_321
; %bb.320:                              ;   in Loop: Header=BB12_307 Depth=3
	v_or_b32_e32 v126, 64, v126
	s_wait_storecnt 0x0
	s_wait_loadcnt_dscnt 0x0
	ds_store_b32 v0, v5
	s_trap 2
.LBB12_321:                             ;   in Loop: Header=BB12_307 Depth=3
	s_or_b32 exec_lo, exec_lo, s13
.LBB12_322:                             ;   in Loop: Header=BB12_307 Depth=3
	s_delay_alu instid0(SALU_CYCLE_1) | instskip(SKIP_3) | instid1(VALU_DEP_1)
	s_or_b32 exec_lo, exec_lo, s15
	v_and_b32_e32 v5, 0x108, v126
	s_mov_b32 s13, exec_lo
	;;#ASMSTART
	s_wakeup
	;;#ASMEND
                                        ; implicit-def: $vgpr8_vgpr9
	v_cmpx_ne_u32_e32 0x108, v5
	s_xor_b32 s13, exec_lo, s13
	s_cbranch_execz .LBB12_324
; %bb.323:                              ;   in Loop: Header=BB12_307 Depth=3
	s_wait_loadcnt 0x0
	v_dual_mov_b32 v9, v3 :: v_dual_bitop2_b32 v8, 7, v116 bitop3:0x40
                                        ; implicit-def: $vgpr116_vgpr117
.LBB12_324:                             ;   in Loop: Header=BB12_307 Depth=3
	s_and_not1_saveexec_b32 s13, s13
	s_cbranch_execz .LBB12_326
; %bb.325:                              ;   in Loop: Header=BB12_307 Depth=3
	scratch_load_b128 v[10:13], off, s33 offset:272 ; 16-byte Folded Reload
	s_wait_loadcnt 0x1
	v_dual_mov_b32 v9, v3 :: v_dual_bitop2_b32 v8, 7, v116 bitop3:0x40
	v_ashrrev_i32_e32 v5, 31, v4
	s_wait_loadcnt 0x0
	s_delay_alu instid0(VALU_DEP_2) | instskip(NEXT) | instid1(VALU_DEP_2)
	v_mad_nc_u64_u32 v[6:7], v8, 24, v[10:11]
	v_lshlrev_b64_e32 v[10:11], 1, v[4:5]
	flat_store_b64 v[6:7], v[10:11] offset:8
.LBB12_326:                             ;   in Loop: Header=BB12_307 Depth=3
	s_wait_xcnt 0x0
	s_or_b32 exec_lo, exec_lo, s13
	v_and_b32_e32 v5, 0x100, v126
	s_mov_b32 s13, -1
	s_mov_b32 s15, exec_lo
                                        ; implicit-def: $vgpr10_vgpr11
	s_delay_alu instid0(VALU_DEP_1)
	v_cmpx_ne_u32_e32 0, v5
	s_cbranch_execz .LBB12_330
; %bb.327:                              ;   in Loop: Header=BB12_307 Depth=3
	scratch_load_b128 v[10:13], off, s33 offset:272 ; 16-byte Folded Reload
	s_mov_b32 s40, exec_lo
	s_wait_loadcnt 0x0
	v_mad_nc_u64_u32 v[12:13], v8, 24, v[10:11]
                                        ; implicit-def: $vgpr10_vgpr11
	s_delay_alu instid0(VALU_DEP_1)
	v_mad_u32 v13, v9, 24, v13
	flat_load_b32 v5, v[12:13]
	s_wait_loadcnt_dscnt 0x0
	v_cmp_ne_u32_e32 vcc_lo, 1, v5
	s_wait_xcnt 0x0
	v_cmpx_eq_u32_e32 1, v5
	s_cbranch_execz .LBB12_329
; %bb.328:                              ;   in Loop: Header=BB12_307 Depth=3
	flat_load_b32 v6, v[12:13] offset:4 scope:SCOPE_SYS
	s_wait_loadcnt_dscnt 0x0
	v_ashrrev_i32_e32 v7, 31, v6
	s_delay_alu instid0(VALU_DEP_1)
	v_lshrrev_b64 v[10:11], 1, v[6:7]
.LBB12_329:                             ;   in Loop: Header=BB12_307 Depth=3
	s_wait_xcnt 0x0
	s_or_b32 exec_lo, exec_lo, s40
	s_delay_alu instid0(SALU_CYCLE_1)
	s_or_not1_b32 s13, vcc_lo, exec_lo
.LBB12_330:                             ;   in Loop: Header=BB12_307 Depth=3
	s_or_b32 exec_lo, exec_lo, s15
	s_and_saveexec_b32 s15, s13
	s_cbranch_execz .LBB12_332
; %bb.331:                              ;   in Loop: Header=BB12_307 Depth=3
	scratch_load_b64 v[6:7], off, s33 offset:296 ; 8-byte Folded Reload
	s_wait_loadcnt 0x0
	v_mul_u64_e32 v[10:11], v[8:9], v[6:7]
.LBB12_332:                             ;   in Loop: Header=BB12_307 Depth=3
	s_wait_xcnt 0x0
	s_or_b32 exec_lo, exec_lo, s15
	scratch_load_b64 v[6:7], off, s33 offset:264 ; 8-byte Folded Reload
	v_cmp_eq_u32_e32 vcc_lo, 0, v2
	v_mov_b32_e32 v2, 0x90
	v_and_b32_e32 v5, 0x2000, v126
	s_mov_b32 s13, exec_lo
	s_delay_alu instid0(VALU_DEP_2) | instskip(NEXT) | instid1(VALU_DEP_1)
	v_cndmask_b32_e32 v2, 0xc8, v2, vcc_lo
	v_add_nc_u32_e32 v2, v0, v2
	s_wait_loadcnt 0x0
	v_lshl_add_u64 v[6:7], v[10:11], 1, v[6:7]
	ds_store_b64 v2, v[6:7] offset:584
	s_wait_xcnt 0x0
	v_cmpx_ne_u32_e32 0, v5
	s_cbranch_execz .LBB12_334
; %bb.333:                              ;   in Loop: Header=BB12_307 Depth=3
	ds_load_b64 v[6:7], v0 offset:872
	s_wait_dscnt 0x0
	v_add_nc_u64_e32 v[6:7], 1, v[6:7]
	ds_store_b64 v0, v[6:7] offset:872
.LBB12_334:                             ;   in Loop: Header=BB12_307 Depth=3
	s_or_b32 exec_lo, exec_lo, s13
	v_mov_b64_e32 v[116:117], v[0:1]
.LBB12_335:                             ;   in Loop: Header=BB12_307 Depth=3
	s_or_b32 exec_lo, exec_lo, s14
	s_and_saveexec_b32 s13, s2
	s_cbranch_execz .LBB12_354
; %bb.336:                              ;   in Loop: Header=BB12_307 Depth=3
	s_and_saveexec_b32 s14, s3
	s_delay_alu instid0(SALU_CYCLE_1)
	s_xor_b32 s14, exec_lo, s14
	s_cbranch_execz .LBB12_351
; %bb.337:                              ;   in Loop: Header=BB12_307 Depth=3
	s_and_saveexec_b32 s15, s6
	s_cbranch_execz .LBB12_350
; %bb.338:                              ;   in Loop: Header=BB12_307 Depth=3
	s_mov_b32 s41, exec_lo
	s_mov_b32 s40, exec_lo
	v_mbcnt_lo_u32_b32 v0, s41, 0
	global_wb scope:SCOPE_DEV
	s_wait_storecnt_dscnt 0x0
	global_inv scope:SCOPE_DEV
	v_cmpx_eq_u32_e32 0, v0
	s_cbranch_execz .LBB12_340
; %bb.339:                              ;   in Loop: Header=BB12_307 Depth=3
	s_bcnt1_i32_b32 s41, s41
	s_delay_alu instid0(SALU_CYCLE_1)
	v_mov_b32_e32 v2, s41
	s_wait_loadcnt 0x0
	ds_add_u64 v0, v[2:3]
	s_trap 2
.LBB12_340:                             ;   in Loop: Header=BB12_307 Depth=3
	s_or_b32 exec_lo, exec_lo, s40
	s_trap 2
	ds_load_b64 v[0:1], v0
	s_wait_dscnt 0x0
	v_add_nc_u64_e32 v[56:57], v[56:57], v[60:61]
	s_mov_b32 s40, exec_lo
	s_delay_alu instid0(VALU_DEP_1)
	v_cmpx_lt_u64_e64 v[0:1], v[56:57]
	s_cbranch_execz .LBB12_349
; %bb.341:                              ;   in Loop: Header=BB12_307 Depth=3
	s_mov_b32 s41, 0
	s_mov_b32 s79, 0
                                        ; implicit-def: $sgpr77
                                        ; implicit-def: $sgpr78
	s_branch .LBB12_343
.LBB12_342:                             ;   in Loop: Header=BB12_343 Depth=4
	s_or_b32 exec_lo, exec_lo, s89
	s_delay_alu instid0(SALU_CYCLE_1) | instskip(NEXT) | instid1(SALU_CYCLE_1)
	s_and_b32 s88, exec_lo, s90
	s_or_b32 s41, s88, s41
	s_and_not1_b32 s77, s77, exec_lo
	s_and_b32 s88, s78, exec_lo
	s_delay_alu instid0(SALU_CYCLE_1)
	s_or_b32 s77, s77, s88
	s_and_not1_b32 exec_lo, exec_lo, s41
	s_cbranch_execz .LBB12_347
.LBB12_343:                             ;   Parent Loop BB12_47 Depth=1
                                        ;     Parent Loop BB12_304 Depth=2
                                        ;       Parent Loop BB12_307 Depth=3
                                        ; =>      This Inner Loop Header: Depth=4
	s_add_co_i32 s79, s79, 1
	s_delay_alu instid0(SALU_CYCLE_1) | instskip(SKIP_1) | instid1(SALU_CYCLE_1)
	s_cmp_lg_u32 s79, 0x2710
	s_cselect_b32 s88, -1, 0
	s_and_b32 vcc_lo, exec_lo, s88
	s_cbranch_vccz .LBB12_345
; %bb.344:                              ;   in Loop: Header=BB12_343 Depth=4
	s_mov_b32 s90, -1
	s_or_b32 s78, s78, exec_lo
	s_and_saveexec_b32 s89, s88
	s_cbranch_execz .LBB12_342
	s_branch .LBB12_346
.LBB12_345:                             ;   in Loop: Header=BB12_343 Depth=4
	s_trap 2
	ds_load_b64 v[0:1], v0
	s_and_not1_b32 s88, s88, exec_lo
	s_mov_b32 s79, 0
	s_wait_loadcnt_dscnt 0x0
	flat_load_b32 v0, v[0:1] scope:SCOPE_SYS
	s_wait_loadcnt_dscnt 0x0
	global_inv scope:SCOPE_SYS
	v_cmp_eq_u32_e32 vcc_lo, 0, v0
	s_and_b32 s89, vcc_lo, exec_lo
	s_delay_alu instid0(SALU_CYCLE_1)
	s_or_b32 s88, s88, s89
	s_mov_b32 s90, -1
	s_or_b32 s78, s78, exec_lo
	s_wait_xcnt 0x0
	s_and_saveexec_b32 s89, s88
	s_cbranch_execz .LBB12_342
.LBB12_346:                             ;   in Loop: Header=BB12_343 Depth=4
	s_sleep 1
	s_trap 2
	ds_load_b64 v[0:1], v0
	s_wait_dscnt 0x0
	s_and_not1_b32 s78, s78, exec_lo
	v_cmp_ge_u64_e32 vcc_lo, v[0:1], v[56:57]
	s_or_not1_b32 s90, vcc_lo, exec_lo
	s_branch .LBB12_342
.LBB12_347:                             ;   in Loop: Header=BB12_307 Depth=3
	s_or_b32 exec_lo, exec_lo, s41
	s_and_saveexec_b32 s41, s77
	s_delay_alu instid0(SALU_CYCLE_1)
	s_xor_b32 s41, exec_lo, s41
	s_cbranch_execz .LBB12_349
; %bb.348:                              ;   in Loop: Header=BB12_307 Depth=3
	v_mov_b32_e32 v0, 1
	ds_store_b32 v0, v0
	s_trap 2
.LBB12_349:                             ;   in Loop: Header=BB12_307 Depth=3
	s_or_b32 exec_lo, exec_lo, s40
	;;#ASMSTART
	s_wakeup
	;;#ASMEND
.LBB12_350:                             ;   in Loop: Header=BB12_307 Depth=3
	s_or_b32 exec_lo, exec_lo, s15
.LBB12_351:                             ;   in Loop: Header=BB12_307 Depth=3
	s_and_not1_saveexec_b32 s14, s14
	s_cbranch_execz .LBB12_353
; %bb.352:                              ;   in Loop: Header=BB12_307 Depth=3
	global_wb scope:SCOPE_DEV
	s_wait_storecnt 0x0
	s_wait_loadcnt_dscnt 0x0
	global_inv scope:SCOPE_DEV
	s_barrier_signal -1
	s_barrier_wait -1
.LBB12_353:                             ;   in Loop: Header=BB12_307 Depth=3
	s_or_b32 exec_lo, exec_lo, s14
.LBB12_354:                             ;   in Loop: Header=BB12_307 Depth=3
	s_delay_alu instid0(SALU_CYCLE_1) | instskip(SKIP_4) | instid1(VALU_DEP_1)
	s_or_b32 exec_lo, exec_lo, s13
	s_trap 2
	ds_load_b32 v5, v0
	v_and_b32_e32 v0, 0x4000, v126
	s_xor_b32 s13, s1, -1
	v_cmp_ne_u32_e32 vcc_lo, 0, v0
	s_and_b32 s14, s13, vcc_lo
	s_delay_alu instid0(SALU_CYCLE_1)
	s_and_saveexec_b32 s13, s14
	s_cbranch_execz .LBB12_373
; %bb.355:                              ;   in Loop: Header=BB12_307 Depth=3
	s_and_saveexec_b32 s14, s3
	s_delay_alu instid0(SALU_CYCLE_1)
	s_xor_b32 s14, exec_lo, s14
	s_cbranch_execz .LBB12_370
; %bb.356:                              ;   in Loop: Header=BB12_307 Depth=3
	s_and_saveexec_b32 s15, s6
	s_cbranch_execz .LBB12_369
; %bb.357:                              ;   in Loop: Header=BB12_307 Depth=3
	s_mov_b32 s41, exec_lo
	s_mov_b32 s40, exec_lo
	v_mbcnt_lo_u32_b32 v0, s41, 0
	global_wb scope:SCOPE_DEV
	s_wait_storecnt 0x0
	s_wait_loadcnt_dscnt 0x0
	global_inv scope:SCOPE_DEV
	v_cmpx_eq_u32_e32 0, v0
	s_cbranch_execz .LBB12_359
; %bb.358:                              ;   in Loop: Header=BB12_307 Depth=3
	s_bcnt1_i32_b32 s41, s41
	s_delay_alu instid0(SALU_CYCLE_1)
	v_mov_b32_e32 v2, s41
	s_wait_loadcnt 0x0
	ds_add_u64 v0, v[2:3]
	s_trap 2
.LBB12_359:                             ;   in Loop: Header=BB12_307 Depth=3
	s_or_b32 exec_lo, exec_lo, s40
	s_trap 2
	ds_load_b64 v[0:1], v0
	s_wait_dscnt 0x0
	v_add_nc_u64_e32 v[56:57], v[56:57], v[60:61]
	s_mov_b32 s40, exec_lo
	s_delay_alu instid0(VALU_DEP_1)
	v_cmpx_lt_u64_e64 v[0:1], v[56:57]
	s_cbranch_execz .LBB12_368
; %bb.360:                              ;   in Loop: Header=BB12_307 Depth=3
	s_mov_b32 s41, 0
	s_mov_b32 s79, 0
                                        ; implicit-def: $sgpr77
                                        ; implicit-def: $sgpr78
	s_branch .LBB12_362
.LBB12_361:                             ;   in Loop: Header=BB12_362 Depth=4
	s_or_b32 exec_lo, exec_lo, s89
	s_delay_alu instid0(SALU_CYCLE_1) | instskip(NEXT) | instid1(SALU_CYCLE_1)
	s_and_b32 s88, exec_lo, s90
	s_or_b32 s41, s88, s41
	s_and_not1_b32 s77, s77, exec_lo
	s_and_b32 s88, s78, exec_lo
	s_delay_alu instid0(SALU_CYCLE_1)
	s_or_b32 s77, s77, s88
	s_and_not1_b32 exec_lo, exec_lo, s41
	s_cbranch_execz .LBB12_366
.LBB12_362:                             ;   Parent Loop BB12_47 Depth=1
                                        ;     Parent Loop BB12_304 Depth=2
                                        ;       Parent Loop BB12_307 Depth=3
                                        ; =>      This Inner Loop Header: Depth=4
	s_add_co_i32 s79, s79, 1
	s_delay_alu instid0(SALU_CYCLE_1) | instskip(SKIP_1) | instid1(SALU_CYCLE_1)
	s_cmp_lg_u32 s79, 0x2710
	s_cselect_b32 s88, -1, 0
	s_and_b32 vcc_lo, exec_lo, s88
	s_cbranch_vccz .LBB12_364
; %bb.363:                              ;   in Loop: Header=BB12_362 Depth=4
	s_mov_b32 s90, -1
	s_or_b32 s78, s78, exec_lo
	s_and_saveexec_b32 s89, s88
	s_cbranch_execz .LBB12_361
	s_branch .LBB12_365
.LBB12_364:                             ;   in Loop: Header=BB12_362 Depth=4
	s_trap 2
	ds_load_b64 v[0:1], v0
	s_and_not1_b32 s88, s88, exec_lo
	s_mov_b32 s79, 0
	s_wait_loadcnt_dscnt 0x0
	flat_load_b32 v0, v[0:1] scope:SCOPE_SYS
	s_wait_loadcnt_dscnt 0x0
	global_inv scope:SCOPE_SYS
	v_cmp_eq_u32_e32 vcc_lo, 0, v0
	s_and_b32 s89, vcc_lo, exec_lo
	s_delay_alu instid0(SALU_CYCLE_1)
	s_or_b32 s88, s88, s89
	s_mov_b32 s90, -1
	s_or_b32 s78, s78, exec_lo
	s_wait_xcnt 0x0
	s_and_saveexec_b32 s89, s88
	s_cbranch_execz .LBB12_361
.LBB12_365:                             ;   in Loop: Header=BB12_362 Depth=4
	s_sleep 1
	s_trap 2
	ds_load_b64 v[0:1], v0
	s_wait_dscnt 0x0
	s_and_not1_b32 s78, s78, exec_lo
	v_cmp_ge_u64_e32 vcc_lo, v[0:1], v[56:57]
	s_or_not1_b32 s90, vcc_lo, exec_lo
	s_branch .LBB12_361
.LBB12_366:                             ;   in Loop: Header=BB12_307 Depth=3
	s_or_b32 exec_lo, exec_lo, s41
	s_and_saveexec_b32 s41, s77
	s_delay_alu instid0(SALU_CYCLE_1)
	s_xor_b32 s41, exec_lo, s41
	s_cbranch_execz .LBB12_368
; %bb.367:                              ;   in Loop: Header=BB12_307 Depth=3
	v_mov_b32_e32 v0, 1
	ds_store_b32 v0, v0
	s_trap 2
.LBB12_368:                             ;   in Loop: Header=BB12_307 Depth=3
	s_or_b32 exec_lo, exec_lo, s40
	;;#ASMSTART
	s_wakeup
	;;#ASMEND
.LBB12_369:                             ;   in Loop: Header=BB12_307 Depth=3
	s_or_b32 exec_lo, exec_lo, s15
.LBB12_370:                             ;   in Loop: Header=BB12_307 Depth=3
	s_and_not1_saveexec_b32 s14, s14
	s_cbranch_execz .LBB12_372
; %bb.371:                              ;   in Loop: Header=BB12_307 Depth=3
	global_wb scope:SCOPE_DEV
	s_wait_storecnt 0x0
	s_wait_loadcnt_dscnt 0x0
	global_inv scope:SCOPE_DEV
	s_barrier_signal -1
	s_barrier_wait -1
.LBB12_372:                             ;   in Loop: Header=BB12_307 Depth=3
	s_or_b32 exec_lo, exec_lo, s14
.LBB12_373:                             ;   in Loop: Header=BB12_307 Depth=3
	s_delay_alu instid0(SALU_CYCLE_1)
	s_or_b32 exec_lo, exec_lo, s13
	s_trap 2
	ds_load_b64 v[0:1], v0
	s_wait_dscnt 0x0
	v_cmp_eq_u64_e32 vcc_lo, 0, v[0:1]
	s_cbranch_vccnz .LBB12_381
; %bb.374:                              ;   in Loop: Header=BB12_307 Depth=3
	s_trap 2
	ds_load_b64 v[72:73], v0
	s_wait_dscnt 0x0
	v_cmp_eq_u64_e32 vcc_lo, 0, v[72:73]
	s_cbranch_vccnz .LBB12_381
; %bb.375:                              ;   in Loop: Header=BB12_307 Depth=3
	s_mov_b32 s13, -1
	s_and_saveexec_b32 s14, s12
	s_cbranch_execz .LBB12_377
; %bb.376:                              ;   in Loop: Header=BB12_307 Depth=3
	ds_load_b32 v2, v0 offset:720
	s_wait_dscnt 0x0
	v_and_b32_e32 v2, 15, v2
	s_delay_alu instid0(VALU_DEP_1)
	v_cmp_eq_u32_e32 vcc_lo, 0, v2
	s_or_not1_b32 s13, vcc_lo, exec_lo
.LBB12_377:                             ;   in Loop: Header=BB12_307 Depth=3
	s_or_b32 exec_lo, exec_lo, s14
	s_and_saveexec_b32 s14, s11
	s_cbranch_execz .LBB12_379
; %bb.378:                              ;   in Loop: Header=BB12_307 Depth=3
	ds_load_b32 v2, v0 offset:784
	s_wait_dscnt 0x0
	v_and_b32_e32 v2, 15, v2
	s_delay_alu instid0(VALU_DEP_1) | instskip(SKIP_3) | instid1(SALU_CYCLE_1)
	v_cmp_eq_u32_e32 vcc_lo, 0, v2
	s_and_b32 s15, s13, vcc_lo
	s_and_not1_b32 s13, s13, exec_lo
	s_and_b32 s15, s15, exec_lo
	s_or_b32 s13, s13, s15
.LBB12_379:                             ;   in Loop: Header=BB12_307 Depth=3
	s_or_b32 exec_lo, exec_lo, s14
	s_xor_b32 s13, s13, -1
	s_mov_b32 s14, -1
	v_cndmask_b32_e64 v2, 0, 1, s13
	v_cmp_eq_u32_e64 s13, 0, v5
	s_delay_alu instid0(VALU_DEP_2)
	v_cmp_ne_u32_e32 vcc_lo, 0, v2
	s_cbranch_vccz .LBB12_386
; %bb.380:                              ;   in Loop: Header=BB12_307 Depth=3
	s_mov_b32 s14, 0
	s_mov_b32 s77, -1
	s_branch .LBB12_387
.LBB12_381:                             ;   in Loop: Header=BB12_307 Depth=3
	s_mov_b32 s13, 0
	s_and_saveexec_b32 s14, s2
	s_cbranch_execnz .LBB12_1127
.LBB12_382:                             ;   in Loop: Header=BB12_307 Depth=3
	s_or_b32 exec_lo, exec_lo, s14
                                        ; implicit-def: $vgpr0
	s_and_saveexec_b32 s14, s10
	s_delay_alu instid0(SALU_CYCLE_1)
	s_xor_b32 s14, exec_lo, s14
	s_cbranch_execz .LBB12_1145
.LBB12_383:                             ;   in Loop: Header=BB12_307 Depth=3
	v_and_b32_e32 v0, 16, v126
	s_delay_alu instid0(VALU_DEP_1) | instskip(SKIP_2) | instid1(SALU_CYCLE_1)
	v_cmp_ne_u32_e32 vcc_lo, 0, v0
	v_and_b32_e32 v0, 16, v126
	s_and_b32 s15, vcc_lo, s13
	s_and_saveexec_b32 s13, s15
	s_cbranch_execz .LBB12_385
; %bb.384:                              ;   in Loop: Header=BB12_307 Depth=3
	v_mov_b32_e32 v0, 1
	global_wb scope:SCOPE_SYS
	s_wait_storecnt 0x0
	s_wait_loadcnt_dscnt 0x0
	global_inv scope:SCOPE_SYS
.LBB12_385:                             ;   in Loop: Header=BB12_307 Depth=3
	s_or_b32 exec_lo, exec_lo, s13
	s_and_not1_saveexec_b32 s13, s14
	s_cbranch_execz .LBB12_1164
	s_branch .LBB12_1146
.LBB12_386:                             ;   in Loop: Header=BB12_307 Depth=3
	s_mov_b32 s77, 0
.LBB12_387:                             ;   in Loop: Header=BB12_307 Depth=3
	v_dual_cndmask_b32 v2, 0, v4, s13 :: v_dual_mov_b32 v14, 0
	s_and_not1_b32 vcc_lo, exec_lo, s14
	s_delay_alu instid0(VALU_DEP_1)
	v_lshlrev_b32_e32 v5, 1, v2
	s_cbranch_vccnz .LBB12_651
; %bb.388:                              ;   in Loop: Header=BB12_307 Depth=3
	s_delay_alu instid0(VALU_DEP_1) | instskip(SKIP_2) | instid1(VALU_DEP_1)
	v_ashrrev_i32_e32 v6, 31, v5
	s_mov_b32 s14, 0
	s_mov_b32 s13, exec_lo
                                        ; implicit-def: $vgpr80_vgpr81
                                        ; implicit-def: $vgpr32_vgpr33
                                        ; implicit-def: $vgpr36_vgpr37
                                        ; implicit-def: $vgpr20_vgpr21
                                        ; implicit-def: $vgpr24_vgpr25
                                        ; implicit-def: $vgpr16_vgpr17
                                        ; implicit-def: $vgpr12_vgpr13
                                        ; implicit-def: $vgpr8_vgpr9
	v_lshrrev_b32_e32 v6, 21, v6
	s_delay_alu instid0(VALU_DEP_1) | instskip(NEXT) | instid1(VALU_DEP_1)
	v_add_nc_u32_e32 v6, v5, v6
	v_ashrrev_i32_e32 v29, 11, v6
	scratch_load_b32 v6, off, s33 offset:312 ; 4-byte Folded Reload
	s_wait_loadcnt 0x0
	v_sub_nc_u32_e32 v31, v29, v6
	scratch_load_b64 v[6:7], off, s33 offset:328 ; 8-byte Folded Reload
	s_wait_loadcnt 0x0
	v_add_nc_u64_e32 v[74:75], v[72:73], v[6:7]
	s_wait_xcnt 0x0
	v_cmpx_lt_i32_e32 0, v31
	s_cbranch_execz .LBB12_653
; %bb.389:                              ;   in Loop: Header=BB12_307 Depth=3
	s_trap 2
	scratch_load_b64 v[8:9], off, s33 offset:328 ; 8-byte Folded Reload
	ds_load_b64 v[6:7], v0
	s_mov_b32 s40, 0
                                        ; implicit-def: $sgpr15
                                        ; implicit-def: $vgpr14_vgpr15
                                        ; implicit-def: $vgpr18_vgpr19
                                        ; implicit-def: $vgpr26_vgpr27
                                        ; implicit-def: $vgpr22_vgpr23
                                        ; implicit-def: $vgpr38_vgpr39
                                        ; implicit-def: $vgpr34_vgpr35
                                        ; implicit-def: $vgpr82_vgpr83
	s_wait_loadcnt 0x0
	v_add_nc_u64_e32 v[62:63], v[0:1], v[8:9]
	s_wait_dscnt 0x0
	v_add_nc_u64_e32 v[110:111], v[6:7], v[8:9]
                                        ; implicit-def: $vgpr10_vgpr11
	s_branch .LBB12_391
.LBB12_390:                             ;   in Loop: Header=BB12_391 Depth=4
	s_or_b32 exec_lo, exec_lo, s41
	v_dual_lshrrev_b32 v48, 16, v84 :: v_dual_lshrrev_b32 v49, 16, v99
	v_lshrrev_b32_e32 v6, 16, v6
	v_dual_lshrrev_b32 v55, 16, v66 :: v_dual_lshrrev_b32 v66, 16, v100
	s_delay_alu instid0(VALU_DEP_3) | instskip(SKIP_1) | instid1(VALU_DEP_4)
	v_and_or_b32 v45, 0xffff0000, v69, v48
	v_lshrrev_b32_e32 v48, 16, v115
	v_and_or_b32 v46, 0xffff0000, v7, v6
	s_delay_alu instid0(VALU_DEP_4) | instskip(SKIP_4) | instid1(VALU_DEP_4)
	v_and_or_b32 v47, 0xffff0000, v67, v55
	v_dual_lshrrev_b32 v6, 16, v101 :: v_dual_lshrrev_b32 v7, 16, v98
	v_lshrrev_b32_e32 v55, 16, v43
	v_and_or_b32 v44, 0xffff0000, v68, v49
	v_lshrrev_b32_e32 v54, 16, v54
	v_and_or_b32 v68, 0xffff0000, v86, v6
	;; [unrolled: 2-line block ×4, first 2 shown]
	v_and_or_b32 v66, 0xffff0000, v96, v48
	v_dual_lshrrev_b32 v48, 16, v42 :: v_dual_lshrrev_b32 v49, 16, v77
	v_and_or_b32 v69, 0xffff0000, v87, v7
	v_lshrrev_b32_e32 v7, 16, v64
	v_and_or_b32 v51, 0xffff0000, v51, v54
	v_cndmask_b32_e64 v54, 0, v60, s40
	v_and_or_b32 v85, 0xffff0000, v113, v48
	v_and_or_b32 v84, 0xffff0000, v112, v49
	v_lshrrev_b32_e32 v48, 16, v70
	v_and_or_b32 v49, 0xffff0000, v53, v7
	v_and_or_b32 v50, 0xffff0000, v50, v55
	v_dual_cndmask_b32 v53, 0, v107, s40 :: v_dual_sub_nc_u32 v31, v31, v54
	v_add_nc_u64_e32 v[54:55], v[110:111], v[88:89]
	v_and_or_b32 v87, 0xffff0000, v103, v6
	v_and_or_b32 v48, 0xffff0000, v52, v48
	v_add_nc_u64_e32 v[6:7], v[62:63], v[88:89]
	v_cndmask_b32_e64 v52, 0x800, v106, s40
	s_clause 0x1
	global_store_b128 v[74:75], v[84:87], off th:TH_STORE_NT
	global_store_b128 v[74:75], v[66:69], off offset:512 th:TH_STORE_NT
	v_cndmask_b32_e64 v110, v110, v54, s40
	v_cmp_gt_i32_e32 vcc_lo, 1, v31
	s_clause 0x1
	global_store_b128 v[74:75], v[44:47], off offset:1024 th:TH_STORE_NT
	global_store_b128 v[74:75], v[48:51], off offset:1536 th:TH_STORE_NT
	s_wait_xcnt 0x0
	v_add_nc_u64_e32 v[74:75], v[74:75], v[52:53]
	v_dual_cndmask_b32 v63, v63, v7, s40 :: v_dual_cndmask_b32 v62, v62, v6, s40
	v_cndmask_b32_e64 v111, v111, v55, s40
	s_or_b32 s14, vcc_lo, s14
	s_and_not1_b32 s15, s15, exec_lo
	s_and_b32 s41, s40, exec_lo
	s_delay_alu instid0(SALU_CYCLE_1)
	s_or_b32 s15, s15, s41
	s_and_not1_b32 exec_lo, exec_lo, s14
	s_cbranch_execz .LBB12_652
.LBB12_391:                             ;   Parent Loop BB12_47 Depth=1
                                        ;     Parent Loop BB12_304 Depth=2
                                        ;       Parent Loop BB12_307 Depth=3
                                        ; =>      This Inner Loop Header: Depth=4
	s_clause 0x3
	global_load_b128 v[100:103], v[62:63], off th:TH_LOAD_NT
	global_load_b128 v[84:87], v[62:63], off offset:512 th:TH_LOAD_NT
	global_load_b128 v[64:67], v[62:63], off offset:1024 th:TH_LOAD_NT
	;; [unrolled: 1-line block ×3, first 2 shown]
	s_clause 0x3
	global_load_b128 v[112:115], v[110:111], off th:TH_LOAD_NT
	global_load_b128 v[96:99], v[110:111], off offset:512 th:TH_LOAD_NT
	global_load_b128 v[68:71], v[110:111], off offset:1024 th:TH_LOAD_NT
	global_load_b128 v[52:55], v[110:111], off offset:1536 th:TH_LOAD_NT
	s_wait_xcnt 0x0
	s_and_saveexec_b32 s41, s40
	s_cbranch_execz .LBB12_521
; %bb.392:                              ;   in Loop: Header=BB12_391 Depth=4
	v_lshlrev_b32_e32 v6, 16, v80
	v_lshlrev_b32_e32 v7, 16, v32
	s_mov_b32 s40, exec_lo
                                        ; implicit-def: $vgpr77
	s_delay_alu instid0(VALU_DEP_1) | instskip(NEXT) | instid1(VALU_DEP_1)
	v_mul_f32_e32 v6, v6, v7
	v_and_b32_e32 v7, 0x7f800000, v6
	s_delay_alu instid0(VALU_DEP_1)
	v_cmpx_ne_u32_e32 0x7f800000, v7
	s_xor_b32 s40, exec_lo, s40
; %bb.393:                              ;   in Loop: Header=BB12_391 Depth=4
	v_bfe_u32 v7, v6, 16, 1
	s_delay_alu instid0(VALU_DEP_1)
	v_add3_u32 v77, v6, v7, 0x7fff
                                        ; implicit-def: $vgpr6
; %bb.394:                              ;   in Loop: Header=BB12_391 Depth=4
	s_and_not1_saveexec_b32 s40, s40
; %bb.395:                              ;   in Loop: Header=BB12_391 Depth=4
	v_and_b32_e32 v7, 0xffff, v6
	v_or_b32_e32 v118, 0x10000, v6
	s_delay_alu instid0(VALU_DEP_2) | instskip(NEXT) | instid1(VALU_DEP_2)
	v_cmp_eq_u32_e32 vcc_lo, 0, v7
	v_cndmask_b32_e32 v77, v118, v6, vcc_lo
; %bb.396:                              ;   in Loop: Header=BB12_391 Depth=4
	s_or_b32 exec_lo, exec_lo, s40
	v_and_b32_e32 v7, 0xffff0000, v80
	v_and_b32_e32 v6, 0xffff0000, v32
	s_mov_b32 s40, exec_lo
                                        ; implicit-def: $vgpr42
	s_delay_alu instid0(VALU_DEP_2) | instskip(NEXT) | instid1(VALU_DEP_1)
	v_mov_b32_e32 v80, v7
	v_pk_mul_f32 v[124:125], v[80:81], v[6:7]
	s_delay_alu instid0(VALU_DEP_1) | instskip(NEXT) | instid1(VALU_DEP_1)
	v_and_b32_e32 v6, 0x7f800000, v124
	v_cmpx_ne_u32_e32 0x7f800000, v6
	s_xor_b32 s40, exec_lo, s40
; %bb.397:                              ;   in Loop: Header=BB12_391 Depth=4
	v_bfe_u32 v6, v124, 16, 1
	s_delay_alu instid0(VALU_DEP_1)
	v_add3_u32 v42, v124, v6, 0x7fff
                                        ; implicit-def: $vgpr124_vgpr125
; %bb.398:                              ;   in Loop: Header=BB12_391 Depth=4
	s_and_not1_saveexec_b32 s40, s40
; %bb.399:                              ;   in Loop: Header=BB12_391 Depth=4
	v_and_b32_e32 v6, 0xffff, v124
	v_or_b32_e32 v7, 0x10000, v124
	s_delay_alu instid0(VALU_DEP_2) | instskip(NEXT) | instid1(VALU_DEP_2)
	v_cmp_eq_u32_e32 vcc_lo, 0, v6
	v_cndmask_b32_e32 v42, v7, v124, vcc_lo
; %bb.400:                              ;   in Loop: Header=BB12_391 Depth=4
	s_or_b32 exec_lo, exec_lo, s40
	v_lshlrev_b32_e32 v6, 16, v33
	v_lshlrev_b32_e32 v7, 16, v81
	s_mov_b32 s40, exec_lo
                                        ; implicit-def: $vgpr43
	s_delay_alu instid0(VALU_DEP_1) | instskip(NEXT) | instid1(VALU_DEP_1)
	v_mul_f32_e32 v6, v7, v6
	v_and_b32_e32 v7, 0x7f800000, v6
	s_delay_alu instid0(VALU_DEP_1)
	v_cmpx_ne_u32_e32 0x7f800000, v7
	s_xor_b32 s40, exec_lo, s40
; %bb.401:                              ;   in Loop: Header=BB12_391 Depth=4
	v_bfe_u32 v7, v6, 16, 1
	s_delay_alu instid0(VALU_DEP_1)
	v_add3_u32 v43, v6, v7, 0x7fff
                                        ; implicit-def: $vgpr6
; %bb.402:                              ;   in Loop: Header=BB12_391 Depth=4
	s_and_not1_saveexec_b32 s40, s40
; %bb.403:                              ;   in Loop: Header=BB12_391 Depth=4
	v_and_b32_e32 v7, 0xffff, v6
	v_or_b32_e32 v80, 0x10000, v6
	s_delay_alu instid0(VALU_DEP_2) | instskip(NEXT) | instid1(VALU_DEP_2)
	v_cmp_eq_u32_e32 vcc_lo, 0, v7
	v_cndmask_b32_e32 v43, v80, v6, vcc_lo
; %bb.404:                              ;   in Loop: Header=BB12_391 Depth=4
	s_or_b32 exec_lo, exec_lo, s40
	v_and_b32_e32 v7, 0xffff0000, v81
	v_and_b32_e32 v6, 0xffff0000, v33
	s_mov_b32 s40, exec_lo
                                        ; implicit-def: $vgpr124
	s_delay_alu instid0(VALU_DEP_2) | instskip(NEXT) | instid1(VALU_DEP_1)
	v_mov_b32_e32 v80, v7
	v_pk_mul_f32 v[80:81], v[80:81], v[6:7]
	s_delay_alu instid0(VALU_DEP_1) | instskip(NEXT) | instid1(VALU_DEP_1)
	v_and_b32_e32 v6, 0x7f800000, v80
	v_cmpx_ne_u32_e32 0x7f800000, v6
	s_xor_b32 s40, exec_lo, s40
; %bb.405:                              ;   in Loop: Header=BB12_391 Depth=4
	v_bfe_u32 v6, v80, 16, 1
	s_delay_alu instid0(VALU_DEP_1)
	v_add3_u32 v124, v80, v6, 0x7fff
                                        ; implicit-def: $vgpr80_vgpr81
; %bb.406:                              ;   in Loop: Header=BB12_391 Depth=4
	s_and_not1_saveexec_b32 s40, s40
; %bb.407:                              ;   in Loop: Header=BB12_391 Depth=4
	v_and_b32_e32 v6, 0xffff, v80
	v_or_b32_e32 v7, 0x10000, v80
	s_delay_alu instid0(VALU_DEP_2) | instskip(NEXT) | instid1(VALU_DEP_2)
	v_cmp_eq_u32_e32 vcc_lo, 0, v6
	v_cndmask_b32_e32 v124, v7, v80, vcc_lo
; %bb.408:                              ;   in Loop: Header=BB12_391 Depth=4
	s_or_b32 exec_lo, exec_lo, s40
	v_lshlrev_b32_e32 v6, 16, v82
	v_lshlrev_b32_e32 v7, 16, v34
	s_mov_b32 s40, exec_lo
                                        ; implicit-def: $vgpr125
	s_delay_alu instid0(VALU_DEP_1) | instskip(NEXT) | instid1(VALU_DEP_1)
	v_mul_f32_e32 v6, v6, v7
	v_and_b32_e32 v7, 0x7f800000, v6
	s_delay_alu instid0(VALU_DEP_1)
	v_cmpx_ne_u32_e32 0x7f800000, v7
	s_xor_b32 s40, exec_lo, s40
; %bb.409:                              ;   in Loop: Header=BB12_391 Depth=4
	v_bfe_u32 v7, v6, 16, 1
	s_delay_alu instid0(VALU_DEP_1)
	v_add3_u32 v125, v6, v7, 0x7fff
                                        ; implicit-def: $vgpr6
; %bb.410:                              ;   in Loop: Header=BB12_391 Depth=4
	s_and_not1_saveexec_b32 s40, s40
; %bb.411:                              ;   in Loop: Header=BB12_391 Depth=4
	v_and_b32_e32 v7, 0xffff, v6
	v_or_b32_e32 v80, 0x10000, v6
	s_delay_alu instid0(VALU_DEP_2) | instskip(NEXT) | instid1(VALU_DEP_2)
	v_cmp_eq_u32_e32 vcc_lo, 0, v7
	v_cndmask_b32_e32 v125, v80, v6, vcc_lo
; %bb.412:                              ;   in Loop: Header=BB12_391 Depth=4
	s_or_b32 exec_lo, exec_lo, s40
	v_and_b32_e32 v7, 0xffff0000, v82
	v_and_b32_e32 v6, 0xffff0000, v34
	s_mov_b32 s40, exec_lo
                                        ; implicit-def: $vgpr82
	s_delay_alu instid0(VALU_DEP_2) | instskip(NEXT) | instid1(VALU_DEP_1)
	v_mov_b32_e32 v80, v7
	v_pk_mul_f32 v[80:81], v[80:81], v[6:7]
	s_delay_alu instid0(VALU_DEP_1) | instskip(NEXT) | instid1(VALU_DEP_1)
	v_and_b32_e32 v6, 0x7f800000, v80
	v_cmpx_ne_u32_e32 0x7f800000, v6
	s_xor_b32 s40, exec_lo, s40
; %bb.413:                              ;   in Loop: Header=BB12_391 Depth=4
	v_bfe_u32 v6, v80, 16, 1
	s_delay_alu instid0(VALU_DEP_1)
	v_add3_u32 v82, v80, v6, 0x7fff
                                        ; implicit-def: $vgpr80_vgpr81
; %bb.414:                              ;   in Loop: Header=BB12_391 Depth=4
	s_and_not1_saveexec_b32 s40, s40
; %bb.415:                              ;   in Loop: Header=BB12_391 Depth=4
	v_and_b32_e32 v6, 0xffff, v80
	v_or_b32_e32 v7, 0x10000, v80
	s_delay_alu instid0(VALU_DEP_2) | instskip(NEXT) | instid1(VALU_DEP_2)
	v_cmp_eq_u32_e32 vcc_lo, 0, v6
	v_cndmask_b32_e32 v82, v7, v80, vcc_lo
; %bb.416:                              ;   in Loop: Header=BB12_391 Depth=4
	s_or_b32 exec_lo, exec_lo, s40
	v_lshlrev_b32_e32 v6, 16, v35
	v_lshlrev_b32_e32 v7, 16, v83
	s_mov_b32 s40, exec_lo
                                        ; implicit-def: $vgpr122
	s_delay_alu instid0(VALU_DEP_1) | instskip(NEXT) | instid1(VALU_DEP_1)
	v_mul_f32_e32 v6, v7, v6
	v_and_b32_e32 v7, 0x7f800000, v6
	s_delay_alu instid0(VALU_DEP_1)
	v_cmpx_ne_u32_e32 0x7f800000, v7
	s_xor_b32 s40, exec_lo, s40
; %bb.417:                              ;   in Loop: Header=BB12_391 Depth=4
	v_bfe_u32 v7, v6, 16, 1
	s_delay_alu instid0(VALU_DEP_1)
	v_add3_u32 v122, v6, v7, 0x7fff
                                        ; implicit-def: $vgpr6
; %bb.418:                              ;   in Loop: Header=BB12_391 Depth=4
	s_and_not1_saveexec_b32 s40, s40
; %bb.419:                              ;   in Loop: Header=BB12_391 Depth=4
	v_and_b32_e32 v7, 0xffff, v6
	v_or_b32_e32 v80, 0x10000, v6
	s_delay_alu instid0(VALU_DEP_2) | instskip(NEXT) | instid1(VALU_DEP_2)
	v_cmp_eq_u32_e32 vcc_lo, 0, v7
	v_cndmask_b32_e32 v122, v80, v6, vcc_lo
; %bb.420:                              ;   in Loop: Header=BB12_391 Depth=4
	s_or_b32 exec_lo, exec_lo, s40
	v_and_b32_e32 v7, 0xffff0000, v83
	v_and_b32_e32 v6, 0xffff0000, v35
	s_mov_b32 s40, exec_lo
                                        ; implicit-def: $vgpr83
	s_delay_alu instid0(VALU_DEP_2) | instskip(NEXT) | instid1(VALU_DEP_1)
	v_mov_b32_e32 v80, v7
	v_pk_mul_f32 v[80:81], v[80:81], v[6:7]
	s_delay_alu instid0(VALU_DEP_1) | instskip(NEXT) | instid1(VALU_DEP_1)
	v_and_b32_e32 v6, 0x7f800000, v80
	v_cmpx_ne_u32_e32 0x7f800000, v6
	s_xor_b32 s40, exec_lo, s40
; %bb.421:                              ;   in Loop: Header=BB12_391 Depth=4
	v_bfe_u32 v6, v80, 16, 1
	s_delay_alu instid0(VALU_DEP_1)
	v_add3_u32 v83, v80, v6, 0x7fff
                                        ; implicit-def: $vgpr80_vgpr81
; %bb.422:                              ;   in Loop: Header=BB12_391 Depth=4
	s_and_not1_saveexec_b32 s40, s40
; %bb.423:                              ;   in Loop: Header=BB12_391 Depth=4
	v_and_b32_e32 v6, 0xffff, v80
	v_or_b32_e32 v7, 0x10000, v80
	s_delay_alu instid0(VALU_DEP_2) | instskip(NEXT) | instid1(VALU_DEP_2)
	v_cmp_eq_u32_e32 vcc_lo, 0, v6
	v_cndmask_b32_e32 v83, v7, v80, vcc_lo
; %bb.424:                              ;   in Loop: Header=BB12_391 Depth=4
	s_or_b32 exec_lo, exec_lo, s40
	v_lshlrev_b32_e32 v6, 16, v36
	v_lshlrev_b32_e32 v7, 16, v20
	s_mov_b32 s40, exec_lo
                                        ; implicit-def: $vgpr94
	s_delay_alu instid0(VALU_DEP_1) | instskip(NEXT) | instid1(VALU_DEP_1)
	v_mul_f32_e32 v6, v6, v7
	v_and_b32_e32 v7, 0x7f800000, v6
	s_delay_alu instid0(VALU_DEP_1)
	v_cmpx_ne_u32_e32 0x7f800000, v7
	s_xor_b32 s40, exec_lo, s40
; %bb.425:                              ;   in Loop: Header=BB12_391 Depth=4
	v_bfe_u32 v7, v6, 16, 1
	s_delay_alu instid0(VALU_DEP_1)
	v_add3_u32 v94, v6, v7, 0x7fff
                                        ; implicit-def: $vgpr6
; %bb.426:                              ;   in Loop: Header=BB12_391 Depth=4
	s_and_not1_saveexec_b32 s40, s40
; %bb.427:                              ;   in Loop: Header=BB12_391 Depth=4
	v_and_b32_e32 v7, 0xffff, v6
	v_or_b32_e32 v80, 0x10000, v6
	s_delay_alu instid0(VALU_DEP_2) | instskip(NEXT) | instid1(VALU_DEP_2)
	v_cmp_eq_u32_e32 vcc_lo, 0, v7
	v_cndmask_b32_e32 v94, v80, v6, vcc_lo
; %bb.428:                              ;   in Loop: Header=BB12_391 Depth=4
	s_or_b32 exec_lo, exec_lo, s40
	v_and_b32_e32 v7, 0xffff0000, v36
	v_and_b32_e32 v6, 0xffff0000, v20
	s_mov_b32 s40, exec_lo
                                        ; implicit-def: $vgpr95
	s_delay_alu instid0(VALU_DEP_2) | instskip(NEXT) | instid1(VALU_DEP_1)
	v_mov_b32_e32 v36, v7
	v_pk_mul_f32 v[80:81], v[36:37], v[6:7]
	s_delay_alu instid0(VALU_DEP_1) | instskip(NEXT) | instid1(VALU_DEP_1)
	v_and_b32_e32 v6, 0x7f800000, v80
	v_cmpx_ne_u32_e32 0x7f800000, v6
	s_xor_b32 s40, exec_lo, s40
; %bb.429:                              ;   in Loop: Header=BB12_391 Depth=4
	v_bfe_u32 v6, v80, 16, 1
	s_delay_alu instid0(VALU_DEP_1)
	v_add3_u32 v95, v80, v6, 0x7fff
                                        ; implicit-def: $vgpr80_vgpr81
; %bb.430:                              ;   in Loop: Header=BB12_391 Depth=4
	s_and_not1_saveexec_b32 s40, s40
; %bb.431:                              ;   in Loop: Header=BB12_391 Depth=4
	v_and_b32_e32 v6, 0xffff, v80
	v_or_b32_e32 v7, 0x10000, v80
	s_delay_alu instid0(VALU_DEP_2) | instskip(NEXT) | instid1(VALU_DEP_2)
	v_cmp_eq_u32_e32 vcc_lo, 0, v6
	v_cndmask_b32_e32 v95, v7, v80, vcc_lo
; %bb.432:                              ;   in Loop: Header=BB12_391 Depth=4
	s_or_b32 exec_lo, exec_lo, s40
	v_lshlrev_b32_e32 v6, 16, v21
	v_lshlrev_b32_e32 v7, 16, v37
	s_mov_b32 s40, exec_lo
                                        ; implicit-def: $vgpr80
	s_delay_alu instid0(VALU_DEP_1) | instskip(NEXT) | instid1(VALU_DEP_1)
	v_mul_f32_e32 v6, v7, v6
	v_and_b32_e32 v7, 0x7f800000, v6
	s_delay_alu instid0(VALU_DEP_1)
	v_cmpx_ne_u32_e32 0x7f800000, v7
	s_xor_b32 s40, exec_lo, s40
; %bb.433:                              ;   in Loop: Header=BB12_391 Depth=4
	v_bfe_u32 v7, v6, 16, 1
	s_delay_alu instid0(VALU_DEP_1)
	v_add3_u32 v80, v6, v7, 0x7fff
                                        ; implicit-def: $vgpr6
; %bb.434:                              ;   in Loop: Header=BB12_391 Depth=4
	s_and_not1_saveexec_b32 s40, s40
; %bb.435:                              ;   in Loop: Header=BB12_391 Depth=4
	v_and_b32_e32 v7, 0xffff, v6
	v_or_b32_e32 v36, 0x10000, v6
	s_delay_alu instid0(VALU_DEP_2) | instskip(NEXT) | instid1(VALU_DEP_2)
	v_cmp_eq_u32_e32 vcc_lo, 0, v7
	v_cndmask_b32_e32 v80, v36, v6, vcc_lo
; %bb.436:                              ;   in Loop: Header=BB12_391 Depth=4
	s_or_b32 exec_lo, exec_lo, s40
	v_and_b32_e32 v7, 0xffff0000, v37
	v_and_b32_e32 v6, 0xffff0000, v21
	s_mov_b32 s40, exec_lo
                                        ; implicit-def: $vgpr81
	s_delay_alu instid0(VALU_DEP_2) | instskip(NEXT) | instid1(VALU_DEP_1)
	v_mov_b32_e32 v36, v7
	v_pk_mul_f32 v[36:37], v[36:37], v[6:7]
	s_delay_alu instid0(VALU_DEP_1) | instskip(NEXT) | instid1(VALU_DEP_1)
	v_and_b32_e32 v6, 0x7f800000, v36
	v_cmpx_ne_u32_e32 0x7f800000, v6
	s_xor_b32 s40, exec_lo, s40
; %bb.437:                              ;   in Loop: Header=BB12_391 Depth=4
	v_bfe_u32 v6, v36, 16, 1
	s_delay_alu instid0(VALU_DEP_1)
	v_add3_u32 v81, v36, v6, 0x7fff
                                        ; implicit-def: $vgpr36_vgpr37
; %bb.438:                              ;   in Loop: Header=BB12_391 Depth=4
	s_and_not1_saveexec_b32 s40, s40
; %bb.439:                              ;   in Loop: Header=BB12_391 Depth=4
	v_and_b32_e32 v6, 0xffff, v36
	v_or_b32_e32 v7, 0x10000, v36
	s_delay_alu instid0(VALU_DEP_2) | instskip(NEXT) | instid1(VALU_DEP_2)
	v_cmp_eq_u32_e32 vcc_lo, 0, v6
	v_cndmask_b32_e32 v81, v7, v36, vcc_lo
; %bb.440:                              ;   in Loop: Header=BB12_391 Depth=4
	s_or_b32 exec_lo, exec_lo, s40
	v_lshlrev_b32_e32 v6, 16, v38
	v_lshlrev_b32_e32 v7, 16, v22
	s_mov_b32 s40, exec_lo
                                        ; implicit-def: $vgpr108
	s_delay_alu instid0(VALU_DEP_1) | instskip(NEXT) | instid1(VALU_DEP_1)
	v_mul_f32_e32 v6, v6, v7
	v_and_b32_e32 v7, 0x7f800000, v6
	s_delay_alu instid0(VALU_DEP_1)
	v_cmpx_ne_u32_e32 0x7f800000, v7
	s_xor_b32 s40, exec_lo, s40
; %bb.441:                              ;   in Loop: Header=BB12_391 Depth=4
	v_bfe_u32 v7, v6, 16, 1
	s_delay_alu instid0(VALU_DEP_1)
	v_add3_u32 v108, v6, v7, 0x7fff
                                        ; implicit-def: $vgpr6
; %bb.442:                              ;   in Loop: Header=BB12_391 Depth=4
	s_and_not1_saveexec_b32 s40, s40
; %bb.443:                              ;   in Loop: Header=BB12_391 Depth=4
	v_and_b32_e32 v7, 0xffff, v6
	v_or_b32_e32 v36, 0x10000, v6
	s_delay_alu instid0(VALU_DEP_2) | instskip(NEXT) | instid1(VALU_DEP_2)
	v_cmp_eq_u32_e32 vcc_lo, 0, v7
	v_cndmask_b32_e32 v108, v36, v6, vcc_lo
; %bb.444:                              ;   in Loop: Header=BB12_391 Depth=4
	s_or_b32 exec_lo, exec_lo, s40
	v_and_b32_e32 v7, 0xffff0000, v38
	v_and_b32_e32 v6, 0xffff0000, v22
	s_mov_b32 s40, exec_lo
                                        ; implicit-def: $vgpr38
	s_delay_alu instid0(VALU_DEP_2) | instskip(NEXT) | instid1(VALU_DEP_1)
	v_mov_b32_e32 v36, v7
	v_pk_mul_f32 v[36:37], v[36:37], v[6:7]
	s_delay_alu instid0(VALU_DEP_1) | instskip(NEXT) | instid1(VALU_DEP_1)
	v_and_b32_e32 v6, 0x7f800000, v36
	v_cmpx_ne_u32_e32 0x7f800000, v6
	s_xor_b32 s40, exec_lo, s40
; %bb.445:                              ;   in Loop: Header=BB12_391 Depth=4
	v_bfe_u32 v6, v36, 16, 1
	s_delay_alu instid0(VALU_DEP_1)
	v_add3_u32 v38, v36, v6, 0x7fff
                                        ; implicit-def: $vgpr36_vgpr37
; %bb.446:                              ;   in Loop: Header=BB12_391 Depth=4
	s_and_not1_saveexec_b32 s40, s40
; %bb.447:                              ;   in Loop: Header=BB12_391 Depth=4
	v_and_b32_e32 v6, 0xffff, v36
	v_or_b32_e32 v7, 0x10000, v36
	s_delay_alu instid0(VALU_DEP_2) | instskip(NEXT) | instid1(VALU_DEP_2)
	v_cmp_eq_u32_e32 vcc_lo, 0, v6
	v_cndmask_b32_e32 v38, v7, v36, vcc_lo
; %bb.448:                              ;   in Loop: Header=BB12_391 Depth=4
	s_or_b32 exec_lo, exec_lo, s40
	v_lshlrev_b32_e32 v6, 16, v23
	v_lshlrev_b32_e32 v7, 16, v39
	s_mov_b32 s40, exec_lo
                                        ; implicit-def: $vgpr109
	s_delay_alu instid0(VALU_DEP_1) | instskip(NEXT) | instid1(VALU_DEP_1)
	v_mul_f32_e32 v6, v7, v6
	v_and_b32_e32 v7, 0x7f800000, v6
	s_delay_alu instid0(VALU_DEP_1)
	v_cmpx_ne_u32_e32 0x7f800000, v7
	s_xor_b32 s40, exec_lo, s40
; %bb.449:                              ;   in Loop: Header=BB12_391 Depth=4
	v_bfe_u32 v7, v6, 16, 1
	s_delay_alu instid0(VALU_DEP_1)
	v_add3_u32 v109, v6, v7, 0x7fff
                                        ; implicit-def: $vgpr6
; %bb.450:                              ;   in Loop: Header=BB12_391 Depth=4
	s_and_not1_saveexec_b32 s40, s40
; %bb.451:                              ;   in Loop: Header=BB12_391 Depth=4
	v_and_b32_e32 v7, 0xffff, v6
	v_or_b32_e32 v36, 0x10000, v6
	s_delay_alu instid0(VALU_DEP_2) | instskip(NEXT) | instid1(VALU_DEP_2)
	v_cmp_eq_u32_e32 vcc_lo, 0, v7
	v_cndmask_b32_e32 v109, v36, v6, vcc_lo
; %bb.452:                              ;   in Loop: Header=BB12_391 Depth=4
	s_or_b32 exec_lo, exec_lo, s40
	v_and_b32_e32 v7, 0xffff0000, v39
	v_and_b32_e32 v6, 0xffff0000, v23
	s_mov_b32 s40, exec_lo
                                        ; implicit-def: $vgpr39
	s_delay_alu instid0(VALU_DEP_2) | instskip(NEXT) | instid1(VALU_DEP_1)
	v_mov_b32_e32 v36, v7
	v_pk_mul_f32 v[36:37], v[36:37], v[6:7]
	s_delay_alu instid0(VALU_DEP_1) | instskip(NEXT) | instid1(VALU_DEP_1)
	v_and_b32_e32 v6, 0x7f800000, v36
	v_cmpx_ne_u32_e32 0x7f800000, v6
	s_xor_b32 s40, exec_lo, s40
; %bb.453:                              ;   in Loop: Header=BB12_391 Depth=4
	v_bfe_u32 v6, v36, 16, 1
	s_delay_alu instid0(VALU_DEP_1)
	v_add3_u32 v39, v36, v6, 0x7fff
                                        ; implicit-def: $vgpr36_vgpr37
; %bb.454:                              ;   in Loop: Header=BB12_391 Depth=4
	s_and_not1_saveexec_b32 s40, s40
; %bb.455:                              ;   in Loop: Header=BB12_391 Depth=4
	v_and_b32_e32 v6, 0xffff, v36
	v_or_b32_e32 v7, 0x10000, v36
	s_delay_alu instid0(VALU_DEP_2) | instskip(NEXT) | instid1(VALU_DEP_2)
	v_cmp_eq_u32_e32 vcc_lo, 0, v6
	v_cndmask_b32_e32 v39, v7, v36, vcc_lo
; %bb.456:                              ;   in Loop: Header=BB12_391 Depth=4
	s_or_b32 exec_lo, exec_lo, s40
	v_lshlrev_b32_e32 v6, 16, v24
	v_lshlrev_b32_e32 v7, 16, v16
	s_mov_b32 s40, exec_lo
                                        ; implicit-def: $vgpr46
	s_delay_alu instid0(VALU_DEP_1) | instskip(NEXT) | instid1(VALU_DEP_1)
	v_mul_f32_e32 v6, v6, v7
	v_and_b32_e32 v7, 0x7f800000, v6
	s_delay_alu instid0(VALU_DEP_1)
	v_cmpx_ne_u32_e32 0x7f800000, v7
	s_xor_b32 s40, exec_lo, s40
; %bb.457:                              ;   in Loop: Header=BB12_391 Depth=4
	v_bfe_u32 v7, v6, 16, 1
	s_delay_alu instid0(VALU_DEP_1)
	v_add3_u32 v46, v6, v7, 0x7fff
                                        ; implicit-def: $vgpr6
; %bb.458:                              ;   in Loop: Header=BB12_391 Depth=4
	s_and_not1_saveexec_b32 s40, s40
; %bb.459:                              ;   in Loop: Header=BB12_391 Depth=4
	v_and_b32_e32 v7, 0xffff, v6
	v_or_b32_e32 v36, 0x10000, v6
	s_delay_alu instid0(VALU_DEP_2) | instskip(NEXT) | instid1(VALU_DEP_2)
	v_cmp_eq_u32_e32 vcc_lo, 0, v7
	v_cndmask_b32_e32 v46, v36, v6, vcc_lo
; %bb.460:                              ;   in Loop: Header=BB12_391 Depth=4
	s_or_b32 exec_lo, exec_lo, s40
	v_and_b32_e32 v7, 0xffff0000, v24
	v_and_b32_e32 v6, 0xffff0000, v16
	s_mov_b32 s40, exec_lo
                                        ; implicit-def: $vgpr47
	s_delay_alu instid0(VALU_DEP_2) | instskip(NEXT) | instid1(VALU_DEP_1)
	v_mov_b32_e32 v24, v7
	v_pk_mul_f32 v[36:37], v[24:25], v[6:7]
	s_delay_alu instid0(VALU_DEP_1) | instskip(NEXT) | instid1(VALU_DEP_1)
	v_and_b32_e32 v6, 0x7f800000, v36
	v_cmpx_ne_u32_e32 0x7f800000, v6
	s_xor_b32 s40, exec_lo, s40
; %bb.461:                              ;   in Loop: Header=BB12_391 Depth=4
	v_bfe_u32 v6, v36, 16, 1
	s_delay_alu instid0(VALU_DEP_1)
	v_add3_u32 v47, v36, v6, 0x7fff
                                        ; implicit-def: $vgpr36_vgpr37
; %bb.462:                              ;   in Loop: Header=BB12_391 Depth=4
	s_and_not1_saveexec_b32 s40, s40
; %bb.463:                              ;   in Loop: Header=BB12_391 Depth=4
	v_and_b32_e32 v6, 0xffff, v36
	v_or_b32_e32 v7, 0x10000, v36
	s_delay_alu instid0(VALU_DEP_2) | instskip(NEXT) | instid1(VALU_DEP_2)
	v_cmp_eq_u32_e32 vcc_lo, 0, v6
	v_cndmask_b32_e32 v47, v7, v36, vcc_lo
; %bb.464:                              ;   in Loop: Header=BB12_391 Depth=4
	s_or_b32 exec_lo, exec_lo, s40
	v_lshlrev_b32_e32 v6, 16, v17
	v_lshlrev_b32_e32 v7, 16, v25
	s_mov_b32 s40, exec_lo
                                        ; implicit-def: $vgpr36
	s_delay_alu instid0(VALU_DEP_1) | instskip(NEXT) | instid1(VALU_DEP_1)
	v_mul_f32_e32 v6, v7, v6
	v_and_b32_e32 v7, 0x7f800000, v6
	s_delay_alu instid0(VALU_DEP_1)
	v_cmpx_ne_u32_e32 0x7f800000, v7
	s_xor_b32 s40, exec_lo, s40
; %bb.465:                              ;   in Loop: Header=BB12_391 Depth=4
	v_bfe_u32 v7, v6, 16, 1
	s_delay_alu instid0(VALU_DEP_1)
	v_add3_u32 v36, v6, v7, 0x7fff
                                        ; implicit-def: $vgpr6
; %bb.466:                              ;   in Loop: Header=BB12_391 Depth=4
	s_and_not1_saveexec_b32 s40, s40
; %bb.467:                              ;   in Loop: Header=BB12_391 Depth=4
	v_and_b32_e32 v7, 0xffff, v6
	v_or_b32_e32 v24, 0x10000, v6
	s_delay_alu instid0(VALU_DEP_2) | instskip(NEXT) | instid1(VALU_DEP_2)
	v_cmp_eq_u32_e32 vcc_lo, 0, v7
	v_cndmask_b32_e32 v36, v24, v6, vcc_lo
; %bb.468:                              ;   in Loop: Header=BB12_391 Depth=4
	s_or_b32 exec_lo, exec_lo, s40
	v_and_b32_e32 v7, 0xffff0000, v25
	v_and_b32_e32 v6, 0xffff0000, v17
	s_mov_b32 s40, exec_lo
                                        ; implicit-def: $vgpr37
	s_delay_alu instid0(VALU_DEP_2) | instskip(NEXT) | instid1(VALU_DEP_1)
	v_mov_b32_e32 v24, v7
	v_pk_mul_f32 v[24:25], v[24:25], v[6:7]
	s_delay_alu instid0(VALU_DEP_1) | instskip(NEXT) | instid1(VALU_DEP_1)
	v_and_b32_e32 v6, 0x7f800000, v24
	v_cmpx_ne_u32_e32 0x7f800000, v6
	s_xor_b32 s40, exec_lo, s40
; %bb.469:                              ;   in Loop: Header=BB12_391 Depth=4
	v_bfe_u32 v6, v24, 16, 1
	s_delay_alu instid0(VALU_DEP_1)
	v_add3_u32 v37, v24, v6, 0x7fff
                                        ; implicit-def: $vgpr24_vgpr25
; %bb.470:                              ;   in Loop: Header=BB12_391 Depth=4
	s_and_not1_saveexec_b32 s40, s40
; %bb.471:                              ;   in Loop: Header=BB12_391 Depth=4
	v_and_b32_e32 v6, 0xffff, v24
	v_or_b32_e32 v7, 0x10000, v24
	s_delay_alu instid0(VALU_DEP_2) | instskip(NEXT) | instid1(VALU_DEP_2)
	v_cmp_eq_u32_e32 vcc_lo, 0, v6
	v_cndmask_b32_e32 v37, v7, v24, vcc_lo
; %bb.472:                              ;   in Loop: Header=BB12_391 Depth=4
	s_or_b32 exec_lo, exec_lo, s40
	v_lshlrev_b32_e32 v6, 16, v26
	v_lshlrev_b32_e32 v7, 16, v18
	s_delay_alu instid0(VALU_DEP_1) | instskip(NEXT) | instid1(VALU_DEP_1)
	v_mul_f32_e32 v7, v6, v7
	v_and_b32_e32 v6, 0x7f800000, v7
	s_delay_alu instid0(VALU_DEP_1) | instskip(SKIP_1) | instid1(SALU_CYCLE_1)
	v_cmp_ne_u32_e32 vcc_lo, 0x7f800000, v6
                                        ; implicit-def: $vgpr6
	s_and_saveexec_b32 s40, vcc_lo
	s_xor_b32 s40, exec_lo, s40
; %bb.473:                              ;   in Loop: Header=BB12_391 Depth=4
	v_bfe_u32 v6, v7, 16, 1
	s_delay_alu instid0(VALU_DEP_1)
	v_add3_u32 v6, v7, v6, 0x7fff
                                        ; implicit-def: $vgpr7
; %bb.474:                              ;   in Loop: Header=BB12_391 Depth=4
	s_and_not1_saveexec_b32 s40, s40
; %bb.475:                              ;   in Loop: Header=BB12_391 Depth=4
	v_and_b32_e32 v6, 0xffff, v7
	v_or_b32_e32 v24, 0x10000, v7
	s_delay_alu instid0(VALU_DEP_2) | instskip(NEXT) | instid1(VALU_DEP_2)
	v_cmp_eq_u32_e32 vcc_lo, 0, v6
	v_cndmask_b32_e32 v6, v24, v7, vcc_lo
; %bb.476:                              ;   in Loop: Header=BB12_391 Depth=4
	s_or_b32 exec_lo, exec_lo, s40
	v_and_b32_e32 v25, 0xffff0000, v26
	v_and_b32_e32 v24, 0xffff0000, v18
	s_delay_alu instid0(VALU_DEP_2) | instskip(NEXT) | instid1(VALU_DEP_1)
	v_mov_b32_e32 v26, v25
	v_pk_mul_f32 v[24:25], v[26:27], v[24:25]
	s_delay_alu instid0(VALU_DEP_1) | instskip(NEXT) | instid1(VALU_DEP_1)
	v_and_b32_e32 v7, 0x7f800000, v24
	v_cmp_ne_u32_e32 vcc_lo, 0x7f800000, v7
                                        ; implicit-def: $vgpr7
	s_and_saveexec_b32 s40, vcc_lo
	s_delay_alu instid0(SALU_CYCLE_1)
	s_xor_b32 s40, exec_lo, s40
; %bb.477:                              ;   in Loop: Header=BB12_391 Depth=4
	v_bfe_u32 v7, v24, 16, 1
	s_delay_alu instid0(VALU_DEP_1)
	v_add3_u32 v7, v24, v7, 0x7fff
                                        ; implicit-def: $vgpr24_vgpr25
; %bb.478:                              ;   in Loop: Header=BB12_391 Depth=4
	s_and_not1_saveexec_b32 s40, s40
; %bb.479:                              ;   in Loop: Header=BB12_391 Depth=4
	v_and_b32_e32 v7, 0xffff, v24
	v_or_b32_e32 v25, 0x10000, v24
	s_delay_alu instid0(VALU_DEP_2) | instskip(NEXT) | instid1(VALU_DEP_2)
	v_cmp_eq_u32_e32 vcc_lo, 0, v7
	v_cndmask_b32_e32 v7, v25, v24, vcc_lo
; %bb.480:                              ;   in Loop: Header=BB12_391 Depth=4
	s_or_b32 exec_lo, exec_lo, s40
	v_lshlrev_b32_e32 v24, 16, v19
	v_lshlrev_b32_e32 v25, 16, v27
	s_mov_b32 s40, exec_lo
                                        ; implicit-def: $vgpr26
	s_delay_alu instid0(VALU_DEP_1) | instskip(NEXT) | instid1(VALU_DEP_1)
	v_mul_f32_e32 v24, v25, v24
	v_and_b32_e32 v25, 0x7f800000, v24
	s_delay_alu instid0(VALU_DEP_1)
	v_cmpx_ne_u32_e32 0x7f800000, v25
	s_xor_b32 s40, exec_lo, s40
; %bb.481:                              ;   in Loop: Header=BB12_391 Depth=4
	v_bfe_u32 v25, v24, 16, 1
	s_delay_alu instid0(VALU_DEP_1)
	v_add3_u32 v26, v24, v25, 0x7fff
                                        ; implicit-def: $vgpr24
; %bb.482:                              ;   in Loop: Header=BB12_391 Depth=4
	s_and_not1_saveexec_b32 s40, s40
; %bb.483:                              ;   in Loop: Header=BB12_391 Depth=4
	v_and_b32_e32 v25, 0xffff, v24
	v_or_b32_e32 v26, 0x10000, v24
	s_delay_alu instid0(VALU_DEP_2) | instskip(NEXT) | instid1(VALU_DEP_2)
	v_cmp_eq_u32_e32 vcc_lo, 0, v25
	v_cndmask_b32_e32 v26, v26, v24, vcc_lo
; %bb.484:                              ;   in Loop: Header=BB12_391 Depth=4
	s_or_b32 exec_lo, exec_lo, s40
	v_and_b32_e32 v25, 0xffff0000, v27
	v_and_b32_e32 v24, 0xffff0000, v19
	s_mov_b32 s40, exec_lo
                                        ; implicit-def: $vgpr27
	s_delay_alu instid0(VALU_DEP_2) | instskip(NEXT) | instid1(VALU_DEP_1)
	v_mov_b32_e32 v118, v25
	v_pk_mul_f32 v[24:25], v[118:119], v[24:25]
	s_delay_alu instid0(VALU_DEP_1) | instskip(NEXT) | instid1(VALU_DEP_1)
	v_and_b32_e32 v25, 0x7f800000, v24
	v_cmpx_ne_u32_e32 0x7f800000, v25
	s_xor_b32 s40, exec_lo, s40
; %bb.485:                              ;   in Loop: Header=BB12_391 Depth=4
	v_bfe_u32 v25, v24, 16, 1
	s_delay_alu instid0(VALU_DEP_1)
	v_add3_u32 v27, v24, v25, 0x7fff
                                        ; implicit-def: $vgpr24_vgpr25
; %bb.486:                              ;   in Loop: Header=BB12_391 Depth=4
	s_and_not1_saveexec_b32 s40, s40
; %bb.487:                              ;   in Loop: Header=BB12_391 Depth=4
	v_and_b32_e32 v25, 0xffff, v24
	v_or_b32_e32 v27, 0x10000, v24
	s_delay_alu instid0(VALU_DEP_2) | instskip(NEXT) | instid1(VALU_DEP_2)
	v_cmp_eq_u32_e32 vcc_lo, 0, v25
	v_cndmask_b32_e32 v27, v27, v24, vcc_lo
; %bb.488:                              ;   in Loop: Header=BB12_391 Depth=4
	s_or_b32 exec_lo, exec_lo, s40
	v_lshlrev_b32_e32 v24, 16, v12
	v_lshlrev_b32_e32 v25, 16, v8
	s_mov_b32 s40, exec_lo
                                        ; implicit-def: $vgpr44
	s_delay_alu instid0(VALU_DEP_1) | instskip(NEXT) | instid1(VALU_DEP_1)
	v_mul_f32_e32 v24, v24, v25
	v_and_b32_e32 v25, 0x7f800000, v24
	s_delay_alu instid0(VALU_DEP_1)
	v_cmpx_ne_u32_e32 0x7f800000, v25
	s_xor_b32 s40, exec_lo, s40
; %bb.489:                              ;   in Loop: Header=BB12_391 Depth=4
	v_bfe_u32 v25, v24, 16, 1
	s_delay_alu instid0(VALU_DEP_1)
	v_add3_u32 v44, v24, v25, 0x7fff
                                        ; implicit-def: $vgpr24
; %bb.490:                              ;   in Loop: Header=BB12_391 Depth=4
	s_and_not1_saveexec_b32 s40, s40
; %bb.491:                              ;   in Loop: Header=BB12_391 Depth=4
	v_and_b32_e32 v25, 0xffff, v24
	v_or_b32_e32 v118, 0x10000, v24
	s_delay_alu instid0(VALU_DEP_2) | instskip(NEXT) | instid1(VALU_DEP_2)
	v_cmp_eq_u32_e32 vcc_lo, 0, v25
	v_cndmask_b32_e32 v44, v118, v24, vcc_lo
; %bb.492:                              ;   in Loop: Header=BB12_391 Depth=4
	s_or_b32 exec_lo, exec_lo, s40
	v_and_b32_e32 v25, 0xffff0000, v12
	v_and_b32_e32 v24, 0xffff0000, v8
	s_mov_b32 s40, exec_lo
                                        ; implicit-def: $vgpr45
	s_delay_alu instid0(VALU_DEP_2) | instskip(NEXT) | instid1(VALU_DEP_1)
	v_mov_b32_e32 v12, v25
	v_pk_mul_f32 v[24:25], v[12:13], v[24:25]
	s_delay_alu instid0(VALU_DEP_1) | instskip(NEXT) | instid1(VALU_DEP_1)
	v_and_b32_e32 v12, 0x7f800000, v24
	v_cmpx_ne_u32_e32 0x7f800000, v12
	s_xor_b32 s40, exec_lo, s40
; %bb.493:                              ;   in Loop: Header=BB12_391 Depth=4
	v_bfe_u32 v12, v24, 16, 1
	s_delay_alu instid0(VALU_DEP_1)
	v_add3_u32 v45, v24, v12, 0x7fff
                                        ; implicit-def: $vgpr24_vgpr25
; %bb.494:                              ;   in Loop: Header=BB12_391 Depth=4
	s_and_not1_saveexec_b32 s40, s40
; %bb.495:                              ;   in Loop: Header=BB12_391 Depth=4
	v_and_b32_e32 v12, 0xffff, v24
	v_or_b32_e32 v25, 0x10000, v24
	s_delay_alu instid0(VALU_DEP_2) | instskip(NEXT) | instid1(VALU_DEP_2)
	v_cmp_eq_u32_e32 vcc_lo, 0, v12
	v_cndmask_b32_e32 v45, v25, v24, vcc_lo
; %bb.496:                              ;   in Loop: Header=BB12_391 Depth=4
	s_or_b32 exec_lo, exec_lo, s40
	v_lshlrev_b32_e32 v12, 16, v9
	v_lshlrev_b32_e32 v24, 16, v13
	s_mov_b32 s40, exec_lo
                                        ; implicit-def: $vgpr118
	s_delay_alu instid0(VALU_DEP_1) | instskip(NEXT) | instid1(VALU_DEP_1)
	v_mul_f32_e32 v12, v24, v12
	v_and_b32_e32 v24, 0x7f800000, v12
	s_delay_alu instid0(VALU_DEP_1)
	v_cmpx_ne_u32_e32 0x7f800000, v24
	s_xor_b32 s40, exec_lo, s40
; %bb.497:                              ;   in Loop: Header=BB12_391 Depth=4
	v_bfe_u32 v24, v12, 16, 1
	s_delay_alu instid0(VALU_DEP_1)
	v_add3_u32 v118, v12, v24, 0x7fff
                                        ; implicit-def: $vgpr12
; %bb.498:                              ;   in Loop: Header=BB12_391 Depth=4
	s_and_not1_saveexec_b32 s40, s40
; %bb.499:                              ;   in Loop: Header=BB12_391 Depth=4
	v_and_b32_e32 v24, 0xffff, v12
	v_or_b32_e32 v25, 0x10000, v12
	s_delay_alu instid0(VALU_DEP_2) | instskip(NEXT) | instid1(VALU_DEP_2)
	v_cmp_eq_u32_e32 vcc_lo, 0, v24
	v_cndmask_b32_e32 v118, v25, v12, vcc_lo
; %bb.500:                              ;   in Loop: Header=BB12_391 Depth=4
	s_or_b32 exec_lo, exec_lo, s40
	v_and_b32_e32 v13, 0xffff0000, v13
	v_and_b32_e32 v12, 0xffff0000, v9
	s_mov_b32 s40, exec_lo
                                        ; implicit-def: $vgpr119
	s_delay_alu instid0(VALU_DEP_2) | instskip(NEXT) | instid1(VALU_DEP_1)
	v_mov_b32_e32 v24, v13
	v_pk_mul_f32 v[12:13], v[24:25], v[12:13]
	s_delay_alu instid0(VALU_DEP_1) | instskip(NEXT) | instid1(VALU_DEP_1)
	v_and_b32_e32 v13, 0x7f800000, v12
	v_cmpx_ne_u32_e32 0x7f800000, v13
	s_xor_b32 s40, exec_lo, s40
; %bb.501:                              ;   in Loop: Header=BB12_391 Depth=4
	v_bfe_u32 v13, v12, 16, 1
	s_delay_alu instid0(VALU_DEP_1)
	v_add3_u32 v119, v12, v13, 0x7fff
                                        ; implicit-def: $vgpr12_vgpr13
; %bb.502:                              ;   in Loop: Header=BB12_391 Depth=4
	s_and_not1_saveexec_b32 s40, s40
; %bb.503:                              ;   in Loop: Header=BB12_391 Depth=4
	v_and_b32_e32 v13, 0xffff, v12
	v_or_b32_e32 v24, 0x10000, v12
	s_delay_alu instid0(VALU_DEP_2) | instskip(NEXT) | instid1(VALU_DEP_2)
	v_cmp_eq_u32_e32 vcc_lo, 0, v13
	v_cndmask_b32_e32 v119, v24, v12, vcc_lo
; %bb.504:                              ;   in Loop: Header=BB12_391 Depth=4
	s_or_b32 exec_lo, exec_lo, s40
	v_lshlrev_b32_e32 v12, 16, v14
	v_lshlrev_b32_e32 v13, 16, v10
	s_mov_b32 s40, exec_lo
                                        ; implicit-def: $vgpr123
	s_delay_alu instid0(VALU_DEP_1) | instskip(NEXT) | instid1(VALU_DEP_1)
	v_mul_f32_e32 v12, v12, v13
	v_and_b32_e32 v13, 0x7f800000, v12
	s_delay_alu instid0(VALU_DEP_1)
	v_cmpx_ne_u32_e32 0x7f800000, v13
	s_xor_b32 s40, exec_lo, s40
; %bb.505:                              ;   in Loop: Header=BB12_391 Depth=4
	v_bfe_u32 v13, v12, 16, 1
	s_delay_alu instid0(VALU_DEP_1)
	v_add3_u32 v123, v12, v13, 0x7fff
                                        ; implicit-def: $vgpr12
; %bb.506:                              ;   in Loop: Header=BB12_391 Depth=4
	s_and_not1_saveexec_b32 s40, s40
; %bb.507:                              ;   in Loop: Header=BB12_391 Depth=4
	v_and_b32_e32 v13, 0xffff, v12
	v_or_b32_e32 v24, 0x10000, v12
	s_delay_alu instid0(VALU_DEP_2) | instskip(NEXT) | instid1(VALU_DEP_2)
	v_cmp_eq_u32_e32 vcc_lo, 0, v13
	v_cndmask_b32_e32 v123, v24, v12, vcc_lo
; %bb.508:                              ;   in Loop: Header=BB12_391 Depth=4
	s_or_b32 exec_lo, exec_lo, s40
	v_and_b32_e32 v13, 0xffff0000, v14
	v_and_b32_e32 v12, 0xffff0000, v10
	s_mov_b32 s40, exec_lo
	s_delay_alu instid0(VALU_DEP_2) | instskip(NEXT) | instid1(VALU_DEP_1)
	v_mov_b32_e32 v14, v13
	v_pk_mul_f32 v[12:13], v[14:15], v[12:13]
                                        ; implicit-def: $vgpr14
	s_delay_alu instid0(VALU_DEP_1) | instskip(NEXT) | instid1(VALU_DEP_1)
	v_and_b32_e32 v13, 0x7f800000, v12
	v_cmpx_ne_u32_e32 0x7f800000, v13
	s_xor_b32 s40, exec_lo, s40
; %bb.509:                              ;   in Loop: Header=BB12_391 Depth=4
	v_bfe_u32 v13, v12, 16, 1
	s_delay_alu instid0(VALU_DEP_1)
	v_add3_u32 v14, v12, v13, 0x7fff
                                        ; implicit-def: $vgpr12_vgpr13
; %bb.510:                              ;   in Loop: Header=BB12_391 Depth=4
	s_and_not1_saveexec_b32 s40, s40
; %bb.511:                              ;   in Loop: Header=BB12_391 Depth=4
	v_and_b32_e32 v13, 0xffff, v12
	v_or_b32_e32 v14, 0x10000, v12
	s_delay_alu instid0(VALU_DEP_2) | instskip(NEXT) | instid1(VALU_DEP_2)
	v_cmp_eq_u32_e32 vcc_lo, 0, v13
	v_cndmask_b32_e32 v14, v14, v12, vcc_lo
; %bb.512:                              ;   in Loop: Header=BB12_391 Depth=4
	s_or_b32 exec_lo, exec_lo, s40
	v_lshlrev_b32_e32 v12, 16, v11
	v_lshlrev_b32_e32 v13, 16, v15
	s_mov_b32 s40, exec_lo
                                        ; implicit-def: $vgpr120
	s_delay_alu instid0(VALU_DEP_1) | instskip(NEXT) | instid1(VALU_DEP_1)
	v_mul_f32_e32 v12, v13, v12
	v_and_b32_e32 v13, 0x7f800000, v12
	s_delay_alu instid0(VALU_DEP_1)
	v_cmpx_ne_u32_e32 0x7f800000, v13
	s_xor_b32 s40, exec_lo, s40
; %bb.513:                              ;   in Loop: Header=BB12_391 Depth=4
	v_bfe_u32 v13, v12, 16, 1
	s_delay_alu instid0(VALU_DEP_1)
	v_add3_u32 v120, v12, v13, 0x7fff
                                        ; implicit-def: $vgpr12
; %bb.514:                              ;   in Loop: Header=BB12_391 Depth=4
	s_and_not1_saveexec_b32 s40, s40
; %bb.515:                              ;   in Loop: Header=BB12_391 Depth=4
	v_and_b32_e32 v13, 0xffff, v12
	v_or_b32_e32 v24, 0x10000, v12
	s_delay_alu instid0(VALU_DEP_2) | instskip(NEXT) | instid1(VALU_DEP_2)
	v_cmp_eq_u32_e32 vcc_lo, 0, v13
	v_cndmask_b32_e32 v120, v24, v12, vcc_lo
; %bb.516:                              ;   in Loop: Header=BB12_391 Depth=4
	s_or_b32 exec_lo, exec_lo, s40
	v_and_b32_e32 v13, 0xffff0000, v15
	v_and_b32_e32 v12, 0xffff0000, v11
	s_mov_b32 s40, exec_lo
                                        ; implicit-def: $vgpr15
	s_delay_alu instid0(VALU_DEP_2) | instskip(NEXT) | instid1(VALU_DEP_1)
	v_mov_b32_e32 v24, v13
	v_pk_mul_f32 v[12:13], v[24:25], v[12:13]
	s_delay_alu instid0(VALU_DEP_1) | instskip(NEXT) | instid1(VALU_DEP_1)
	v_and_b32_e32 v13, 0x7f800000, v12
	v_cmpx_ne_u32_e32 0x7f800000, v13
	s_xor_b32 s40, exec_lo, s40
; %bb.517:                              ;   in Loop: Header=BB12_391 Depth=4
	v_bfe_u32 v13, v12, 16, 1
	s_delay_alu instid0(VALU_DEP_1)
	v_add3_u32 v15, v12, v13, 0x7fff
                                        ; implicit-def: $vgpr12_vgpr13
; %bb.518:                              ;   in Loop: Header=BB12_391 Depth=4
	s_and_not1_saveexec_b32 s40, s40
; %bb.519:                              ;   in Loop: Header=BB12_391 Depth=4
	v_and_b32_e32 v13, 0xffff, v12
	v_or_b32_e32 v15, 0x10000, v12
	s_delay_alu instid0(VALU_DEP_2) | instskip(NEXT) | instid1(VALU_DEP_2)
	v_cmp_eq_u32_e32 vcc_lo, 0, v13
	v_cndmask_b32_e32 v15, v15, v12, vcc_lo
; %bb.520:                              ;   in Loop: Header=BB12_391 Depth=4
	s_or_b32 exec_lo, exec_lo, s40
	v_dual_lshrrev_b32 v12, 16, v36 :: v_dual_lshrrev_b32 v13, 16, v46
	v_dual_lshrrev_b32 v6, 16, v6 :: v_dual_lshrrev_b32 v80, 16, v80
	v_lshrrev_b32_e32 v36, 16, v26
	s_delay_alu instid0(VALU_DEP_3) | instskip(SKIP_1) | instid1(VALU_DEP_4)
	v_and_or_b32 v25, 0xffff0000, v37, v12
	v_lshrrev_b32_e32 v12, 16, v94
	v_and_or_b32 v26, 0xffff0000, v7, v6
	v_lshrrev_b32_e32 v6, 16, v108
	v_and_or_b32 v24, 0xffff0000, v47, v13
	v_and_or_b32 v27, 0xffff0000, v27, v36
	v_lshrrev_b32_e32 v7, 16, v109
	v_and_or_b32 v36, 0xffff0000, v95, v12
	v_dual_lshrrev_b32 v12, 16, v43 :: v_dual_lshrrev_b32 v13, 16, v77
	v_lshrrev_b32_e32 v43, 16, v125
	v_and_or_b32 v38, 0xffff0000, v38, v6
	v_lshrrev_b32_e32 v6, 16, v122
	v_and_or_b32 v37, 0xffff0000, v81, v80
	v_and_or_b32 v39, 0xffff0000, v39, v7
	;; [unrolled: 1-line block ×4, first 2 shown]
	v_dual_lshrrev_b32 v7, 16, v118 :: v_dual_lshrrev_b32 v12, 16, v44
	v_dual_lshrrev_b32 v118, 16, v123 :: v_dual_lshrrev_b32 v42, 16, v120
	v_and_or_b32 v82, 0xffff0000, v82, v43
	v_and_or_b32 v83, 0xffff0000, v83, v6
	s_delay_alu instid0(VALU_DEP_4)
	v_and_or_b32 v13, 0xffff0000, v119, v7
	v_and_or_b32 v12, 0xffff0000, v45, v12
	;; [unrolled: 1-line block ×4, first 2 shown]
	s_clause 0x3
	global_store_b128 v[74:75], v[80:83], off th:TH_STORE_NT
	global_store_b128 v[74:75], v[36:39], off offset:512 th:TH_STORE_NT
	global_store_b128 v[74:75], v[24:27], off offset:1024 th:TH_STORE_NT
	;; [unrolled: 1-line block ×3, first 2 shown]
	s_wait_xcnt 0x0
	v_add_nc_u64_e32 v[74:75], v[74:75], v[106:107]
.LBB12_521:                             ;   in Loop: Header=BB12_391 Depth=4
	s_or_b32 exec_lo, exec_lo, s41
	v_sub_nc_u32_e32 v31, v31, v60
	v_add_nc_u64_e32 v[62:63], v[62:63], v[106:107]
	v_add_nc_u64_e32 v[110:111], v[110:111], v[106:107]
	s_delay_alu instid0(VALU_DEP_3)
	v_cmp_lt_i32_e64 s40, 0, v31
	s_and_saveexec_b32 s41, s40
	s_cbranch_execz .LBB12_523
; %bb.522:                              ;   in Loop: Header=BB12_391 Depth=4
	s_clause 0x3
	global_load_b128 v[80:83], v[62:63], off th:TH_LOAD_NT
	global_load_b128 v[36:39], v[62:63], off offset:512 th:TH_LOAD_NT
	global_load_b128 v[24:27], v[62:63], off offset:1024 th:TH_LOAD_NT
	global_load_b128 v[12:15], v[62:63], off offset:1536 th:TH_LOAD_NT
	s_clause 0x3
	global_load_b128 v[32:35], v[110:111], off th:TH_LOAD_NT
	global_load_b128 v[20:23], v[110:111], off offset:512 th:TH_LOAD_NT
	global_load_b128 v[16:19], v[110:111], off offset:1024 th:TH_LOAD_NT
	;; [unrolled: 1-line block ×3, first 2 shown]
	s_wait_xcnt 0x4
	v_add_nc_u64_e32 v[62:63], 0x800, v[62:63]
	s_wait_xcnt 0x0
	v_add_nc_u64_e32 v[110:111], 0x800, v[110:111]
.LBB12_523:                             ;   in Loop: Header=BB12_391 Depth=4
	s_or_b32 exec_lo, exec_lo, s41
	s_wait_loadcnt 0x7
	v_lshlrev_b32_e32 v6, 16, v100
	s_wait_loadcnt 0x3
	v_lshlrev_b32_e32 v7, 16, v112
	s_mov_b32 s41, exec_lo
                                        ; implicit-def: $vgpr77
	s_delay_alu instid0(VALU_DEP_1) | instskip(NEXT) | instid1(VALU_DEP_1)
	v_mul_f32_e32 v6, v7, v6
	v_and_b32_e32 v7, 0x7f800000, v6
	s_delay_alu instid0(VALU_DEP_1)
	v_cmpx_ne_u32_e32 0x7f800000, v7
	s_xor_b32 s41, exec_lo, s41
; %bb.524:                              ;   in Loop: Header=BB12_391 Depth=4
	v_bfe_u32 v7, v6, 16, 1
	s_delay_alu instid0(VALU_DEP_1)
	v_add3_u32 v77, v6, v7, 0x7fff
                                        ; implicit-def: $vgpr6
; %bb.525:                              ;   in Loop: Header=BB12_391 Depth=4
	s_and_not1_saveexec_b32 s41, s41
; %bb.526:                              ;   in Loop: Header=BB12_391 Depth=4
	v_and_b32_e32 v7, 0xffff, v6
	v_or_b32_e32 v118, 0x10000, v6
	s_delay_alu instid0(VALU_DEP_2) | instskip(NEXT) | instid1(VALU_DEP_2)
	v_cmp_eq_u32_e32 vcc_lo, 0, v7
	v_cndmask_b32_e32 v77, v118, v6, vcc_lo
; %bb.527:                              ;   in Loop: Header=BB12_391 Depth=4
	s_or_b32 exec_lo, exec_lo, s41
	v_and_b32_e32 v7, 0xffff0000, v112
	v_and_b32_e32 v6, 0xffff0000, v100
	s_mov_b32 s41, exec_lo
                                        ; implicit-def: $vgpr112
	s_delay_alu instid0(VALU_DEP_2) | instskip(NEXT) | instid1(VALU_DEP_1)
	v_mov_b32_e32 v100, v7
	v_pk_mul_f32 v[124:125], v[100:101], v[6:7]
	s_delay_alu instid0(VALU_DEP_1) | instskip(NEXT) | instid1(VALU_DEP_1)
	v_and_b32_e32 v6, 0x7f800000, v124
	v_cmpx_ne_u32_e32 0x7f800000, v6
	s_xor_b32 s41, exec_lo, s41
; %bb.528:                              ;   in Loop: Header=BB12_391 Depth=4
	v_bfe_u32 v6, v124, 16, 1
	s_delay_alu instid0(VALU_DEP_1)
	v_add3_u32 v112, v124, v6, 0x7fff
                                        ; implicit-def: $vgpr124_vgpr125
; %bb.529:                              ;   in Loop: Header=BB12_391 Depth=4
	s_and_not1_saveexec_b32 s41, s41
; %bb.530:                              ;   in Loop: Header=BB12_391 Depth=4
	v_and_b32_e32 v6, 0xffff, v124
	v_or_b32_e32 v7, 0x10000, v124
	s_delay_alu instid0(VALU_DEP_2) | instskip(NEXT) | instid1(VALU_DEP_2)
	v_cmp_eq_u32_e32 vcc_lo, 0, v6
	v_cndmask_b32_e32 v112, v7, v124, vcc_lo
; %bb.531:                              ;   in Loop: Header=BB12_391 Depth=4
	s_or_b32 exec_lo, exec_lo, s41
	v_lshlrev_b32_e32 v6, 16, v101
	v_lshlrev_b32_e32 v7, 16, v113
	s_mov_b32 s41, exec_lo
                                        ; implicit-def: $vgpr42
	s_delay_alu instid0(VALU_DEP_1) | instskip(NEXT) | instid1(VALU_DEP_1)
	v_mul_f32_e32 v6, v7, v6
	v_and_b32_e32 v7, 0x7f800000, v6
	s_delay_alu instid0(VALU_DEP_1)
	v_cmpx_ne_u32_e32 0x7f800000, v7
	s_xor_b32 s41, exec_lo, s41
; %bb.532:                              ;   in Loop: Header=BB12_391 Depth=4
	v_bfe_u32 v7, v6, 16, 1
	s_delay_alu instid0(VALU_DEP_1)
	v_add3_u32 v42, v6, v7, 0x7fff
                                        ; implicit-def: $vgpr6
; %bb.533:                              ;   in Loop: Header=BB12_391 Depth=4
	s_and_not1_saveexec_b32 s41, s41
; %bb.534:                              ;   in Loop: Header=BB12_391 Depth=4
	v_and_b32_e32 v7, 0xffff, v6
	v_or_b32_e32 v100, 0x10000, v6
	s_delay_alu instid0(VALU_DEP_2) | instskip(NEXT) | instid1(VALU_DEP_2)
	v_cmp_eq_u32_e32 vcc_lo, 0, v7
	v_cndmask_b32_e32 v42, v100, v6, vcc_lo
; %bb.535:                              ;   in Loop: Header=BB12_391 Depth=4
	s_or_b32 exec_lo, exec_lo, s41
	v_and_b32_e32 v7, 0xffff0000, v113
	v_and_b32_e32 v6, 0xffff0000, v101
	s_mov_b32 s41, exec_lo
                                        ; implicit-def: $vgpr113
	s_delay_alu instid0(VALU_DEP_2) | instskip(NEXT) | instid1(VALU_DEP_1)
	v_mov_b32_e32 v100, v7
	v_pk_mul_f32 v[100:101], v[100:101], v[6:7]
	s_delay_alu instid0(VALU_DEP_1) | instskip(NEXT) | instid1(VALU_DEP_1)
	v_and_b32_e32 v6, 0x7f800000, v100
	v_cmpx_ne_u32_e32 0x7f800000, v6
	s_xor_b32 s41, exec_lo, s41
; %bb.536:                              ;   in Loop: Header=BB12_391 Depth=4
	v_bfe_u32 v6, v100, 16, 1
	s_delay_alu instid0(VALU_DEP_1)
	v_add3_u32 v113, v100, v6, 0x7fff
                                        ; implicit-def: $vgpr100_vgpr101
; %bb.537:                              ;   in Loop: Header=BB12_391 Depth=4
	s_and_not1_saveexec_b32 s41, s41
; %bb.538:                              ;   in Loop: Header=BB12_391 Depth=4
	v_and_b32_e32 v6, 0xffff, v100
	v_or_b32_e32 v7, 0x10000, v100
	s_delay_alu instid0(VALU_DEP_2) | instskip(NEXT) | instid1(VALU_DEP_2)
	v_cmp_eq_u32_e32 vcc_lo, 0, v6
	v_cndmask_b32_e32 v113, v7, v100, vcc_lo
; %bb.539:                              ;   in Loop: Header=BB12_391 Depth=4
	s_or_b32 exec_lo, exec_lo, s41
	v_lshlrev_b32_e32 v6, 16, v102
	v_lshlrev_b32_e32 v7, 16, v114
	s_mov_b32 s41, exec_lo
                                        ; implicit-def: $vgpr43
	s_delay_alu instid0(VALU_DEP_1) | instskip(NEXT) | instid1(VALU_DEP_1)
	v_mul_f32_e32 v6, v7, v6
	v_and_b32_e32 v7, 0x7f800000, v6
	s_delay_alu instid0(VALU_DEP_1)
	v_cmpx_ne_u32_e32 0x7f800000, v7
	s_xor_b32 s41, exec_lo, s41
; %bb.540:                              ;   in Loop: Header=BB12_391 Depth=4
	v_bfe_u32 v7, v6, 16, 1
	s_delay_alu instid0(VALU_DEP_1)
	v_add3_u32 v43, v6, v7, 0x7fff
                                        ; implicit-def: $vgpr6
; %bb.541:                              ;   in Loop: Header=BB12_391 Depth=4
	s_and_not1_saveexec_b32 s41, s41
; %bb.542:                              ;   in Loop: Header=BB12_391 Depth=4
	v_and_b32_e32 v7, 0xffff, v6
	v_or_b32_e32 v100, 0x10000, v6
	s_delay_alu instid0(VALU_DEP_2) | instskip(NEXT) | instid1(VALU_DEP_2)
	v_cmp_eq_u32_e32 vcc_lo, 0, v7
	v_cndmask_b32_e32 v43, v100, v6, vcc_lo
; %bb.543:                              ;   in Loop: Header=BB12_391 Depth=4
	s_or_b32 exec_lo, exec_lo, s41
	v_and_b32_e32 v7, 0xffff0000, v114
	v_and_b32_e32 v6, 0xffff0000, v102
	s_mov_b32 s41, exec_lo
                                        ; implicit-def: $vgpr102
	s_delay_alu instid0(VALU_DEP_2) | instskip(NEXT) | instid1(VALU_DEP_1)
	v_mov_b32_e32 v100, v7
	v_pk_mul_f32 v[100:101], v[100:101], v[6:7]
	s_delay_alu instid0(VALU_DEP_1) | instskip(NEXT) | instid1(VALU_DEP_1)
	v_and_b32_e32 v6, 0x7f800000, v100
	v_cmpx_ne_u32_e32 0x7f800000, v6
	s_xor_b32 s41, exec_lo, s41
; %bb.544:                              ;   in Loop: Header=BB12_391 Depth=4
	v_bfe_u32 v6, v100, 16, 1
	s_delay_alu instid0(VALU_DEP_1)
	v_add3_u32 v102, v100, v6, 0x7fff
                                        ; implicit-def: $vgpr100_vgpr101
; %bb.545:                              ;   in Loop: Header=BB12_391 Depth=4
	s_and_not1_saveexec_b32 s41, s41
; %bb.546:                              ;   in Loop: Header=BB12_391 Depth=4
	v_and_b32_e32 v6, 0xffff, v100
	v_or_b32_e32 v7, 0x10000, v100
	s_delay_alu instid0(VALU_DEP_2) | instskip(NEXT) | instid1(VALU_DEP_2)
	v_cmp_eq_u32_e32 vcc_lo, 0, v6
	v_cndmask_b32_e32 v102, v7, v100, vcc_lo
; %bb.547:                              ;   in Loop: Header=BB12_391 Depth=4
	s_or_b32 exec_lo, exec_lo, s41
	v_lshlrev_b32_e32 v6, 16, v103
	v_lshlrev_b32_e32 v7, 16, v115
	s_mov_b32 s41, exec_lo
                                        ; implicit-def: $vgpr114
	s_delay_alu instid0(VALU_DEP_1) | instskip(NEXT) | instid1(VALU_DEP_1)
	v_mul_f32_e32 v6, v7, v6
	v_and_b32_e32 v7, 0x7f800000, v6
	s_delay_alu instid0(VALU_DEP_1)
	v_cmpx_ne_u32_e32 0x7f800000, v7
	s_xor_b32 s41, exec_lo, s41
; %bb.548:                              ;   in Loop: Header=BB12_391 Depth=4
	v_bfe_u32 v7, v6, 16, 1
	s_delay_alu instid0(VALU_DEP_1)
	v_add3_u32 v114, v6, v7, 0x7fff
                                        ; implicit-def: $vgpr6
; %bb.549:                              ;   in Loop: Header=BB12_391 Depth=4
	s_and_not1_saveexec_b32 s41, s41
; %bb.550:                              ;   in Loop: Header=BB12_391 Depth=4
	v_and_b32_e32 v7, 0xffff, v6
	v_or_b32_e32 v100, 0x10000, v6
	s_delay_alu instid0(VALU_DEP_2) | instskip(NEXT) | instid1(VALU_DEP_2)
	v_cmp_eq_u32_e32 vcc_lo, 0, v7
	v_cndmask_b32_e32 v114, v100, v6, vcc_lo
; %bb.551:                              ;   in Loop: Header=BB12_391 Depth=4
	s_or_b32 exec_lo, exec_lo, s41
	v_and_b32_e32 v7, 0xffff0000, v115
	v_and_b32_e32 v6, 0xffff0000, v103
	s_mov_b32 s41, exec_lo
                                        ; implicit-def: $vgpr103
	s_delay_alu instid0(VALU_DEP_2) | instskip(NEXT) | instid1(VALU_DEP_1)
	v_mov_b32_e32 v100, v7
	v_pk_mul_f32 v[100:101], v[100:101], v[6:7]
	s_delay_alu instid0(VALU_DEP_1) | instskip(NEXT) | instid1(VALU_DEP_1)
	v_and_b32_e32 v6, 0x7f800000, v100
	v_cmpx_ne_u32_e32 0x7f800000, v6
	s_xor_b32 s41, exec_lo, s41
; %bb.552:                              ;   in Loop: Header=BB12_391 Depth=4
	v_bfe_u32 v6, v100, 16, 1
	s_delay_alu instid0(VALU_DEP_1)
	v_add3_u32 v103, v100, v6, 0x7fff
                                        ; implicit-def: $vgpr100_vgpr101
; %bb.553:                              ;   in Loop: Header=BB12_391 Depth=4
	s_and_not1_saveexec_b32 s41, s41
; %bb.554:                              ;   in Loop: Header=BB12_391 Depth=4
	v_and_b32_e32 v6, 0xffff, v100
	v_or_b32_e32 v7, 0x10000, v100
	s_delay_alu instid0(VALU_DEP_2) | instskip(NEXT) | instid1(VALU_DEP_2)
	v_cmp_eq_u32_e32 vcc_lo, 0, v6
	v_cndmask_b32_e32 v103, v7, v100, vcc_lo
; %bb.555:                              ;   in Loop: Header=BB12_391 Depth=4
	s_or_b32 exec_lo, exec_lo, s41
	v_lshlrev_b32_e32 v6, 16, v84
	s_wait_loadcnt 0x2
	v_lshlrev_b32_e32 v7, 16, v96
	s_mov_b32 s41, exec_lo
                                        ; implicit-def: $vgpr115
	s_delay_alu instid0(VALU_DEP_1) | instskip(NEXT) | instid1(VALU_DEP_1)
	v_mul_f32_e32 v6, v7, v6
	v_and_b32_e32 v7, 0x7f800000, v6
	s_delay_alu instid0(VALU_DEP_1)
	v_cmpx_ne_u32_e32 0x7f800000, v7
	s_xor_b32 s41, exec_lo, s41
; %bb.556:                              ;   in Loop: Header=BB12_391 Depth=4
	v_bfe_u32 v7, v6, 16, 1
	s_delay_alu instid0(VALU_DEP_1)
	v_add3_u32 v115, v6, v7, 0x7fff
                                        ; implicit-def: $vgpr6
; %bb.557:                              ;   in Loop: Header=BB12_391 Depth=4
	s_and_not1_saveexec_b32 s41, s41
; %bb.558:                              ;   in Loop: Header=BB12_391 Depth=4
	v_and_b32_e32 v7, 0xffff, v6
	v_or_b32_e32 v100, 0x10000, v6
	s_delay_alu instid0(VALU_DEP_2) | instskip(NEXT) | instid1(VALU_DEP_2)
	v_cmp_eq_u32_e32 vcc_lo, 0, v7
	v_cndmask_b32_e32 v115, v100, v6, vcc_lo
; %bb.559:                              ;   in Loop: Header=BB12_391 Depth=4
	s_or_b32 exec_lo, exec_lo, s41
	v_and_b32_e32 v7, 0xffff0000, v96
	v_and_b32_e32 v6, 0xffff0000, v84
	s_mov_b32 s41, exec_lo
                                        ; implicit-def: $vgpr96
	s_delay_alu instid0(VALU_DEP_2) | instskip(NEXT) | instid1(VALU_DEP_1)
	v_mov_b32_e32 v84, v7
	v_pk_mul_f32 v[100:101], v[84:85], v[6:7]
	s_delay_alu instid0(VALU_DEP_1) | instskip(NEXT) | instid1(VALU_DEP_1)
	v_and_b32_e32 v6, 0x7f800000, v100
	v_cmpx_ne_u32_e32 0x7f800000, v6
	s_xor_b32 s41, exec_lo, s41
; %bb.560:                              ;   in Loop: Header=BB12_391 Depth=4
	v_bfe_u32 v6, v100, 16, 1
	s_delay_alu instid0(VALU_DEP_1)
	v_add3_u32 v96, v100, v6, 0x7fff
                                        ; implicit-def: $vgpr100_vgpr101
; %bb.561:                              ;   in Loop: Header=BB12_391 Depth=4
	s_and_not1_saveexec_b32 s41, s41
; %bb.562:                              ;   in Loop: Header=BB12_391 Depth=4
	v_and_b32_e32 v6, 0xffff, v100
	v_or_b32_e32 v7, 0x10000, v100
	s_delay_alu instid0(VALU_DEP_2) | instskip(NEXT) | instid1(VALU_DEP_2)
	v_cmp_eq_u32_e32 vcc_lo, 0, v6
	v_cndmask_b32_e32 v96, v7, v100, vcc_lo
; %bb.563:                              ;   in Loop: Header=BB12_391 Depth=4
	s_or_b32 exec_lo, exec_lo, s41
	v_lshlrev_b32_e32 v6, 16, v85
	v_lshlrev_b32_e32 v7, 16, v97
	s_mov_b32 s41, exec_lo
                                        ; implicit-def: $vgpr100
	s_delay_alu instid0(VALU_DEP_1) | instskip(NEXT) | instid1(VALU_DEP_1)
	v_mul_f32_e32 v6, v7, v6
	v_and_b32_e32 v7, 0x7f800000, v6
	s_delay_alu instid0(VALU_DEP_1)
	v_cmpx_ne_u32_e32 0x7f800000, v7
	s_xor_b32 s41, exec_lo, s41
; %bb.564:                              ;   in Loop: Header=BB12_391 Depth=4
	v_bfe_u32 v7, v6, 16, 1
	s_delay_alu instid0(VALU_DEP_1)
	v_add3_u32 v100, v6, v7, 0x7fff
                                        ; implicit-def: $vgpr6
; %bb.565:                              ;   in Loop: Header=BB12_391 Depth=4
	s_and_not1_saveexec_b32 s41, s41
; %bb.566:                              ;   in Loop: Header=BB12_391 Depth=4
	v_and_b32_e32 v7, 0xffff, v6
	v_or_b32_e32 v84, 0x10000, v6
	s_delay_alu instid0(VALU_DEP_2) | instskip(NEXT) | instid1(VALU_DEP_2)
	v_cmp_eq_u32_e32 vcc_lo, 0, v7
	v_cndmask_b32_e32 v100, v84, v6, vcc_lo
; %bb.567:                              ;   in Loop: Header=BB12_391 Depth=4
	s_or_b32 exec_lo, exec_lo, s41
	v_and_b32_e32 v7, 0xffff0000, v97
	v_and_b32_e32 v6, 0xffff0000, v85
	s_mov_b32 s41, exec_lo
                                        ; implicit-def: $vgpr97
	s_delay_alu instid0(VALU_DEP_2) | instskip(NEXT) | instid1(VALU_DEP_1)
	v_mov_b32_e32 v84, v7
	v_pk_mul_f32 v[84:85], v[84:85], v[6:7]
	s_delay_alu instid0(VALU_DEP_1) | instskip(NEXT) | instid1(VALU_DEP_1)
	v_and_b32_e32 v6, 0x7f800000, v84
	v_cmpx_ne_u32_e32 0x7f800000, v6
	s_xor_b32 s41, exec_lo, s41
; %bb.568:                              ;   in Loop: Header=BB12_391 Depth=4
	v_bfe_u32 v6, v84, 16, 1
	s_delay_alu instid0(VALU_DEP_1)
	v_add3_u32 v97, v84, v6, 0x7fff
                                        ; implicit-def: $vgpr84_vgpr85
; %bb.569:                              ;   in Loop: Header=BB12_391 Depth=4
	s_and_not1_saveexec_b32 s41, s41
; %bb.570:                              ;   in Loop: Header=BB12_391 Depth=4
	v_and_b32_e32 v6, 0xffff, v84
	v_or_b32_e32 v7, 0x10000, v84
	s_delay_alu instid0(VALU_DEP_2) | instskip(NEXT) | instid1(VALU_DEP_2)
	v_cmp_eq_u32_e32 vcc_lo, 0, v6
	v_cndmask_b32_e32 v97, v7, v84, vcc_lo
; %bb.571:                              ;   in Loop: Header=BB12_391 Depth=4
	s_or_b32 exec_lo, exec_lo, s41
	v_lshlrev_b32_e32 v6, 16, v86
	v_lshlrev_b32_e32 v7, 16, v98
	s_mov_b32 s41, exec_lo
                                        ; implicit-def: $vgpr101
	s_delay_alu instid0(VALU_DEP_1) | instskip(NEXT) | instid1(VALU_DEP_1)
	v_mul_f32_e32 v6, v7, v6
	v_and_b32_e32 v7, 0x7f800000, v6
	s_delay_alu instid0(VALU_DEP_1)
	v_cmpx_ne_u32_e32 0x7f800000, v7
	s_xor_b32 s41, exec_lo, s41
; %bb.572:                              ;   in Loop: Header=BB12_391 Depth=4
	v_bfe_u32 v7, v6, 16, 1
	s_delay_alu instid0(VALU_DEP_1)
	v_add3_u32 v101, v6, v7, 0x7fff
                                        ; implicit-def: $vgpr6
; %bb.573:                              ;   in Loop: Header=BB12_391 Depth=4
	s_and_not1_saveexec_b32 s41, s41
; %bb.574:                              ;   in Loop: Header=BB12_391 Depth=4
	v_and_b32_e32 v7, 0xffff, v6
	v_or_b32_e32 v84, 0x10000, v6
	s_delay_alu instid0(VALU_DEP_2) | instskip(NEXT) | instid1(VALU_DEP_2)
	v_cmp_eq_u32_e32 vcc_lo, 0, v7
	v_cndmask_b32_e32 v101, v84, v6, vcc_lo
; %bb.575:                              ;   in Loop: Header=BB12_391 Depth=4
	s_or_b32 exec_lo, exec_lo, s41
	v_and_b32_e32 v7, 0xffff0000, v98
	v_and_b32_e32 v6, 0xffff0000, v86
	s_mov_b32 s41, exec_lo
                                        ; implicit-def: $vgpr86
	s_delay_alu instid0(VALU_DEP_2) | instskip(NEXT) | instid1(VALU_DEP_1)
	v_mov_b32_e32 v84, v7
	v_pk_mul_f32 v[84:85], v[84:85], v[6:7]
	s_delay_alu instid0(VALU_DEP_1) | instskip(NEXT) | instid1(VALU_DEP_1)
	v_and_b32_e32 v6, 0x7f800000, v84
	v_cmpx_ne_u32_e32 0x7f800000, v6
	s_xor_b32 s41, exec_lo, s41
; %bb.576:                              ;   in Loop: Header=BB12_391 Depth=4
	v_bfe_u32 v6, v84, 16, 1
	s_delay_alu instid0(VALU_DEP_1)
	v_add3_u32 v86, v84, v6, 0x7fff
                                        ; implicit-def: $vgpr84_vgpr85
; %bb.577:                              ;   in Loop: Header=BB12_391 Depth=4
	s_and_not1_saveexec_b32 s41, s41
; %bb.578:                              ;   in Loop: Header=BB12_391 Depth=4
	v_and_b32_e32 v6, 0xffff, v84
	v_or_b32_e32 v7, 0x10000, v84
	s_delay_alu instid0(VALU_DEP_2) | instskip(NEXT) | instid1(VALU_DEP_2)
	v_cmp_eq_u32_e32 vcc_lo, 0, v6
	v_cndmask_b32_e32 v86, v7, v84, vcc_lo
; %bb.579:                              ;   in Loop: Header=BB12_391 Depth=4
	s_or_b32 exec_lo, exec_lo, s41
	v_lshlrev_b32_e32 v6, 16, v87
	v_lshlrev_b32_e32 v7, 16, v99
	s_mov_b32 s41, exec_lo
                                        ; implicit-def: $vgpr98
	s_delay_alu instid0(VALU_DEP_1) | instskip(NEXT) | instid1(VALU_DEP_1)
	v_mul_f32_e32 v6, v7, v6
	v_and_b32_e32 v7, 0x7f800000, v6
	s_delay_alu instid0(VALU_DEP_1)
	v_cmpx_ne_u32_e32 0x7f800000, v7
	s_xor_b32 s41, exec_lo, s41
; %bb.580:                              ;   in Loop: Header=BB12_391 Depth=4
	v_bfe_u32 v7, v6, 16, 1
	s_delay_alu instid0(VALU_DEP_1)
	v_add3_u32 v98, v6, v7, 0x7fff
                                        ; implicit-def: $vgpr6
; %bb.581:                              ;   in Loop: Header=BB12_391 Depth=4
	s_and_not1_saveexec_b32 s41, s41
; %bb.582:                              ;   in Loop: Header=BB12_391 Depth=4
	v_and_b32_e32 v7, 0xffff, v6
	v_or_b32_e32 v84, 0x10000, v6
	s_delay_alu instid0(VALU_DEP_2) | instskip(NEXT) | instid1(VALU_DEP_2)
	v_cmp_eq_u32_e32 vcc_lo, 0, v7
	v_cndmask_b32_e32 v98, v84, v6, vcc_lo
; %bb.583:                              ;   in Loop: Header=BB12_391 Depth=4
	s_or_b32 exec_lo, exec_lo, s41
	v_and_b32_e32 v7, 0xffff0000, v99
	v_and_b32_e32 v6, 0xffff0000, v87
	s_mov_b32 s41, exec_lo
                                        ; implicit-def: $vgpr87
	s_delay_alu instid0(VALU_DEP_2) | instskip(NEXT) | instid1(VALU_DEP_1)
	v_mov_b32_e32 v84, v7
	v_pk_mul_f32 v[84:85], v[84:85], v[6:7]
	s_delay_alu instid0(VALU_DEP_1) | instskip(NEXT) | instid1(VALU_DEP_1)
	v_and_b32_e32 v6, 0x7f800000, v84
	v_cmpx_ne_u32_e32 0x7f800000, v6
	s_xor_b32 s41, exec_lo, s41
; %bb.584:                              ;   in Loop: Header=BB12_391 Depth=4
	v_bfe_u32 v6, v84, 16, 1
	s_delay_alu instid0(VALU_DEP_1)
	v_add3_u32 v87, v84, v6, 0x7fff
                                        ; implicit-def: $vgpr84_vgpr85
; %bb.585:                              ;   in Loop: Header=BB12_391 Depth=4
	s_and_not1_saveexec_b32 s41, s41
; %bb.586:                              ;   in Loop: Header=BB12_391 Depth=4
	v_and_b32_e32 v6, 0xffff, v84
	v_or_b32_e32 v7, 0x10000, v84
	s_delay_alu instid0(VALU_DEP_2) | instskip(NEXT) | instid1(VALU_DEP_2)
	v_cmp_eq_u32_e32 vcc_lo, 0, v6
	v_cndmask_b32_e32 v87, v7, v84, vcc_lo
; %bb.587:                              ;   in Loop: Header=BB12_391 Depth=4
	s_or_b32 exec_lo, exec_lo, s41
	v_lshlrev_b32_e32 v6, 16, v64
	s_wait_loadcnt 0x1
	v_lshlrev_b32_e32 v7, 16, v68
	s_mov_b32 s41, exec_lo
                                        ; implicit-def: $vgpr99
	s_delay_alu instid0(VALU_DEP_1) | instskip(NEXT) | instid1(VALU_DEP_1)
	v_mul_f32_e32 v6, v7, v6
	v_and_b32_e32 v7, 0x7f800000, v6
	s_delay_alu instid0(VALU_DEP_1)
	v_cmpx_ne_u32_e32 0x7f800000, v7
	s_xor_b32 s41, exec_lo, s41
; %bb.588:                              ;   in Loop: Header=BB12_391 Depth=4
	v_bfe_u32 v7, v6, 16, 1
	s_delay_alu instid0(VALU_DEP_1)
	v_add3_u32 v99, v6, v7, 0x7fff
                                        ; implicit-def: $vgpr6
; %bb.589:                              ;   in Loop: Header=BB12_391 Depth=4
	s_and_not1_saveexec_b32 s41, s41
; %bb.590:                              ;   in Loop: Header=BB12_391 Depth=4
	v_and_b32_e32 v7, 0xffff, v6
	v_or_b32_e32 v84, 0x10000, v6
	s_delay_alu instid0(VALU_DEP_2) | instskip(NEXT) | instid1(VALU_DEP_2)
	v_cmp_eq_u32_e32 vcc_lo, 0, v7
	v_cndmask_b32_e32 v99, v84, v6, vcc_lo
; %bb.591:                              ;   in Loop: Header=BB12_391 Depth=4
	s_or_b32 exec_lo, exec_lo, s41
	v_and_b32_e32 v7, 0xffff0000, v68
	v_and_b32_e32 v6, 0xffff0000, v64
	s_mov_b32 s41, exec_lo
                                        ; implicit-def: $vgpr68
	s_delay_alu instid0(VALU_DEP_2) | instskip(NEXT) | instid1(VALU_DEP_1)
	v_mov_b32_e32 v64, v7
	v_pk_mul_f32 v[84:85], v[64:65], v[6:7]
	s_delay_alu instid0(VALU_DEP_1) | instskip(NEXT) | instid1(VALU_DEP_1)
	v_and_b32_e32 v6, 0x7f800000, v84
	v_cmpx_ne_u32_e32 0x7f800000, v6
	s_xor_b32 s41, exec_lo, s41
; %bb.592:                              ;   in Loop: Header=BB12_391 Depth=4
	v_bfe_u32 v6, v84, 16, 1
	s_delay_alu instid0(VALU_DEP_1)
	v_add3_u32 v68, v84, v6, 0x7fff
                                        ; implicit-def: $vgpr84_vgpr85
; %bb.593:                              ;   in Loop: Header=BB12_391 Depth=4
	s_and_not1_saveexec_b32 s41, s41
; %bb.594:                              ;   in Loop: Header=BB12_391 Depth=4
	v_and_b32_e32 v6, 0xffff, v84
	v_or_b32_e32 v7, 0x10000, v84
	s_delay_alu instid0(VALU_DEP_2) | instskip(NEXT) | instid1(VALU_DEP_2)
	v_cmp_eq_u32_e32 vcc_lo, 0, v6
	v_cndmask_b32_e32 v68, v7, v84, vcc_lo
; %bb.595:                              ;   in Loop: Header=BB12_391 Depth=4
	s_or_b32 exec_lo, exec_lo, s41
	v_lshlrev_b32_e32 v6, 16, v65
	v_lshlrev_b32_e32 v7, 16, v69
	s_mov_b32 s41, exec_lo
                                        ; implicit-def: $vgpr84
	s_delay_alu instid0(VALU_DEP_1) | instskip(NEXT) | instid1(VALU_DEP_1)
	v_mul_f32_e32 v6, v7, v6
	v_and_b32_e32 v7, 0x7f800000, v6
	s_delay_alu instid0(VALU_DEP_1)
	v_cmpx_ne_u32_e32 0x7f800000, v7
	s_xor_b32 s41, exec_lo, s41
; %bb.596:                              ;   in Loop: Header=BB12_391 Depth=4
	v_bfe_u32 v7, v6, 16, 1
	s_delay_alu instid0(VALU_DEP_1)
	v_add3_u32 v84, v6, v7, 0x7fff
                                        ; implicit-def: $vgpr6
; %bb.597:                              ;   in Loop: Header=BB12_391 Depth=4
	s_and_not1_saveexec_b32 s41, s41
; %bb.598:                              ;   in Loop: Header=BB12_391 Depth=4
	v_and_b32_e32 v7, 0xffff, v6
	v_or_b32_e32 v64, 0x10000, v6
	s_delay_alu instid0(VALU_DEP_2) | instskip(NEXT) | instid1(VALU_DEP_2)
	v_cmp_eq_u32_e32 vcc_lo, 0, v7
	v_cndmask_b32_e32 v84, v64, v6, vcc_lo
; %bb.599:                              ;   in Loop: Header=BB12_391 Depth=4
	s_or_b32 exec_lo, exec_lo, s41
	v_and_b32_e32 v7, 0xffff0000, v69
	v_and_b32_e32 v6, 0xffff0000, v65
	s_mov_b32 s41, exec_lo
                                        ; implicit-def: $vgpr69
	s_delay_alu instid0(VALU_DEP_2) | instskip(NEXT) | instid1(VALU_DEP_1)
	v_mov_b32_e32 v64, v7
	v_pk_mul_f32 v[64:65], v[64:65], v[6:7]
	s_delay_alu instid0(VALU_DEP_1) | instskip(NEXT) | instid1(VALU_DEP_1)
	v_and_b32_e32 v6, 0x7f800000, v64
	v_cmpx_ne_u32_e32 0x7f800000, v6
	s_xor_b32 s41, exec_lo, s41
; %bb.600:                              ;   in Loop: Header=BB12_391 Depth=4
	v_bfe_u32 v6, v64, 16, 1
	s_delay_alu instid0(VALU_DEP_1)
	v_add3_u32 v69, v64, v6, 0x7fff
                                        ; implicit-def: $vgpr64_vgpr65
; %bb.601:                              ;   in Loop: Header=BB12_391 Depth=4
	s_and_not1_saveexec_b32 s41, s41
; %bb.602:                              ;   in Loop: Header=BB12_391 Depth=4
	v_and_b32_e32 v6, 0xffff, v64
	v_or_b32_e32 v7, 0x10000, v64
	s_delay_alu instid0(VALU_DEP_2) | instskip(NEXT) | instid1(VALU_DEP_2)
	v_cmp_eq_u32_e32 vcc_lo, 0, v6
	v_cndmask_b32_e32 v69, v7, v64, vcc_lo
; %bb.603:                              ;   in Loop: Header=BB12_391 Depth=4
	s_or_b32 exec_lo, exec_lo, s41
	v_lshlrev_b32_e32 v6, 16, v66
	v_lshlrev_b32_e32 v7, 16, v70
	s_delay_alu instid0(VALU_DEP_1) | instskip(NEXT) | instid1(VALU_DEP_1)
	v_mul_f32_e32 v7, v7, v6
	v_and_b32_e32 v6, 0x7f800000, v7
	s_delay_alu instid0(VALU_DEP_1) | instskip(SKIP_1) | instid1(SALU_CYCLE_1)
	v_cmp_ne_u32_e32 vcc_lo, 0x7f800000, v6
                                        ; implicit-def: $vgpr6
	s_and_saveexec_b32 s41, vcc_lo
	s_xor_b32 s41, exec_lo, s41
; %bb.604:                              ;   in Loop: Header=BB12_391 Depth=4
	v_bfe_u32 v6, v7, 16, 1
	s_delay_alu instid0(VALU_DEP_1)
	v_add3_u32 v6, v7, v6, 0x7fff
                                        ; implicit-def: $vgpr7
; %bb.605:                              ;   in Loop: Header=BB12_391 Depth=4
	s_and_not1_saveexec_b32 s41, s41
; %bb.606:                              ;   in Loop: Header=BB12_391 Depth=4
	v_and_b32_e32 v6, 0xffff, v7
	v_or_b32_e32 v64, 0x10000, v7
	s_delay_alu instid0(VALU_DEP_2) | instskip(NEXT) | instid1(VALU_DEP_2)
	v_cmp_eq_u32_e32 vcc_lo, 0, v6
	v_cndmask_b32_e32 v6, v64, v7, vcc_lo
; %bb.607:                              ;   in Loop: Header=BB12_391 Depth=4
	s_or_b32 exec_lo, exec_lo, s41
	v_and_b32_e32 v65, 0xffff0000, v70
	v_and_b32_e32 v64, 0xffff0000, v66
	s_delay_alu instid0(VALU_DEP_2) | instskip(NEXT) | instid1(VALU_DEP_1)
	v_mov_b32_e32 v66, v65
	v_pk_mul_f32 v[64:65], v[66:67], v[64:65]
	s_delay_alu instid0(VALU_DEP_1) | instskip(NEXT) | instid1(VALU_DEP_1)
	v_and_b32_e32 v7, 0x7f800000, v64
	v_cmp_ne_u32_e32 vcc_lo, 0x7f800000, v7
                                        ; implicit-def: $vgpr7
	s_and_saveexec_b32 s41, vcc_lo
	s_delay_alu instid0(SALU_CYCLE_1)
	s_xor_b32 s41, exec_lo, s41
; %bb.608:                              ;   in Loop: Header=BB12_391 Depth=4
	v_bfe_u32 v7, v64, 16, 1
	s_delay_alu instid0(VALU_DEP_1)
	v_add3_u32 v7, v64, v7, 0x7fff
                                        ; implicit-def: $vgpr64_vgpr65
; %bb.609:                              ;   in Loop: Header=BB12_391 Depth=4
	s_and_not1_saveexec_b32 s41, s41
; %bb.610:                              ;   in Loop: Header=BB12_391 Depth=4
	v_and_b32_e32 v7, 0xffff, v64
	v_or_b32_e32 v65, 0x10000, v64
	s_delay_alu instid0(VALU_DEP_2) | instskip(NEXT) | instid1(VALU_DEP_2)
	v_cmp_eq_u32_e32 vcc_lo, 0, v7
	v_cndmask_b32_e32 v7, v65, v64, vcc_lo
; %bb.611:                              ;   in Loop: Header=BB12_391 Depth=4
	s_or_b32 exec_lo, exec_lo, s41
	v_lshlrev_b32_e32 v64, 16, v67
	v_lshlrev_b32_e32 v65, 16, v71
	s_mov_b32 s41, exec_lo
                                        ; implicit-def: $vgpr66
	s_delay_alu instid0(VALU_DEP_1) | instskip(NEXT) | instid1(VALU_DEP_1)
	v_mul_f32_e32 v64, v65, v64
	v_and_b32_e32 v65, 0x7f800000, v64
	s_delay_alu instid0(VALU_DEP_1)
	v_cmpx_ne_u32_e32 0x7f800000, v65
	s_xor_b32 s41, exec_lo, s41
; %bb.612:                              ;   in Loop: Header=BB12_391 Depth=4
	v_bfe_u32 v65, v64, 16, 1
	s_delay_alu instid0(VALU_DEP_1)
	v_add3_u32 v66, v64, v65, 0x7fff
                                        ; implicit-def: $vgpr64
; %bb.613:                              ;   in Loop: Header=BB12_391 Depth=4
	s_and_not1_saveexec_b32 s41, s41
; %bb.614:                              ;   in Loop: Header=BB12_391 Depth=4
	v_and_b32_e32 v65, 0xffff, v64
	v_or_b32_e32 v66, 0x10000, v64
	s_delay_alu instid0(VALU_DEP_2) | instskip(NEXT) | instid1(VALU_DEP_2)
	v_cmp_eq_u32_e32 vcc_lo, 0, v65
	v_cndmask_b32_e32 v66, v66, v64, vcc_lo
; %bb.615:                              ;   in Loop: Header=BB12_391 Depth=4
	s_or_b32 exec_lo, exec_lo, s41
	v_and_b32_e32 v65, 0xffff0000, v71
	v_and_b32_e32 v64, 0xffff0000, v67
	s_mov_b32 s41, exec_lo
                                        ; implicit-def: $vgpr67
	s_delay_alu instid0(VALU_DEP_2) | instskip(NEXT) | instid1(VALU_DEP_1)
	v_mov_b32_e32 v70, v65
	v_pk_mul_f32 v[64:65], v[70:71], v[64:65]
	s_delay_alu instid0(VALU_DEP_1) | instskip(NEXT) | instid1(VALU_DEP_1)
	v_and_b32_e32 v65, 0x7f800000, v64
	v_cmpx_ne_u32_e32 0x7f800000, v65
	s_xor_b32 s41, exec_lo, s41
; %bb.616:                              ;   in Loop: Header=BB12_391 Depth=4
	v_bfe_u32 v65, v64, 16, 1
	s_delay_alu instid0(VALU_DEP_1)
	v_add3_u32 v67, v64, v65, 0x7fff
                                        ; implicit-def: $vgpr64_vgpr65
; %bb.617:                              ;   in Loop: Header=BB12_391 Depth=4
	s_and_not1_saveexec_b32 s41, s41
; %bb.618:                              ;   in Loop: Header=BB12_391 Depth=4
	v_and_b32_e32 v65, 0xffff, v64
	v_or_b32_e32 v67, 0x10000, v64
	s_delay_alu instid0(VALU_DEP_2) | instskip(NEXT) | instid1(VALU_DEP_2)
	v_cmp_eq_u32_e32 vcc_lo, 0, v65
	v_cndmask_b32_e32 v67, v67, v64, vcc_lo
; %bb.619:                              ;   in Loop: Header=BB12_391 Depth=4
	s_or_b32 exec_lo, exec_lo, s41
	v_lshlrev_b32_e32 v64, 16, v48
	s_wait_loadcnt 0x0
	v_lshlrev_b32_e32 v65, 16, v52
	s_mov_b32 s41, exec_lo
                                        ; implicit-def: $vgpr70
	s_delay_alu instid0(VALU_DEP_1) | instskip(NEXT) | instid1(VALU_DEP_1)
	v_mul_f32_e32 v64, v65, v64
	v_and_b32_e32 v65, 0x7f800000, v64
	s_delay_alu instid0(VALU_DEP_1)
	v_cmpx_ne_u32_e32 0x7f800000, v65
	s_xor_b32 s41, exec_lo, s41
; %bb.620:                              ;   in Loop: Header=BB12_391 Depth=4
	v_bfe_u32 v65, v64, 16, 1
	s_delay_alu instid0(VALU_DEP_1)
	v_add3_u32 v70, v64, v65, 0x7fff
                                        ; implicit-def: $vgpr64
; %bb.621:                              ;   in Loop: Header=BB12_391 Depth=4
	s_and_not1_saveexec_b32 s41, s41
; %bb.622:                              ;   in Loop: Header=BB12_391 Depth=4
	v_and_b32_e32 v65, 0xffff, v64
	v_or_b32_e32 v70, 0x10000, v64
	s_delay_alu instid0(VALU_DEP_2) | instskip(NEXT) | instid1(VALU_DEP_2)
	v_cmp_eq_u32_e32 vcc_lo, 0, v65
	v_cndmask_b32_e32 v70, v70, v64, vcc_lo
; %bb.623:                              ;   in Loop: Header=BB12_391 Depth=4
	s_or_b32 exec_lo, exec_lo, s41
	v_and_b32_e32 v65, 0xffff0000, v52
	v_and_b32_e32 v64, 0xffff0000, v48
	s_mov_b32 s41, exec_lo
                                        ; implicit-def: $vgpr52
	s_delay_alu instid0(VALU_DEP_2) | instskip(NEXT) | instid1(VALU_DEP_1)
	v_mov_b32_e32 v48, v65
	v_pk_mul_f32 v[64:65], v[48:49], v[64:65]
	s_delay_alu instid0(VALU_DEP_1) | instskip(NEXT) | instid1(VALU_DEP_1)
	v_and_b32_e32 v48, 0x7f800000, v64
	v_cmpx_ne_u32_e32 0x7f800000, v48
	s_xor_b32 s41, exec_lo, s41
; %bb.624:                              ;   in Loop: Header=BB12_391 Depth=4
	v_bfe_u32 v48, v64, 16, 1
	s_delay_alu instid0(VALU_DEP_1)
	v_add3_u32 v52, v64, v48, 0x7fff
                                        ; implicit-def: $vgpr64_vgpr65
; %bb.625:                              ;   in Loop: Header=BB12_391 Depth=4
	s_and_not1_saveexec_b32 s41, s41
; %bb.626:                              ;   in Loop: Header=BB12_391 Depth=4
	v_and_b32_e32 v48, 0xffff, v64
	v_or_b32_e32 v52, 0x10000, v64
	s_delay_alu instid0(VALU_DEP_2) | instskip(NEXT) | instid1(VALU_DEP_2)
	v_cmp_eq_u32_e32 vcc_lo, 0, v48
	v_cndmask_b32_e32 v52, v52, v64, vcc_lo
; %bb.627:                              ;   in Loop: Header=BB12_391 Depth=4
	s_or_b32 exec_lo, exec_lo, s41
	v_lshlrev_b32_e32 v48, 16, v49
	v_lshlrev_b32_e32 v64, 16, v53
	s_delay_alu instid0(VALU_DEP_1) | instskip(NEXT) | instid1(VALU_DEP_1)
	v_mul_f32_e32 v48, v64, v48
	v_and_b32_e32 v64, 0x7f800000, v48
	s_delay_alu instid0(VALU_DEP_1) | instskip(SKIP_1) | instid1(SALU_CYCLE_1)
	v_cmp_ne_u32_e32 vcc_lo, 0x7f800000, v64
                                        ; implicit-def: $vgpr64
	s_and_saveexec_b32 s41, vcc_lo
	s_xor_b32 s41, exec_lo, s41
; %bb.628:                              ;   in Loop: Header=BB12_391 Depth=4
	v_bfe_u32 v64, v48, 16, 1
	s_delay_alu instid0(VALU_DEP_1)
	v_add3_u32 v64, v48, v64, 0x7fff
                                        ; implicit-def: $vgpr48
; %bb.629:                              ;   in Loop: Header=BB12_391 Depth=4
	s_and_not1_saveexec_b32 s41, s41
; %bb.630:                              ;   in Loop: Header=BB12_391 Depth=4
	v_and_b32_e32 v64, 0xffff, v48
	v_or_b32_e32 v65, 0x10000, v48
	s_delay_alu instid0(VALU_DEP_2) | instskip(NEXT) | instid1(VALU_DEP_2)
	v_cmp_eq_u32_e32 vcc_lo, 0, v64
	v_cndmask_b32_e32 v64, v65, v48, vcc_lo
; %bb.631:                              ;   in Loop: Header=BB12_391 Depth=4
	s_or_b32 exec_lo, exec_lo, s41
	v_and_b32_e32 v119, 0xffff0000, v53
	v_and_b32_e32 v118, 0xffff0000, v49
	s_mov_b32 s41, exec_lo
                                        ; implicit-def: $vgpr53
	s_delay_alu instid0(VALU_DEP_2) | instskip(NEXT) | instid1(VALU_DEP_1)
	v_mov_b32_e32 v48, v119
	v_pk_mul_f32 v[48:49], v[48:49], v[118:119]
	s_delay_alu instid0(VALU_DEP_1) | instskip(NEXT) | instid1(VALU_DEP_1)
	v_and_b32_e32 v49, 0x7f800000, v48
	v_cmpx_ne_u32_e32 0x7f800000, v49
	s_xor_b32 s41, exec_lo, s41
; %bb.632:                              ;   in Loop: Header=BB12_391 Depth=4
	v_bfe_u32 v49, v48, 16, 1
	s_delay_alu instid0(VALU_DEP_1)
	v_add3_u32 v53, v48, v49, 0x7fff
                                        ; implicit-def: $vgpr48_vgpr49
; %bb.633:                              ;   in Loop: Header=BB12_391 Depth=4
	s_and_not1_saveexec_b32 s41, s41
; %bb.634:                              ;   in Loop: Header=BB12_391 Depth=4
	v_and_b32_e32 v49, 0xffff, v48
	v_or_b32_e32 v53, 0x10000, v48
	s_delay_alu instid0(VALU_DEP_2) | instskip(NEXT) | instid1(VALU_DEP_2)
	v_cmp_eq_u32_e32 vcc_lo, 0, v49
	v_cndmask_b32_e32 v53, v53, v48, vcc_lo
; %bb.635:                              ;   in Loop: Header=BB12_391 Depth=4
	s_or_b32 exec_lo, exec_lo, s41
	v_lshlrev_b32_e32 v48, 16, v50
	v_lshlrev_b32_e32 v49, 16, v54
	s_mov_b32 s41, exec_lo
                                        ; implicit-def: $vgpr65
	s_delay_alu instid0(VALU_DEP_1) | instskip(NEXT) | instid1(VALU_DEP_1)
	v_mul_f32_e32 v48, v49, v48
	v_and_b32_e32 v49, 0x7f800000, v48
	s_delay_alu instid0(VALU_DEP_1)
	v_cmpx_ne_u32_e32 0x7f800000, v49
	s_xor_b32 s41, exec_lo, s41
; %bb.636:                              ;   in Loop: Header=BB12_391 Depth=4
	v_bfe_u32 v49, v48, 16, 1
	s_delay_alu instid0(VALU_DEP_1)
	v_add3_u32 v65, v48, v49, 0x7fff
                                        ; implicit-def: $vgpr48
; %bb.637:                              ;   in Loop: Header=BB12_391 Depth=4
	s_and_not1_saveexec_b32 s41, s41
; %bb.638:                              ;   in Loop: Header=BB12_391 Depth=4
	v_and_b32_e32 v49, 0xffff, v48
	v_or_b32_e32 v65, 0x10000, v48
	s_delay_alu instid0(VALU_DEP_2) | instskip(NEXT) | instid1(VALU_DEP_2)
	v_cmp_eq_u32_e32 vcc_lo, 0, v49
	v_cndmask_b32_e32 v65, v65, v48, vcc_lo
; %bb.639:                              ;   in Loop: Header=BB12_391 Depth=4
	s_or_b32 exec_lo, exec_lo, s41
	v_and_b32_e32 v49, 0xffff0000, v54
	v_and_b32_e32 v48, 0xffff0000, v50
	s_mov_b32 s41, exec_lo
	s_delay_alu instid0(VALU_DEP_2) | instskip(NEXT) | instid1(VALU_DEP_1)
	v_mov_b32_e32 v50, v49
	v_pk_mul_f32 v[48:49], v[50:51], v[48:49]
                                        ; implicit-def: $vgpr50
	s_delay_alu instid0(VALU_DEP_1) | instskip(NEXT) | instid1(VALU_DEP_1)
	v_and_b32_e32 v49, 0x7f800000, v48
	v_cmpx_ne_u32_e32 0x7f800000, v49
	s_xor_b32 s41, exec_lo, s41
; %bb.640:                              ;   in Loop: Header=BB12_391 Depth=4
	v_bfe_u32 v49, v48, 16, 1
	s_delay_alu instid0(VALU_DEP_1)
	v_add3_u32 v50, v48, v49, 0x7fff
                                        ; implicit-def: $vgpr48_vgpr49
; %bb.641:                              ;   in Loop: Header=BB12_391 Depth=4
	s_and_not1_saveexec_b32 s41, s41
; %bb.642:                              ;   in Loop: Header=BB12_391 Depth=4
	v_and_b32_e32 v49, 0xffff, v48
	v_or_b32_e32 v50, 0x10000, v48
	s_delay_alu instid0(VALU_DEP_2) | instskip(NEXT) | instid1(VALU_DEP_2)
	v_cmp_eq_u32_e32 vcc_lo, 0, v49
	v_cndmask_b32_e32 v50, v50, v48, vcc_lo
; %bb.643:                              ;   in Loop: Header=BB12_391 Depth=4
	s_or_b32 exec_lo, exec_lo, s41
	v_lshlrev_b32_e32 v48, 16, v51
	v_lshlrev_b32_e32 v49, 16, v55
	s_mov_b32 s41, exec_lo
                                        ; implicit-def: $vgpr54
	s_delay_alu instid0(VALU_DEP_1) | instskip(NEXT) | instid1(VALU_DEP_1)
	v_mul_f32_e32 v48, v49, v48
	v_and_b32_e32 v49, 0x7f800000, v48
	s_delay_alu instid0(VALU_DEP_1)
	v_cmpx_ne_u32_e32 0x7f800000, v49
	s_xor_b32 s41, exec_lo, s41
; %bb.644:                              ;   in Loop: Header=BB12_391 Depth=4
	v_bfe_u32 v49, v48, 16, 1
	s_delay_alu instid0(VALU_DEP_1)
	v_add3_u32 v54, v48, v49, 0x7fff
                                        ; implicit-def: $vgpr48
; %bb.645:                              ;   in Loop: Header=BB12_391 Depth=4
	s_and_not1_saveexec_b32 s41, s41
; %bb.646:                              ;   in Loop: Header=BB12_391 Depth=4
	v_and_b32_e32 v49, 0xffff, v48
	v_or_b32_e32 v54, 0x10000, v48
	s_delay_alu instid0(VALU_DEP_2) | instskip(NEXT) | instid1(VALU_DEP_2)
	v_cmp_eq_u32_e32 vcc_lo, 0, v49
	v_cndmask_b32_e32 v54, v54, v48, vcc_lo
; %bb.647:                              ;   in Loop: Header=BB12_391 Depth=4
	s_or_b32 exec_lo, exec_lo, s41
	v_and_b32_e32 v49, 0xffff0000, v55
	v_and_b32_e32 v48, 0xffff0000, v51
	s_mov_b32 s41, exec_lo
                                        ; implicit-def: $vgpr51
	s_delay_alu instid0(VALU_DEP_2) | instskip(NEXT) | instid1(VALU_DEP_1)
	v_mov_b32_e32 v118, v49
	v_pk_mul_f32 v[48:49], v[118:119], v[48:49]
	s_delay_alu instid0(VALU_DEP_1) | instskip(NEXT) | instid1(VALU_DEP_1)
	v_and_b32_e32 v49, 0x7f800000, v48
	v_cmpx_ne_u32_e32 0x7f800000, v49
	s_xor_b32 s41, exec_lo, s41
; %bb.648:                              ;   in Loop: Header=BB12_391 Depth=4
	v_bfe_u32 v49, v48, 16, 1
	s_delay_alu instid0(VALU_DEP_1)
	v_add3_u32 v51, v48, v49, 0x7fff
                                        ; implicit-def: $vgpr48_vgpr49
; %bb.649:                              ;   in Loop: Header=BB12_391 Depth=4
	s_and_not1_saveexec_b32 s41, s41
	s_cbranch_execz .LBB12_390
; %bb.650:                              ;   in Loop: Header=BB12_391 Depth=4
	v_and_b32_e32 v49, 0xffff, v48
	v_or_b32_e32 v51, 0x10000, v48
	s_delay_alu instid0(VALU_DEP_2) | instskip(NEXT) | instid1(VALU_DEP_2)
	v_cmp_eq_u32_e32 vcc_lo, 0, v49
	v_cndmask_b32_e32 v51, v51, v48, vcc_lo
	s_branch .LBB12_390
.LBB12_651:                             ;   in Loop: Header=BB12_307 Depth=3
	s_wait_loadcnt 0x1
	scratch_load_b32 v15, off, s33 offset:316 ; 4-byte Folded Reload
	s_wait_loadcnt 0x1
	scratch_load_b32 v8, off, s33 offset:312 ; 4-byte Folded Reload
	s_wait_xcnt 0x0
	s_and_saveexec_b32 s15, s77
	s_cbranch_execnz .LBB12_899
	s_branch .LBB12_1126
.LBB12_652:                             ;   in Loop: Header=BB12_307 Depth=3
	s_or_b32 exec_lo, exec_lo, s14
	scratch_load_b64 v[44:45], off, s33 offset:360 ; 8-byte Folded Reload
	s_and_b32 s14, s15, exec_lo
.LBB12_653:                             ;   in Loop: Header=BB12_307 Depth=3
	s_wait_xcnt 0x0
	s_or_b32 exec_lo, exec_lo, s13
	s_and_saveexec_b32 s13, s14
	s_cbranch_execz .LBB12_783
; %bb.654:                              ;   in Loop: Header=BB12_307 Depth=3
	v_lshlrev_b32_e32 v6, 16, v80
	v_lshlrev_b32_e32 v7, 16, v32
	s_mov_b32 s14, exec_lo
                                        ; implicit-def: $vgpr50
	s_delay_alu instid0(VALU_DEP_1) | instskip(NEXT) | instid1(VALU_DEP_1)
	v_mul_f32_e32 v6, v7, v6
	v_and_b32_e32 v7, 0x7f800000, v6
	s_delay_alu instid0(VALU_DEP_1)
	v_cmpx_ne_u32_e32 0x7f800000, v7
	s_xor_b32 s14, exec_lo, s14
; %bb.655:                              ;   in Loop: Header=BB12_307 Depth=3
	v_bfe_u32 v7, v6, 16, 1
	s_delay_alu instid0(VALU_DEP_1)
	v_add3_u32 v50, v6, v7, 0x7fff
                                        ; implicit-def: $vgpr6
; %bb.656:                              ;   in Loop: Header=BB12_307 Depth=3
	s_and_not1_saveexec_b32 s14, s14
; %bb.657:                              ;   in Loop: Header=BB12_307 Depth=3
	v_and_b32_e32 v7, 0xffff, v6
	v_or_b32_e32 v48, 0x10000, v6
	s_delay_alu instid0(VALU_DEP_2) | instskip(NEXT) | instid1(VALU_DEP_2)
	v_cmp_eq_u32_e32 vcc_lo, 0, v7
	v_cndmask_b32_e32 v50, v48, v6, vcc_lo
; %bb.658:                              ;   in Loop: Header=BB12_307 Depth=3
	s_or_b32 exec_lo, exec_lo, s14
	v_and_b32_e32 v7, 0xffff0000, v80
	v_and_b32_e32 v6, 0xffff0000, v32
	s_mov_b32 s14, exec_lo
                                        ; implicit-def: $vgpr51
	s_delay_alu instid0(VALU_DEP_2) | instskip(NEXT) | instid1(VALU_DEP_1)
	v_mov_b32_e32 v32, v7
	v_pk_mul_f32 v[48:49], v[32:33], v[6:7]
	s_delay_alu instid0(VALU_DEP_1) | instskip(NEXT) | instid1(VALU_DEP_1)
	v_and_b32_e32 v6, 0x7f800000, v48
	v_cmpx_ne_u32_e32 0x7f800000, v6
	s_xor_b32 s14, exec_lo, s14
; %bb.659:                              ;   in Loop: Header=BB12_307 Depth=3
	v_bfe_u32 v6, v48, 16, 1
	s_delay_alu instid0(VALU_DEP_1)
	v_add3_u32 v51, v48, v6, 0x7fff
                                        ; implicit-def: $vgpr48_vgpr49
; %bb.660:                              ;   in Loop: Header=BB12_307 Depth=3
	s_and_not1_saveexec_b32 s14, s14
; %bb.661:                              ;   in Loop: Header=BB12_307 Depth=3
	v_and_b32_e32 v6, 0xffff, v48
	v_or_b32_e32 v7, 0x10000, v48
	s_delay_alu instid0(VALU_DEP_2) | instskip(NEXT) | instid1(VALU_DEP_2)
	v_cmp_eq_u32_e32 vcc_lo, 0, v6
	v_cndmask_b32_e32 v51, v7, v48, vcc_lo
; %bb.662:                              ;   in Loop: Header=BB12_307 Depth=3
	s_or_b32 exec_lo, exec_lo, s14
	v_lshlrev_b32_e32 v6, 16, v33
	v_lshlrev_b32_e32 v7, 16, v81
	s_mov_b32 s14, exec_lo
                                        ; implicit-def: $vgpr48
	s_delay_alu instid0(VALU_DEP_1) | instskip(NEXT) | instid1(VALU_DEP_1)
	v_mul_f32_e32 v6, v7, v6
	v_and_b32_e32 v7, 0x7f800000, v6
	s_delay_alu instid0(VALU_DEP_1)
	v_cmpx_ne_u32_e32 0x7f800000, v7
	s_xor_b32 s14, exec_lo, s14
; %bb.663:                              ;   in Loop: Header=BB12_307 Depth=3
	v_bfe_u32 v7, v6, 16, 1
	s_delay_alu instid0(VALU_DEP_1)
	v_add3_u32 v48, v6, v7, 0x7fff
                                        ; implicit-def: $vgpr6
; %bb.664:                              ;   in Loop: Header=BB12_307 Depth=3
	s_and_not1_saveexec_b32 s14, s14
; %bb.665:                              ;   in Loop: Header=BB12_307 Depth=3
	v_and_b32_e32 v7, 0xffff, v6
	v_or_b32_e32 v32, 0x10000, v6
	s_delay_alu instid0(VALU_DEP_2) | instskip(NEXT) | instid1(VALU_DEP_2)
	v_cmp_eq_u32_e32 vcc_lo, 0, v7
	v_cndmask_b32_e32 v48, v32, v6, vcc_lo
; %bb.666:                              ;   in Loop: Header=BB12_307 Depth=3
	s_or_b32 exec_lo, exec_lo, s14
	v_and_b32_e32 v7, 0xffff0000, v81
	v_and_b32_e32 v6, 0xffff0000, v33
	s_mov_b32 s14, exec_lo
                                        ; implicit-def: $vgpr49
	s_delay_alu instid0(VALU_DEP_2) | instskip(NEXT) | instid1(VALU_DEP_1)
	v_mov_b32_e32 v32, v7
	v_pk_mul_f32 v[32:33], v[32:33], v[6:7]
	s_delay_alu instid0(VALU_DEP_1) | instskip(NEXT) | instid1(VALU_DEP_1)
	v_and_b32_e32 v6, 0x7f800000, v32
	v_cmpx_ne_u32_e32 0x7f800000, v6
	s_xor_b32 s14, exec_lo, s14
; %bb.667:                              ;   in Loop: Header=BB12_307 Depth=3
	v_bfe_u32 v6, v32, 16, 1
	s_delay_alu instid0(VALU_DEP_1)
	v_add3_u32 v49, v32, v6, 0x7fff
                                        ; implicit-def: $vgpr32_vgpr33
; %bb.668:                              ;   in Loop: Header=BB12_307 Depth=3
	s_and_not1_saveexec_b32 s14, s14
; %bb.669:                              ;   in Loop: Header=BB12_307 Depth=3
	v_and_b32_e32 v6, 0xffff, v32
	v_or_b32_e32 v7, 0x10000, v32
	s_delay_alu instid0(VALU_DEP_2) | instskip(NEXT) | instid1(VALU_DEP_2)
	v_cmp_eq_u32_e32 vcc_lo, 0, v6
	v_cndmask_b32_e32 v49, v7, v32, vcc_lo
; %bb.670:                              ;   in Loop: Header=BB12_307 Depth=3
	s_or_b32 exec_lo, exec_lo, s14
	v_lshlrev_b32_e32 v6, 16, v82
	v_lshlrev_b32_e32 v7, 16, v34
	s_mov_b32 s14, exec_lo
                                        ; implicit-def: $vgpr52
	s_delay_alu instid0(VALU_DEP_1) | instskip(NEXT) | instid1(VALU_DEP_1)
	v_mul_f32_e32 v6, v7, v6
	v_and_b32_e32 v7, 0x7f800000, v6
	s_delay_alu instid0(VALU_DEP_1)
	v_cmpx_ne_u32_e32 0x7f800000, v7
	s_xor_b32 s14, exec_lo, s14
; %bb.671:                              ;   in Loop: Header=BB12_307 Depth=3
	v_bfe_u32 v7, v6, 16, 1
	s_delay_alu instid0(VALU_DEP_1)
	v_add3_u32 v52, v6, v7, 0x7fff
                                        ; implicit-def: $vgpr6
; %bb.672:                              ;   in Loop: Header=BB12_307 Depth=3
	s_and_not1_saveexec_b32 s14, s14
; %bb.673:                              ;   in Loop: Header=BB12_307 Depth=3
	v_and_b32_e32 v7, 0xffff, v6
	v_or_b32_e32 v32, 0x10000, v6
	s_delay_alu instid0(VALU_DEP_2) | instskip(NEXT) | instid1(VALU_DEP_2)
	v_cmp_eq_u32_e32 vcc_lo, 0, v7
	v_cndmask_b32_e32 v52, v32, v6, vcc_lo
; %bb.674:                              ;   in Loop: Header=BB12_307 Depth=3
	s_or_b32 exec_lo, exec_lo, s14
	v_and_b32_e32 v7, 0xffff0000, v82
	v_and_b32_e32 v6, 0xffff0000, v34
	s_mov_b32 s14, exec_lo
                                        ; implicit-def: $vgpr34
	s_delay_alu instid0(VALU_DEP_2) | instskip(NEXT) | instid1(VALU_DEP_1)
	v_mov_b32_e32 v32, v7
	v_pk_mul_f32 v[32:33], v[32:33], v[6:7]
	s_delay_alu instid0(VALU_DEP_1) | instskip(NEXT) | instid1(VALU_DEP_1)
	v_and_b32_e32 v6, 0x7f800000, v32
	v_cmpx_ne_u32_e32 0x7f800000, v6
	s_xor_b32 s14, exec_lo, s14
; %bb.675:                              ;   in Loop: Header=BB12_307 Depth=3
	v_bfe_u32 v6, v32, 16, 1
	s_delay_alu instid0(VALU_DEP_1)
	v_add3_u32 v34, v32, v6, 0x7fff
                                        ; implicit-def: $vgpr32_vgpr33
; %bb.676:                              ;   in Loop: Header=BB12_307 Depth=3
	s_and_not1_saveexec_b32 s14, s14
; %bb.677:                              ;   in Loop: Header=BB12_307 Depth=3
	v_and_b32_e32 v6, 0xffff, v32
	v_or_b32_e32 v7, 0x10000, v32
	s_delay_alu instid0(VALU_DEP_2) | instskip(NEXT) | instid1(VALU_DEP_2)
	v_cmp_eq_u32_e32 vcc_lo, 0, v6
	v_cndmask_b32_e32 v34, v7, v32, vcc_lo
; %bb.678:                              ;   in Loop: Header=BB12_307 Depth=3
	s_or_b32 exec_lo, exec_lo, s14
	v_lshlrev_b32_e32 v6, 16, v35
	v_lshlrev_b32_e32 v7, 16, v83
	s_mov_b32 s14, exec_lo
                                        ; implicit-def: $vgpr53
	s_delay_alu instid0(VALU_DEP_1) | instskip(NEXT) | instid1(VALU_DEP_1)
	v_mul_f32_e32 v6, v7, v6
	v_and_b32_e32 v7, 0x7f800000, v6
	s_delay_alu instid0(VALU_DEP_1)
	v_cmpx_ne_u32_e32 0x7f800000, v7
	s_xor_b32 s14, exec_lo, s14
; %bb.679:                              ;   in Loop: Header=BB12_307 Depth=3
	v_bfe_u32 v7, v6, 16, 1
	s_delay_alu instid0(VALU_DEP_1)
	v_add3_u32 v53, v6, v7, 0x7fff
                                        ; implicit-def: $vgpr6
; %bb.680:                              ;   in Loop: Header=BB12_307 Depth=3
	s_and_not1_saveexec_b32 s14, s14
; %bb.681:                              ;   in Loop: Header=BB12_307 Depth=3
	v_and_b32_e32 v7, 0xffff, v6
	v_or_b32_e32 v32, 0x10000, v6
	s_delay_alu instid0(VALU_DEP_2) | instskip(NEXT) | instid1(VALU_DEP_2)
	v_cmp_eq_u32_e32 vcc_lo, 0, v7
	v_cndmask_b32_e32 v53, v32, v6, vcc_lo
; %bb.682:                              ;   in Loop: Header=BB12_307 Depth=3
	s_or_b32 exec_lo, exec_lo, s14
	v_and_b32_e32 v7, 0xffff0000, v83
	v_and_b32_e32 v6, 0xffff0000, v35
	s_mov_b32 s14, exec_lo
                                        ; implicit-def: $vgpr35
	s_delay_alu instid0(VALU_DEP_2) | instskip(NEXT) | instid1(VALU_DEP_1)
	v_mov_b32_e32 v32, v7
	v_pk_mul_f32 v[32:33], v[32:33], v[6:7]
	s_delay_alu instid0(VALU_DEP_1) | instskip(NEXT) | instid1(VALU_DEP_1)
	v_and_b32_e32 v6, 0x7f800000, v32
	v_cmpx_ne_u32_e32 0x7f800000, v6
	s_xor_b32 s14, exec_lo, s14
; %bb.683:                              ;   in Loop: Header=BB12_307 Depth=3
	v_bfe_u32 v6, v32, 16, 1
	s_delay_alu instid0(VALU_DEP_1)
	v_add3_u32 v35, v32, v6, 0x7fff
                                        ; implicit-def: $vgpr32_vgpr33
; %bb.684:                              ;   in Loop: Header=BB12_307 Depth=3
	s_and_not1_saveexec_b32 s14, s14
; %bb.685:                              ;   in Loop: Header=BB12_307 Depth=3
	v_and_b32_e32 v6, 0xffff, v32
	v_or_b32_e32 v7, 0x10000, v32
	s_delay_alu instid0(VALU_DEP_2) | instskip(NEXT) | instid1(VALU_DEP_2)
	v_cmp_eq_u32_e32 vcc_lo, 0, v6
	v_cndmask_b32_e32 v35, v7, v32, vcc_lo
; %bb.686:                              ;   in Loop: Header=BB12_307 Depth=3
	s_or_b32 exec_lo, exec_lo, s14
	v_lshlrev_b32_e32 v6, 16, v36
	v_lshlrev_b32_e32 v7, 16, v20
	s_mov_b32 s14, exec_lo
                                        ; implicit-def: $vgpr54
	s_delay_alu instid0(VALU_DEP_1) | instskip(NEXT) | instid1(VALU_DEP_1)
	v_mul_f32_e32 v6, v7, v6
	v_and_b32_e32 v7, 0x7f800000, v6
	s_delay_alu instid0(VALU_DEP_1)
	v_cmpx_ne_u32_e32 0x7f800000, v7
	s_xor_b32 s14, exec_lo, s14
; %bb.687:                              ;   in Loop: Header=BB12_307 Depth=3
	v_bfe_u32 v7, v6, 16, 1
	s_delay_alu instid0(VALU_DEP_1)
	v_add3_u32 v54, v6, v7, 0x7fff
                                        ; implicit-def: $vgpr6
; %bb.688:                              ;   in Loop: Header=BB12_307 Depth=3
	s_and_not1_saveexec_b32 s14, s14
; %bb.689:                              ;   in Loop: Header=BB12_307 Depth=3
	v_and_b32_e32 v7, 0xffff, v6
	v_or_b32_e32 v32, 0x10000, v6
	s_delay_alu instid0(VALU_DEP_2) | instskip(NEXT) | instid1(VALU_DEP_2)
	v_cmp_eq_u32_e32 vcc_lo, 0, v7
	v_cndmask_b32_e32 v54, v32, v6, vcc_lo
; %bb.690:                              ;   in Loop: Header=BB12_307 Depth=3
	s_or_b32 exec_lo, exec_lo, s14
	v_and_b32_e32 v7, 0xffff0000, v36
	v_and_b32_e32 v6, 0xffff0000, v20
	s_mov_b32 s14, exec_lo
                                        ; implicit-def: $vgpr36
	s_delay_alu instid0(VALU_DEP_2) | instskip(NEXT) | instid1(VALU_DEP_1)
	v_mov_b32_e32 v20, v7
	v_pk_mul_f32 v[32:33], v[20:21], v[6:7]
	s_delay_alu instid0(VALU_DEP_1) | instskip(NEXT) | instid1(VALU_DEP_1)
	v_and_b32_e32 v6, 0x7f800000, v32
	v_cmpx_ne_u32_e32 0x7f800000, v6
	s_xor_b32 s14, exec_lo, s14
; %bb.691:                              ;   in Loop: Header=BB12_307 Depth=3
	v_bfe_u32 v6, v32, 16, 1
	s_delay_alu instid0(VALU_DEP_1)
	v_add3_u32 v36, v32, v6, 0x7fff
                                        ; implicit-def: $vgpr32_vgpr33
; %bb.692:                              ;   in Loop: Header=BB12_307 Depth=3
	s_and_not1_saveexec_b32 s14, s14
; %bb.693:                              ;   in Loop: Header=BB12_307 Depth=3
	v_and_b32_e32 v6, 0xffff, v32
	v_or_b32_e32 v7, 0x10000, v32
	s_delay_alu instid0(VALU_DEP_2) | instskip(NEXT) | instid1(VALU_DEP_2)
	v_cmp_eq_u32_e32 vcc_lo, 0, v6
	v_cndmask_b32_e32 v36, v7, v32, vcc_lo
; %bb.694:                              ;   in Loop: Header=BB12_307 Depth=3
	s_or_b32 exec_lo, exec_lo, s14
	v_lshlrev_b32_e32 v6, 16, v21
	v_lshlrev_b32_e32 v7, 16, v37
	s_mov_b32 s14, exec_lo
                                        ; implicit-def: $vgpr32
	s_delay_alu instid0(VALU_DEP_1) | instskip(NEXT) | instid1(VALU_DEP_1)
	v_mul_f32_e32 v6, v7, v6
	v_and_b32_e32 v7, 0x7f800000, v6
	s_delay_alu instid0(VALU_DEP_1)
	v_cmpx_ne_u32_e32 0x7f800000, v7
	s_xor_b32 s14, exec_lo, s14
; %bb.695:                              ;   in Loop: Header=BB12_307 Depth=3
	v_bfe_u32 v7, v6, 16, 1
	s_delay_alu instid0(VALU_DEP_1)
	v_add3_u32 v32, v6, v7, 0x7fff
                                        ; implicit-def: $vgpr6
; %bb.696:                              ;   in Loop: Header=BB12_307 Depth=3
	s_and_not1_saveexec_b32 s14, s14
; %bb.697:                              ;   in Loop: Header=BB12_307 Depth=3
	v_and_b32_e32 v7, 0xffff, v6
	v_or_b32_e32 v20, 0x10000, v6
	s_delay_alu instid0(VALU_DEP_2) | instskip(NEXT) | instid1(VALU_DEP_2)
	v_cmp_eq_u32_e32 vcc_lo, 0, v7
	v_cndmask_b32_e32 v32, v20, v6, vcc_lo
; %bb.698:                              ;   in Loop: Header=BB12_307 Depth=3
	s_or_b32 exec_lo, exec_lo, s14
	v_and_b32_e32 v7, 0xffff0000, v37
	v_and_b32_e32 v6, 0xffff0000, v21
	s_mov_b32 s14, exec_lo
                                        ; implicit-def: $vgpr33
	s_delay_alu instid0(VALU_DEP_2) | instskip(NEXT) | instid1(VALU_DEP_1)
	v_mov_b32_e32 v20, v7
	v_pk_mul_f32 v[20:21], v[20:21], v[6:7]
	s_delay_alu instid0(VALU_DEP_1) | instskip(NEXT) | instid1(VALU_DEP_1)
	v_and_b32_e32 v6, 0x7f800000, v20
	v_cmpx_ne_u32_e32 0x7f800000, v6
	s_xor_b32 s14, exec_lo, s14
; %bb.699:                              ;   in Loop: Header=BB12_307 Depth=3
	v_bfe_u32 v6, v20, 16, 1
	s_delay_alu instid0(VALU_DEP_1)
	v_add3_u32 v33, v20, v6, 0x7fff
                                        ; implicit-def: $vgpr20_vgpr21
; %bb.700:                              ;   in Loop: Header=BB12_307 Depth=3
	s_and_not1_saveexec_b32 s14, s14
; %bb.701:                              ;   in Loop: Header=BB12_307 Depth=3
	v_and_b32_e32 v6, 0xffff, v20
	v_or_b32_e32 v7, 0x10000, v20
	s_delay_alu instid0(VALU_DEP_2) | instskip(NEXT) | instid1(VALU_DEP_2)
	v_cmp_eq_u32_e32 vcc_lo, 0, v6
	v_cndmask_b32_e32 v33, v7, v20, vcc_lo
; %bb.702:                              ;   in Loop: Header=BB12_307 Depth=3
	s_or_b32 exec_lo, exec_lo, s14
	v_lshlrev_b32_e32 v6, 16, v38
	v_lshlrev_b32_e32 v7, 16, v22
	s_mov_b32 s14, exec_lo
                                        ; implicit-def: $vgpr37
	s_delay_alu instid0(VALU_DEP_1) | instskip(NEXT) | instid1(VALU_DEP_1)
	v_mul_f32_e32 v6, v7, v6
	v_and_b32_e32 v7, 0x7f800000, v6
	s_delay_alu instid0(VALU_DEP_1)
	v_cmpx_ne_u32_e32 0x7f800000, v7
	s_xor_b32 s14, exec_lo, s14
; %bb.703:                              ;   in Loop: Header=BB12_307 Depth=3
	v_bfe_u32 v7, v6, 16, 1
	s_delay_alu instid0(VALU_DEP_1)
	v_add3_u32 v37, v6, v7, 0x7fff
                                        ; implicit-def: $vgpr6
; %bb.704:                              ;   in Loop: Header=BB12_307 Depth=3
	s_and_not1_saveexec_b32 s14, s14
; %bb.705:                              ;   in Loop: Header=BB12_307 Depth=3
	v_and_b32_e32 v7, 0xffff, v6
	v_or_b32_e32 v20, 0x10000, v6
	s_delay_alu instid0(VALU_DEP_2) | instskip(NEXT) | instid1(VALU_DEP_2)
	v_cmp_eq_u32_e32 vcc_lo, 0, v7
	v_cndmask_b32_e32 v37, v20, v6, vcc_lo
; %bb.706:                              ;   in Loop: Header=BB12_307 Depth=3
	s_or_b32 exec_lo, exec_lo, s14
	v_and_b32_e32 v7, 0xffff0000, v38
	v_and_b32_e32 v6, 0xffff0000, v22
	s_mov_b32 s14, exec_lo
                                        ; implicit-def: $vgpr22
	s_delay_alu instid0(VALU_DEP_2) | instskip(NEXT) | instid1(VALU_DEP_1)
	v_mov_b32_e32 v20, v7
	v_pk_mul_f32 v[20:21], v[20:21], v[6:7]
	s_delay_alu instid0(VALU_DEP_1) | instskip(NEXT) | instid1(VALU_DEP_1)
	v_and_b32_e32 v6, 0x7f800000, v20
	v_cmpx_ne_u32_e32 0x7f800000, v6
	s_xor_b32 s14, exec_lo, s14
; %bb.707:                              ;   in Loop: Header=BB12_307 Depth=3
	v_bfe_u32 v6, v20, 16, 1
	s_delay_alu instid0(VALU_DEP_1)
	v_add3_u32 v22, v20, v6, 0x7fff
                                        ; implicit-def: $vgpr20_vgpr21
; %bb.708:                              ;   in Loop: Header=BB12_307 Depth=3
	s_and_not1_saveexec_b32 s14, s14
; %bb.709:                              ;   in Loop: Header=BB12_307 Depth=3
	v_and_b32_e32 v6, 0xffff, v20
	v_or_b32_e32 v7, 0x10000, v20
	s_delay_alu instid0(VALU_DEP_2) | instskip(NEXT) | instid1(VALU_DEP_2)
	v_cmp_eq_u32_e32 vcc_lo, 0, v6
	v_cndmask_b32_e32 v22, v7, v20, vcc_lo
; %bb.710:                              ;   in Loop: Header=BB12_307 Depth=3
	s_or_b32 exec_lo, exec_lo, s14
	v_lshlrev_b32_e32 v6, 16, v23
	v_lshlrev_b32_e32 v7, 16, v39
	s_mov_b32 s14, exec_lo
                                        ; implicit-def: $vgpr38
	s_delay_alu instid0(VALU_DEP_1) | instskip(NEXT) | instid1(VALU_DEP_1)
	v_mul_f32_e32 v6, v7, v6
	v_and_b32_e32 v7, 0x7f800000, v6
	s_delay_alu instid0(VALU_DEP_1)
	v_cmpx_ne_u32_e32 0x7f800000, v7
	s_xor_b32 s14, exec_lo, s14
; %bb.711:                              ;   in Loop: Header=BB12_307 Depth=3
	v_bfe_u32 v7, v6, 16, 1
	s_delay_alu instid0(VALU_DEP_1)
	v_add3_u32 v38, v6, v7, 0x7fff
                                        ; implicit-def: $vgpr6
; %bb.712:                              ;   in Loop: Header=BB12_307 Depth=3
	s_and_not1_saveexec_b32 s14, s14
; %bb.713:                              ;   in Loop: Header=BB12_307 Depth=3
	v_and_b32_e32 v7, 0xffff, v6
	v_or_b32_e32 v20, 0x10000, v6
	s_delay_alu instid0(VALU_DEP_2) | instskip(NEXT) | instid1(VALU_DEP_2)
	v_cmp_eq_u32_e32 vcc_lo, 0, v7
	v_cndmask_b32_e32 v38, v20, v6, vcc_lo
; %bb.714:                              ;   in Loop: Header=BB12_307 Depth=3
	s_or_b32 exec_lo, exec_lo, s14
	v_and_b32_e32 v7, 0xffff0000, v39
	v_and_b32_e32 v6, 0xffff0000, v23
	s_mov_b32 s14, exec_lo
                                        ; implicit-def: $vgpr23
	s_delay_alu instid0(VALU_DEP_2) | instskip(NEXT) | instid1(VALU_DEP_1)
	v_mov_b32_e32 v20, v7
	v_pk_mul_f32 v[20:21], v[20:21], v[6:7]
	s_delay_alu instid0(VALU_DEP_1) | instskip(NEXT) | instid1(VALU_DEP_1)
	v_and_b32_e32 v6, 0x7f800000, v20
	v_cmpx_ne_u32_e32 0x7f800000, v6
	s_xor_b32 s14, exec_lo, s14
; %bb.715:                              ;   in Loop: Header=BB12_307 Depth=3
	v_bfe_u32 v6, v20, 16, 1
	s_delay_alu instid0(VALU_DEP_1)
	v_add3_u32 v23, v20, v6, 0x7fff
                                        ; implicit-def: $vgpr20_vgpr21
; %bb.716:                              ;   in Loop: Header=BB12_307 Depth=3
	s_and_not1_saveexec_b32 s14, s14
; %bb.717:                              ;   in Loop: Header=BB12_307 Depth=3
	v_and_b32_e32 v6, 0xffff, v20
	v_or_b32_e32 v7, 0x10000, v20
	s_delay_alu instid0(VALU_DEP_2) | instskip(NEXT) | instid1(VALU_DEP_2)
	v_cmp_eq_u32_e32 vcc_lo, 0, v6
	v_cndmask_b32_e32 v23, v7, v20, vcc_lo
; %bb.718:                              ;   in Loop: Header=BB12_307 Depth=3
	s_or_b32 exec_lo, exec_lo, s14
	v_lshlrev_b32_e32 v6, 16, v24
	v_lshlrev_b32_e32 v7, 16, v16
	s_mov_b32 s14, exec_lo
                                        ; implicit-def: $vgpr39
	s_delay_alu instid0(VALU_DEP_1) | instskip(NEXT) | instid1(VALU_DEP_1)
	v_mul_f32_e32 v6, v7, v6
	v_and_b32_e32 v7, 0x7f800000, v6
	s_delay_alu instid0(VALU_DEP_1)
	v_cmpx_ne_u32_e32 0x7f800000, v7
	s_xor_b32 s14, exec_lo, s14
; %bb.719:                              ;   in Loop: Header=BB12_307 Depth=3
	v_bfe_u32 v7, v6, 16, 1
	s_delay_alu instid0(VALU_DEP_1)
	v_add3_u32 v39, v6, v7, 0x7fff
                                        ; implicit-def: $vgpr6
; %bb.720:                              ;   in Loop: Header=BB12_307 Depth=3
	s_and_not1_saveexec_b32 s14, s14
; %bb.721:                              ;   in Loop: Header=BB12_307 Depth=3
	v_and_b32_e32 v7, 0xffff, v6
	v_or_b32_e32 v20, 0x10000, v6
	s_delay_alu instid0(VALU_DEP_2) | instskip(NEXT) | instid1(VALU_DEP_2)
	v_cmp_eq_u32_e32 vcc_lo, 0, v7
	v_cndmask_b32_e32 v39, v20, v6, vcc_lo
; %bb.722:                              ;   in Loop: Header=BB12_307 Depth=3
	s_or_b32 exec_lo, exec_lo, s14
	v_and_b32_e32 v7, 0xffff0000, v24
	v_and_b32_e32 v6, 0xffff0000, v16
	s_mov_b32 s14, exec_lo
                                        ; implicit-def: $vgpr24
	s_delay_alu instid0(VALU_DEP_2) | instskip(NEXT) | instid1(VALU_DEP_1)
	v_mov_b32_e32 v16, v7
	v_pk_mul_f32 v[20:21], v[16:17], v[6:7]
	s_delay_alu instid0(VALU_DEP_1) | instskip(NEXT) | instid1(VALU_DEP_1)
	v_and_b32_e32 v6, 0x7f800000, v20
	v_cmpx_ne_u32_e32 0x7f800000, v6
	s_xor_b32 s14, exec_lo, s14
; %bb.723:                              ;   in Loop: Header=BB12_307 Depth=3
	v_bfe_u32 v6, v20, 16, 1
	s_delay_alu instid0(VALU_DEP_1)
	v_add3_u32 v24, v20, v6, 0x7fff
                                        ; implicit-def: $vgpr20_vgpr21
; %bb.724:                              ;   in Loop: Header=BB12_307 Depth=3
	s_and_not1_saveexec_b32 s14, s14
; %bb.725:                              ;   in Loop: Header=BB12_307 Depth=3
	v_and_b32_e32 v6, 0xffff, v20
	v_or_b32_e32 v7, 0x10000, v20
	s_delay_alu instid0(VALU_DEP_2) | instskip(NEXT) | instid1(VALU_DEP_2)
	v_cmp_eq_u32_e32 vcc_lo, 0, v6
	v_cndmask_b32_e32 v24, v7, v20, vcc_lo
; %bb.726:                              ;   in Loop: Header=BB12_307 Depth=3
	s_or_b32 exec_lo, exec_lo, s14
	v_lshlrev_b32_e32 v6, 16, v17
	v_lshlrev_b32_e32 v7, 16, v25
	s_mov_b32 s14, exec_lo
                                        ; implicit-def: $vgpr20
	s_delay_alu instid0(VALU_DEP_1) | instskip(NEXT) | instid1(VALU_DEP_1)
	v_mul_f32_e32 v6, v7, v6
	v_and_b32_e32 v7, 0x7f800000, v6
	s_delay_alu instid0(VALU_DEP_1)
	v_cmpx_ne_u32_e32 0x7f800000, v7
	s_xor_b32 s14, exec_lo, s14
; %bb.727:                              ;   in Loop: Header=BB12_307 Depth=3
	v_bfe_u32 v7, v6, 16, 1
	s_delay_alu instid0(VALU_DEP_1)
	v_add3_u32 v20, v6, v7, 0x7fff
                                        ; implicit-def: $vgpr6
; %bb.728:                              ;   in Loop: Header=BB12_307 Depth=3
	s_and_not1_saveexec_b32 s14, s14
; %bb.729:                              ;   in Loop: Header=BB12_307 Depth=3
	v_and_b32_e32 v7, 0xffff, v6
	v_or_b32_e32 v16, 0x10000, v6
	s_delay_alu instid0(VALU_DEP_2) | instskip(NEXT) | instid1(VALU_DEP_2)
	v_cmp_eq_u32_e32 vcc_lo, 0, v7
	v_cndmask_b32_e32 v20, v16, v6, vcc_lo
; %bb.730:                              ;   in Loop: Header=BB12_307 Depth=3
	s_or_b32 exec_lo, exec_lo, s14
	v_and_b32_e32 v7, 0xffff0000, v25
	v_and_b32_e32 v6, 0xffff0000, v17
	s_mov_b32 s14, exec_lo
                                        ; implicit-def: $vgpr21
	s_delay_alu instid0(VALU_DEP_2) | instskip(NEXT) | instid1(VALU_DEP_1)
	v_mov_b32_e32 v16, v7
	v_pk_mul_f32 v[16:17], v[16:17], v[6:7]
	s_delay_alu instid0(VALU_DEP_1) | instskip(NEXT) | instid1(VALU_DEP_1)
	v_and_b32_e32 v6, 0x7f800000, v16
	v_cmpx_ne_u32_e32 0x7f800000, v6
	s_xor_b32 s14, exec_lo, s14
; %bb.731:                              ;   in Loop: Header=BB12_307 Depth=3
	v_bfe_u32 v6, v16, 16, 1
	s_delay_alu instid0(VALU_DEP_1)
	v_add3_u32 v21, v16, v6, 0x7fff
                                        ; implicit-def: $vgpr16_vgpr17
; %bb.732:                              ;   in Loop: Header=BB12_307 Depth=3
	s_and_not1_saveexec_b32 s14, s14
; %bb.733:                              ;   in Loop: Header=BB12_307 Depth=3
	v_and_b32_e32 v6, 0xffff, v16
	v_or_b32_e32 v7, 0x10000, v16
	s_delay_alu instid0(VALU_DEP_2) | instskip(NEXT) | instid1(VALU_DEP_2)
	v_cmp_eq_u32_e32 vcc_lo, 0, v6
	v_cndmask_b32_e32 v21, v7, v16, vcc_lo
; %bb.734:                              ;   in Loop: Header=BB12_307 Depth=3
	s_or_b32 exec_lo, exec_lo, s14
	v_lshlrev_b32_e32 v6, 16, v26
	v_lshlrev_b32_e32 v7, 16, v18
	s_delay_alu instid0(VALU_DEP_1) | instskip(NEXT) | instid1(VALU_DEP_1)
	v_mul_f32_e32 v7, v7, v6
	v_and_b32_e32 v6, 0x7f800000, v7
	s_delay_alu instid0(VALU_DEP_1) | instskip(SKIP_1) | instid1(SALU_CYCLE_1)
	v_cmp_ne_u32_e32 vcc_lo, 0x7f800000, v6
                                        ; implicit-def: $vgpr6
	s_and_saveexec_b32 s14, vcc_lo
	s_xor_b32 s14, exec_lo, s14
; %bb.735:                              ;   in Loop: Header=BB12_307 Depth=3
	v_bfe_u32 v6, v7, 16, 1
	s_delay_alu instid0(VALU_DEP_1)
	v_add3_u32 v6, v7, v6, 0x7fff
                                        ; implicit-def: $vgpr7
; %bb.736:                              ;   in Loop: Header=BB12_307 Depth=3
	s_and_not1_saveexec_b32 s14, s14
; %bb.737:                              ;   in Loop: Header=BB12_307 Depth=3
	v_and_b32_e32 v6, 0xffff, v7
	v_or_b32_e32 v16, 0x10000, v7
	s_delay_alu instid0(VALU_DEP_2) | instskip(NEXT) | instid1(VALU_DEP_2)
	v_cmp_eq_u32_e32 vcc_lo, 0, v6
	v_cndmask_b32_e32 v6, v16, v7, vcc_lo
; %bb.738:                              ;   in Loop: Header=BB12_307 Depth=3
	s_or_b32 exec_lo, exec_lo, s14
	v_and_b32_e32 v17, 0xffff0000, v26
	v_and_b32_e32 v16, 0xffff0000, v18
	s_delay_alu instid0(VALU_DEP_2) | instskip(NEXT) | instid1(VALU_DEP_1)
	v_mov_b32_e32 v18, v17
	v_pk_mul_f32 v[16:17], v[18:19], v[16:17]
	s_delay_alu instid0(VALU_DEP_1) | instskip(NEXT) | instid1(VALU_DEP_1)
	v_and_b32_e32 v7, 0x7f800000, v16
	v_cmp_ne_u32_e32 vcc_lo, 0x7f800000, v7
                                        ; implicit-def: $vgpr7
	s_and_saveexec_b32 s14, vcc_lo
	s_delay_alu instid0(SALU_CYCLE_1)
	s_xor_b32 s14, exec_lo, s14
; %bb.739:                              ;   in Loop: Header=BB12_307 Depth=3
	v_bfe_u32 v7, v16, 16, 1
	s_delay_alu instid0(VALU_DEP_1)
	v_add3_u32 v7, v16, v7, 0x7fff
                                        ; implicit-def: $vgpr16_vgpr17
; %bb.740:                              ;   in Loop: Header=BB12_307 Depth=3
	s_and_not1_saveexec_b32 s14, s14
; %bb.741:                              ;   in Loop: Header=BB12_307 Depth=3
	v_and_b32_e32 v7, 0xffff, v16
	v_or_b32_e32 v17, 0x10000, v16
	s_delay_alu instid0(VALU_DEP_2) | instskip(NEXT) | instid1(VALU_DEP_2)
	v_cmp_eq_u32_e32 vcc_lo, 0, v7
	v_cndmask_b32_e32 v7, v17, v16, vcc_lo
; %bb.742:                              ;   in Loop: Header=BB12_307 Depth=3
	s_or_b32 exec_lo, exec_lo, s14
	v_lshlrev_b32_e32 v16, 16, v19
	v_lshlrev_b32_e32 v17, 16, v27
	s_mov_b32 s14, exec_lo
                                        ; implicit-def: $vgpr18
	s_delay_alu instid0(VALU_DEP_1) | instskip(NEXT) | instid1(VALU_DEP_1)
	v_mul_f32_e32 v16, v17, v16
	v_and_b32_e32 v17, 0x7f800000, v16
	s_delay_alu instid0(VALU_DEP_1)
	v_cmpx_ne_u32_e32 0x7f800000, v17
	s_xor_b32 s14, exec_lo, s14
; %bb.743:                              ;   in Loop: Header=BB12_307 Depth=3
	v_bfe_u32 v17, v16, 16, 1
	s_delay_alu instid0(VALU_DEP_1)
	v_add3_u32 v18, v16, v17, 0x7fff
                                        ; implicit-def: $vgpr16
; %bb.744:                              ;   in Loop: Header=BB12_307 Depth=3
	s_and_not1_saveexec_b32 s14, s14
; %bb.745:                              ;   in Loop: Header=BB12_307 Depth=3
	v_and_b32_e32 v17, 0xffff, v16
	v_or_b32_e32 v18, 0x10000, v16
	s_delay_alu instid0(VALU_DEP_2) | instskip(NEXT) | instid1(VALU_DEP_2)
	v_cmp_eq_u32_e32 vcc_lo, 0, v17
	v_cndmask_b32_e32 v18, v18, v16, vcc_lo
; %bb.746:                              ;   in Loop: Header=BB12_307 Depth=3
	s_or_b32 exec_lo, exec_lo, s14
	v_and_b32_e32 v17, 0xffff0000, v27
	v_and_b32_e32 v16, 0xffff0000, v19
	s_mov_b32 s14, exec_lo
                                        ; implicit-def: $vgpr19
	s_delay_alu instid0(VALU_DEP_2) | instskip(NEXT) | instid1(VALU_DEP_1)
	v_mov_b32_e32 v26, v17
	v_pk_mul_f32 v[16:17], v[26:27], v[16:17]
	s_delay_alu instid0(VALU_DEP_1) | instskip(NEXT) | instid1(VALU_DEP_1)
	v_and_b32_e32 v17, 0x7f800000, v16
	v_cmpx_ne_u32_e32 0x7f800000, v17
	s_xor_b32 s14, exec_lo, s14
; %bb.747:                              ;   in Loop: Header=BB12_307 Depth=3
	v_bfe_u32 v17, v16, 16, 1
	s_delay_alu instid0(VALU_DEP_1)
	v_add3_u32 v19, v16, v17, 0x7fff
                                        ; implicit-def: $vgpr16_vgpr17
; %bb.748:                              ;   in Loop: Header=BB12_307 Depth=3
	s_and_not1_saveexec_b32 s14, s14
; %bb.749:                              ;   in Loop: Header=BB12_307 Depth=3
	v_and_b32_e32 v17, 0xffff, v16
	v_or_b32_e32 v19, 0x10000, v16
	s_delay_alu instid0(VALU_DEP_2) | instskip(NEXT) | instid1(VALU_DEP_2)
	v_cmp_eq_u32_e32 vcc_lo, 0, v17
	v_cndmask_b32_e32 v19, v19, v16, vcc_lo
; %bb.750:                              ;   in Loop: Header=BB12_307 Depth=3
	s_or_b32 exec_lo, exec_lo, s14
	v_lshlrev_b32_e32 v16, 16, v12
	v_lshlrev_b32_e32 v17, 16, v8
	s_mov_b32 s14, exec_lo
                                        ; implicit-def: $vgpr25
	s_delay_alu instid0(VALU_DEP_1) | instskip(NEXT) | instid1(VALU_DEP_1)
	v_mul_f32_e32 v16, v17, v16
	v_and_b32_e32 v17, 0x7f800000, v16
	s_delay_alu instid0(VALU_DEP_1)
	v_cmpx_ne_u32_e32 0x7f800000, v17
	s_xor_b32 s14, exec_lo, s14
; %bb.751:                              ;   in Loop: Header=BB12_307 Depth=3
	v_bfe_u32 v17, v16, 16, 1
	s_delay_alu instid0(VALU_DEP_1)
	v_add3_u32 v25, v16, v17, 0x7fff
                                        ; implicit-def: $vgpr16
; %bb.752:                              ;   in Loop: Header=BB12_307 Depth=3
	s_and_not1_saveexec_b32 s14, s14
; %bb.753:                              ;   in Loop: Header=BB12_307 Depth=3
	v_and_b32_e32 v17, 0xffff, v16
	v_or_b32_e32 v25, 0x10000, v16
	s_delay_alu instid0(VALU_DEP_2) | instskip(NEXT) | instid1(VALU_DEP_2)
	v_cmp_eq_u32_e32 vcc_lo, 0, v17
	v_cndmask_b32_e32 v25, v25, v16, vcc_lo
; %bb.754:                              ;   in Loop: Header=BB12_307 Depth=3
	s_or_b32 exec_lo, exec_lo, s14
	v_and_b32_e32 v17, 0xffff0000, v12
	v_and_b32_e32 v16, 0xffff0000, v8
	s_mov_b32 s14, exec_lo
                                        ; implicit-def: $vgpr12
	s_delay_alu instid0(VALU_DEP_2) | instskip(NEXT) | instid1(VALU_DEP_1)
	v_mov_b32_e32 v8, v17
	v_pk_mul_f32 v[16:17], v[8:9], v[16:17]
	s_delay_alu instid0(VALU_DEP_1) | instskip(NEXT) | instid1(VALU_DEP_1)
	v_and_b32_e32 v8, 0x7f800000, v16
	v_cmpx_ne_u32_e32 0x7f800000, v8
	s_xor_b32 s14, exec_lo, s14
; %bb.755:                              ;   in Loop: Header=BB12_307 Depth=3
	v_bfe_u32 v8, v16, 16, 1
	s_delay_alu instid0(VALU_DEP_1)
	v_add3_u32 v12, v16, v8, 0x7fff
                                        ; implicit-def: $vgpr16_vgpr17
; %bb.756:                              ;   in Loop: Header=BB12_307 Depth=3
	s_and_not1_saveexec_b32 s14, s14
; %bb.757:                              ;   in Loop: Header=BB12_307 Depth=3
	v_and_b32_e32 v8, 0xffff, v16
	v_or_b32_e32 v12, 0x10000, v16
	s_delay_alu instid0(VALU_DEP_2) | instskip(NEXT) | instid1(VALU_DEP_2)
	v_cmp_eq_u32_e32 vcc_lo, 0, v8
	v_cndmask_b32_e32 v12, v12, v16, vcc_lo
; %bb.758:                              ;   in Loop: Header=BB12_307 Depth=3
	s_or_b32 exec_lo, exec_lo, s14
	v_lshlrev_b32_e32 v8, 16, v9
	v_lshlrev_b32_e32 v16, 16, v13
	s_delay_alu instid0(VALU_DEP_1) | instskip(NEXT) | instid1(VALU_DEP_1)
	v_mul_f32_e32 v8, v16, v8
	v_and_b32_e32 v16, 0x7f800000, v8
	s_delay_alu instid0(VALU_DEP_1) | instskip(SKIP_1) | instid1(SALU_CYCLE_1)
	v_cmp_ne_u32_e32 vcc_lo, 0x7f800000, v16
                                        ; implicit-def: $vgpr16
	s_and_saveexec_b32 s14, vcc_lo
	s_xor_b32 s14, exec_lo, s14
; %bb.759:                              ;   in Loop: Header=BB12_307 Depth=3
	v_bfe_u32 v16, v8, 16, 1
	s_delay_alu instid0(VALU_DEP_1)
	v_add3_u32 v16, v8, v16, 0x7fff
                                        ; implicit-def: $vgpr8
; %bb.760:                              ;   in Loop: Header=BB12_307 Depth=3
	s_and_not1_saveexec_b32 s14, s14
; %bb.761:                              ;   in Loop: Header=BB12_307 Depth=3
	v_and_b32_e32 v16, 0xffff, v8
	v_or_b32_e32 v17, 0x10000, v8
	s_delay_alu instid0(VALU_DEP_2) | instskip(NEXT) | instid1(VALU_DEP_2)
	v_cmp_eq_u32_e32 vcc_lo, 0, v16
	v_cndmask_b32_e32 v16, v17, v8, vcc_lo
; %bb.762:                              ;   in Loop: Header=BB12_307 Depth=3
	s_or_b32 exec_lo, exec_lo, s14
	v_and_b32_e32 v27, 0xffff0000, v13
	v_and_b32_e32 v26, 0xffff0000, v9
	s_mov_b32 s14, exec_lo
                                        ; implicit-def: $vgpr13
	s_delay_alu instid0(VALU_DEP_2) | instskip(NEXT) | instid1(VALU_DEP_1)
	v_mov_b32_e32 v8, v27
	v_pk_mul_f32 v[8:9], v[8:9], v[26:27]
	s_delay_alu instid0(VALU_DEP_1) | instskip(NEXT) | instid1(VALU_DEP_1)
	v_and_b32_e32 v9, 0x7f800000, v8
	v_cmpx_ne_u32_e32 0x7f800000, v9
	s_xor_b32 s14, exec_lo, s14
; %bb.763:                              ;   in Loop: Header=BB12_307 Depth=3
	v_bfe_u32 v9, v8, 16, 1
	s_delay_alu instid0(VALU_DEP_1)
	v_add3_u32 v13, v8, v9, 0x7fff
                                        ; implicit-def: $vgpr8_vgpr9
; %bb.764:                              ;   in Loop: Header=BB12_307 Depth=3
	s_and_not1_saveexec_b32 s14, s14
; %bb.765:                              ;   in Loop: Header=BB12_307 Depth=3
	v_and_b32_e32 v9, 0xffff, v8
	v_or_b32_e32 v13, 0x10000, v8
	s_delay_alu instid0(VALU_DEP_2) | instskip(NEXT) | instid1(VALU_DEP_2)
	v_cmp_eq_u32_e32 vcc_lo, 0, v9
	v_cndmask_b32_e32 v13, v13, v8, vcc_lo
; %bb.766:                              ;   in Loop: Header=BB12_307 Depth=3
	s_or_b32 exec_lo, exec_lo, s14
	v_lshlrev_b32_e32 v8, 16, v14
	v_lshlrev_b32_e32 v9, 16, v10
	s_mov_b32 s14, exec_lo
                                        ; implicit-def: $vgpr17
	s_delay_alu instid0(VALU_DEP_1) | instskip(NEXT) | instid1(VALU_DEP_1)
	v_mul_f32_e32 v8, v9, v8
	v_and_b32_e32 v9, 0x7f800000, v8
	s_delay_alu instid0(VALU_DEP_1)
	v_cmpx_ne_u32_e32 0x7f800000, v9
	s_xor_b32 s14, exec_lo, s14
; %bb.767:                              ;   in Loop: Header=BB12_307 Depth=3
	v_bfe_u32 v9, v8, 16, 1
	s_delay_alu instid0(VALU_DEP_1)
	v_add3_u32 v17, v8, v9, 0x7fff
                                        ; implicit-def: $vgpr8
; %bb.768:                              ;   in Loop: Header=BB12_307 Depth=3
	s_and_not1_saveexec_b32 s14, s14
; %bb.769:                              ;   in Loop: Header=BB12_307 Depth=3
	v_and_b32_e32 v9, 0xffff, v8
	v_or_b32_e32 v17, 0x10000, v8
	s_delay_alu instid0(VALU_DEP_2) | instskip(NEXT) | instid1(VALU_DEP_2)
	v_cmp_eq_u32_e32 vcc_lo, 0, v9
	v_cndmask_b32_e32 v17, v17, v8, vcc_lo
; %bb.770:                              ;   in Loop: Header=BB12_307 Depth=3
	s_or_b32 exec_lo, exec_lo, s14
	v_and_b32_e32 v9, 0xffff0000, v14
	v_and_b32_e32 v8, 0xffff0000, v10
	s_mov_b32 s14, exec_lo
	s_delay_alu instid0(VALU_DEP_2) | instskip(NEXT) | instid1(VALU_DEP_1)
	v_mov_b32_e32 v10, v9
	v_pk_mul_f32 v[8:9], v[10:11], v[8:9]
                                        ; implicit-def: $vgpr10
	s_delay_alu instid0(VALU_DEP_1) | instskip(NEXT) | instid1(VALU_DEP_1)
	v_and_b32_e32 v9, 0x7f800000, v8
	v_cmpx_ne_u32_e32 0x7f800000, v9
	s_xor_b32 s14, exec_lo, s14
; %bb.771:                              ;   in Loop: Header=BB12_307 Depth=3
	v_bfe_u32 v9, v8, 16, 1
	s_delay_alu instid0(VALU_DEP_1)
	v_add3_u32 v10, v8, v9, 0x7fff
                                        ; implicit-def: $vgpr8_vgpr9
; %bb.772:                              ;   in Loop: Header=BB12_307 Depth=3
	s_and_not1_saveexec_b32 s14, s14
; %bb.773:                              ;   in Loop: Header=BB12_307 Depth=3
	v_and_b32_e32 v9, 0xffff, v8
	v_or_b32_e32 v10, 0x10000, v8
	s_delay_alu instid0(VALU_DEP_2) | instskip(NEXT) | instid1(VALU_DEP_2)
	v_cmp_eq_u32_e32 vcc_lo, 0, v9
	v_cndmask_b32_e32 v10, v10, v8, vcc_lo
; %bb.774:                              ;   in Loop: Header=BB12_307 Depth=3
	s_or_b32 exec_lo, exec_lo, s14
	v_lshlrev_b32_e32 v8, 16, v11
	v_lshlrev_b32_e32 v9, 16, v15
	s_mov_b32 s14, exec_lo
                                        ; implicit-def: $vgpr14
	s_delay_alu instid0(VALU_DEP_1) | instskip(NEXT) | instid1(VALU_DEP_1)
	v_mul_f32_e32 v8, v9, v8
	v_and_b32_e32 v9, 0x7f800000, v8
	s_delay_alu instid0(VALU_DEP_1)
	v_cmpx_ne_u32_e32 0x7f800000, v9
	s_xor_b32 s14, exec_lo, s14
; %bb.775:                              ;   in Loop: Header=BB12_307 Depth=3
	v_bfe_u32 v9, v8, 16, 1
	s_delay_alu instid0(VALU_DEP_1)
	v_add3_u32 v14, v8, v9, 0x7fff
                                        ; implicit-def: $vgpr8
; %bb.776:                              ;   in Loop: Header=BB12_307 Depth=3
	s_and_not1_saveexec_b32 s14, s14
; %bb.777:                              ;   in Loop: Header=BB12_307 Depth=3
	v_and_b32_e32 v9, 0xffff, v8
	v_or_b32_e32 v14, 0x10000, v8
	s_delay_alu instid0(VALU_DEP_2) | instskip(NEXT) | instid1(VALU_DEP_2)
	v_cmp_eq_u32_e32 vcc_lo, 0, v9
	v_cndmask_b32_e32 v14, v14, v8, vcc_lo
; %bb.778:                              ;   in Loop: Header=BB12_307 Depth=3
	s_or_b32 exec_lo, exec_lo, s14
	v_and_b32_e32 v9, 0xffff0000, v15
	v_and_b32_e32 v8, 0xffff0000, v11
	s_mov_b32 s14, exec_lo
                                        ; implicit-def: $vgpr11
	s_delay_alu instid0(VALU_DEP_2) | instskip(NEXT) | instid1(VALU_DEP_1)
	v_mov_b32_e32 v26, v9
	v_pk_mul_f32 v[8:9], v[26:27], v[8:9]
	s_delay_alu instid0(VALU_DEP_1) | instskip(NEXT) | instid1(VALU_DEP_1)
	v_and_b32_e32 v9, 0x7f800000, v8
	v_cmpx_ne_u32_e32 0x7f800000, v9
	s_xor_b32 s14, exec_lo, s14
; %bb.779:                              ;   in Loop: Header=BB12_307 Depth=3
	v_bfe_u32 v9, v8, 16, 1
	s_delay_alu instid0(VALU_DEP_1)
	v_add3_u32 v11, v8, v9, 0x7fff
                                        ; implicit-def: $vgpr8_vgpr9
; %bb.780:                              ;   in Loop: Header=BB12_307 Depth=3
	s_and_not1_saveexec_b32 s14, s14
; %bb.781:                              ;   in Loop: Header=BB12_307 Depth=3
	v_and_b32_e32 v9, 0xffff, v8
	v_or_b32_e32 v11, 0x10000, v8
	s_delay_alu instid0(VALU_DEP_2) | instskip(NEXT) | instid1(VALU_DEP_2)
	v_cmp_eq_u32_e32 vcc_lo, 0, v9
	v_cndmask_b32_e32 v11, v11, v8, vcc_lo
; %bb.782:                              ;   in Loop: Header=BB12_307 Depth=3
	s_or_b32 exec_lo, exec_lo, s14
	v_dual_lshrrev_b32 v8, 16, v20 :: v_dual_lshrrev_b32 v9, 16, v39
	v_lshrrev_b32_e32 v6, 16, v6
	v_dual_lshrrev_b32 v15, 16, v18 :: v_dual_lshrrev_b32 v18, 16, v32
	s_delay_alu instid0(VALU_DEP_3) | instskip(SKIP_1) | instid1(VALU_DEP_4)
	v_and_or_b32 v65, 0xffff0000, v21, v8
	v_lshrrev_b32_e32 v8, 16, v54
	v_and_or_b32 v66, 0xffff0000, v7, v6
	v_and_or_b32 v64, 0xffff0000, v24, v9
	v_dual_lshrrev_b32 v9, 16, v38 :: v_dual_lshrrev_b32 v20, 16, v52
	s_delay_alu instid0(VALU_DEP_4)
	v_and_or_b32 v6, 0xffff0000, v36, v8
	v_lshrrev_b32_e32 v8, 16, v37
	v_and_or_b32 v67, 0xffff0000, v19, v15
	v_lshrrev_b32_e32 v15, 16, v48
	;; [unrolled: 2-line block ×3, first 2 shown]
	v_and_or_b32 v8, 0xffff0000, v22, v8
	v_and_or_b32 v9, 0xffff0000, v23, v9
	v_and_or_b32 v19, 0xffff0000, v49, v15
	v_dual_lshrrev_b32 v15, 16, v53 :: v_dual_lshrrev_b32 v16, 16, v16
	v_lshrrev_b32_e32 v22, 16, v25
	v_dual_lshrrev_b32 v17, 16, v17 :: v_dual_lshrrev_b32 v23, 16, v14
	v_and_or_b32 v18, 0xffff0000, v51, v18
	v_and_or_b32 v20, 0xffff0000, v34, v20
	;; [unrolled: 1-line block ×7, first 2 shown]
	s_clause 0x3
	global_store_b128 v[74:75], v[18:21], off th:TH_STORE_NT
	global_store_b128 v[74:75], v[6:9], off offset:512 th:TH_STORE_NT
	global_store_b128 v[74:75], v[64:67], off offset:1024 th:TH_STORE_NT
	;; [unrolled: 1-line block ×3, first 2 shown]
.LBB12_783:                             ;   in Loop: Header=BB12_307 Depth=3
	s_wait_xcnt 0x0
	s_or_b32 exec_lo, exec_lo, s13
	v_lshlrev_b32_e32 v24, 11, v29
	s_mov_b32 s78, exec_lo
                                        ; implicit-def: $vgpr14
                                        ; implicit-def: $vgpr15
                                        ; implicit-def: $vgpr8
	s_delay_alu instid0(VALU_DEP_1)
	v_cmpx_ne_u32_e64 v5, v24
	s_cbranch_execz .LBB12_898
; %bb.784:                              ;   in Loop: Header=BB12_307 Depth=3
	scratch_load_b32 v7, off, s33 offset:316 ; 4-byte Folded Reload
	v_dual_lshlrev_b32 v6, 5, v31 :: v_dual_sub_nc_u32 v10, v5, v24
	s_mov_b32 s15, 0
	s_mov_b32 s79, exec_lo
	s_delay_alu instid0(VALU_DEP_1) | instskip(SKIP_2) | instid1(VALU_DEP_1)
	v_ashrrev_i32_e32 v9, 31, v10
	s_wait_loadcnt 0x0
	v_sub_nc_u32_e32 v6, v7, v6
	v_ashrrev_i32_e32 v7, 31, v6
	s_delay_alu instid0(VALU_DEP_1) | instskip(NEXT) | instid1(VALU_DEP_1)
	v_lshrrev_b32_e32 v7, 27, v7
	v_add_nc_u32_e32 v7, v6, v7
	s_delay_alu instid0(VALU_DEP_1) | instskip(NEXT) | instid1(VALU_DEP_1)
	v_and_b32_e32 v8, 0xffffffe0, v7
	v_dual_ashrrev_i32 v7, 5, v7 :: v_dual_sub_nc_u32 v26, v6, v8
	v_lshrrev_b32_e32 v6, 23, v9
	s_delay_alu instid0(VALU_DEP_1) | instskip(NEXT) | instid1(VALU_DEP_1)
	v_add_nc_u32_e32 v6, v10, v6
	v_and_b32_e32 v25, 0xfffffe00, v6
	s_delay_alu instid0(VALU_DEP_1) | instskip(NEXT) | instid1(VALU_DEP_1)
	v_dual_lshlrev_b32 v8, 4, v26 :: v_dual_sub_nc_u32 v27, v10, v25
	v_lshl_add_u32 v11, v7, 9, v8
	s_delay_alu instid0(VALU_DEP_2) | instskip(NEXT) | instid1(VALU_DEP_2)
	v_cmp_lt_i32_e64 s13, 15, v27
	v_dual_add_nc_u32 v8, v11, v24 :: v_dual_ashrrev_i32 v6, 9, v6
	s_delay_alu instid0(VALU_DEP_1) | instskip(NEXT) | instid1(VALU_DEP_2)
	v_dual_sub_nc_u32 v31, v10, v11 :: v_dual_ashrrev_i32 v9, 31, v8
	v_add_co_ci_u32_e64 v6, null, 0, v6, s13
	s_delay_alu instid0(VALU_DEP_2) | instskip(NEXT) | instid1(VALU_DEP_2)
	v_add_nc_u64_e32 v[16:17], v[8:9], v[72:73]
	v_sub_nc_u32_e32 v29, v6, v7
	s_wait_xcnt 0x0
	v_cmpx_lt_i32_e32 15, v31
	s_cbranch_execz .LBB12_861
; %bb.785:                              ;   in Loop: Header=BB12_307 Depth=3
	s_trap 2
	ds_load_b64 v[6:7], v0
	v_add_nc_u64_e32 v[18:19], v[8:9], v[0:1]
	s_mov_b32 s90, 0
	s_mov_b32 s88, 0
                                        ; implicit-def: $sgpr89
	s_wait_dscnt 0x0
	v_add_nc_u64_e32 v[20:21], v[6:7], v[8:9]
	s_branch .LBB12_787
.LBB12_786:                             ;   in Loop: Header=BB12_787 Depth=4
	s_or_b32 exec_lo, exec_lo, s14
	s_delay_alu instid0(VALU_DEP_1) | instskip(SKIP_3) | instid1(SALU_CYCLE_1)
	v_cmp_gt_i32_e32 vcc_lo, 16, v31
	s_or_b32 s88, vcc_lo, s88
	s_and_not1_b32 s14, s89, exec_lo
	s_and_b32 s15, s90, exec_lo
	s_or_b32 s89, s14, s15
	s_and_not1_b32 exec_lo, exec_lo, s88
	s_cbranch_execz .LBB12_860
.LBB12_787:                             ;   Parent Loop BB12_47 Depth=1
                                        ;     Parent Loop BB12_304 Depth=2
                                        ;       Parent Loop BB12_307 Depth=3
                                        ; =>      This Loop Header: Depth=4
                                        ;           Child Loop BB12_788 Depth 5
                                        ;           Child Loop BB12_825 Depth 5
	s_add_co_i32 s14, s33, 0xc0
	s_mov_b64 s[40:41], 0
	s_mov_b32 s91, s14
	s_mov_b32 s92, -1
.LBB12_788:                             ;   Parent Loop BB12_47 Depth=1
                                        ;     Parent Loop BB12_304 Depth=2
                                        ;       Parent Loop BB12_307 Depth=3
                                        ;         Parent Loop BB12_787 Depth=4
                                        ; =>        This Inner Loop Header: Depth=5
	s_cmp_eq_u32 s40, 1
	s_cselect_b32 vcc_lo, -1, 0
	s_cmp_eq_u32 s40, 0
	v_dual_cndmask_b32 v11, v19, v21 :: v_dual_cndmask_b32 v10, v18, v20
	s_cselect_b32 s14, -1, 0
	s_and_b32 s15, exec_lo, s92
	s_mov_b64 s[40:41], 1
	s_mov_b32 s92, 0
	global_load_b128 v[6:9], v[10:11], off th:TH_LOAD_NT
	s_wait_xcnt 0x0
	v_add_nc_u64_e32 v[10:11], 0x200, v[10:11]
	s_delay_alu instid0(VALU_DEP_1)
	v_dual_cndmask_b32 v19, v19, v11, s14 :: v_dual_cndmask_b32 v18, v18, v10, s14
	v_dual_cndmask_b32 v21, v21, v11 :: v_dual_cndmask_b32 v20, v20, v10
	s_mov_b32 vcc_lo, s15
	s_wait_loadcnt 0x0
	scratch_store_b128 off, v[6:9], s91
	s_wait_xcnt 0x0
	s_mov_b32 s91, s56
	s_cbranch_vccnz .LBB12_788
; %bb.789:                              ;   in Loop: Header=BB12_787 Depth=4
	s_and_saveexec_b32 s14, s90
	s_cbranch_execz .LBB12_823
; %bb.790:                              ;   in Loop: Header=BB12_787 Depth=4
	s_clause 0x1
	scratch_load_b128 v[8:11], off, s33 offset:224
	scratch_load_b128 v[12:15], off, s33 offset:240
	s_wait_loadcnt 0x1
	v_lshlrev_b32_e32 v6, 16, v8
	s_wait_loadcnt 0x0
	v_lshlrev_b32_e32 v7, 16, v12
	s_delay_alu instid0(VALU_DEP_1) | instskip(NEXT) | instid1(VALU_DEP_1)
	v_mul_f32_e32 v7, v6, v7
	v_and_b32_e32 v6, 0x7f800000, v7
	s_delay_alu instid0(VALU_DEP_1) | instskip(SKIP_2) | instid1(SALU_CYCLE_1)
	v_cmp_ne_u32_e32 vcc_lo, 0x7f800000, v6
                                        ; implicit-def: $vgpr6
	s_wait_xcnt 0x0
	s_and_saveexec_b32 s15, vcc_lo
	s_xor_b32 s15, exec_lo, s15
; %bb.791:                              ;   in Loop: Header=BB12_787 Depth=4
	v_bfe_u32 v6, v7, 16, 1
	s_delay_alu instid0(VALU_DEP_1)
	v_add3_u32 v6, v7, v6, 0x7fff
                                        ; implicit-def: $vgpr7
; %bb.792:                              ;   in Loop: Header=BB12_787 Depth=4
	s_and_not1_saveexec_b32 s15, s15
; %bb.793:                              ;   in Loop: Header=BB12_787 Depth=4
	v_and_b32_e32 v6, 0xffff, v7
	v_or_b32_e32 v22, 0x10000, v7
	s_delay_alu instid0(VALU_DEP_2) | instskip(NEXT) | instid1(VALU_DEP_2)
	v_cmp_eq_u32_e32 vcc_lo, 0, v6
	v_cndmask_b32_e32 v6, v22, v7, vcc_lo
; %bb.794:                              ;   in Loop: Header=BB12_787 Depth=4
	s_or_b32 exec_lo, exec_lo, s15
	v_and_b32_e32 v23, 0xffff0000, v12
	v_and_b32_e32 v22, 0xffff0000, v8
	s_delay_alu instid0(VALU_DEP_2) | instskip(NEXT) | instid1(VALU_DEP_1)
	v_mov_b32_e32 v8, v23
	v_pk_mul_f32 v[22:23], v[8:9], v[22:23]
	s_delay_alu instid0(VALU_DEP_1) | instskip(NEXT) | instid1(VALU_DEP_1)
	v_and_b32_e32 v7, 0x7f800000, v22
	v_cmp_ne_u32_e32 vcc_lo, 0x7f800000, v7
                                        ; implicit-def: $vgpr7
	s_and_saveexec_b32 s15, vcc_lo
	s_delay_alu instid0(SALU_CYCLE_1)
	s_xor_b32 s15, exec_lo, s15
; %bb.795:                              ;   in Loop: Header=BB12_787 Depth=4
	v_bfe_u32 v7, v22, 16, 1
	s_delay_alu instid0(VALU_DEP_1)
	v_add3_u32 v7, v22, v7, 0x7fff
                                        ; implicit-def: $vgpr22_vgpr23
; %bb.796:                              ;   in Loop: Header=BB12_787 Depth=4
	s_and_not1_saveexec_b32 s15, s15
; %bb.797:                              ;   in Loop: Header=BB12_787 Depth=4
	v_and_b32_e32 v7, 0xffff, v22
	v_or_b32_e32 v8, 0x10000, v22
	s_delay_alu instid0(VALU_DEP_2) | instskip(NEXT) | instid1(VALU_DEP_2)
	v_cmp_eq_u32_e32 vcc_lo, 0, v7
	v_cndmask_b32_e32 v7, v8, v22, vcc_lo
; %bb.798:                              ;   in Loop: Header=BB12_787 Depth=4
	s_or_b32 exec_lo, exec_lo, s15
	v_lshlrev_b32_e32 v8, 16, v9
	v_lshlrev_b32_e32 v12, 16, v13
	s_delay_alu instid0(VALU_DEP_1) | instskip(NEXT) | instid1(VALU_DEP_1)
	v_mul_f32_e32 v8, v12, v8
	v_and_b32_e32 v12, 0x7f800000, v8
	s_delay_alu instid0(VALU_DEP_1) | instskip(SKIP_1) | instid1(SALU_CYCLE_1)
	v_cmp_ne_u32_e32 vcc_lo, 0x7f800000, v12
                                        ; implicit-def: $vgpr12
	s_and_saveexec_b32 s15, vcc_lo
	s_xor_b32 s15, exec_lo, s15
; %bb.799:                              ;   in Loop: Header=BB12_787 Depth=4
	v_bfe_u32 v12, v8, 16, 1
	s_delay_alu instid0(VALU_DEP_1)
	v_add3_u32 v12, v8, v12, 0x7fff
                                        ; implicit-def: $vgpr8
; %bb.800:                              ;   in Loop: Header=BB12_787 Depth=4
	s_and_not1_saveexec_b32 s15, s15
; %bb.801:                              ;   in Loop: Header=BB12_787 Depth=4
	v_and_b32_e32 v12, 0xffff, v8
	v_or_b32_e32 v22, 0x10000, v8
	s_delay_alu instid0(VALU_DEP_2) | instskip(NEXT) | instid1(VALU_DEP_2)
	v_cmp_eq_u32_e32 vcc_lo, 0, v12
	v_cndmask_b32_e32 v12, v22, v8, vcc_lo
; %bb.802:                              ;   in Loop: Header=BB12_787 Depth=4
	s_or_b32 exec_lo, exec_lo, s15
	v_and_b32_e32 v23, 0xffff0000, v13
	v_and_b32_e32 v22, 0xffff0000, v9
	s_mov_b32 s15, exec_lo
                                        ; implicit-def: $vgpr13
	s_delay_alu instid0(VALU_DEP_2) | instskip(NEXT) | instid1(VALU_DEP_1)
	v_mov_b32_e32 v8, v23
	v_pk_mul_f32 v[8:9], v[8:9], v[22:23]
	s_delay_alu instid0(VALU_DEP_1) | instskip(NEXT) | instid1(VALU_DEP_1)
	v_and_b32_e32 v9, 0x7f800000, v8
	v_cmpx_ne_u32_e32 0x7f800000, v9
	s_xor_b32 s15, exec_lo, s15
; %bb.803:                              ;   in Loop: Header=BB12_787 Depth=4
	v_bfe_u32 v9, v8, 16, 1
	s_delay_alu instid0(VALU_DEP_1)
	v_add3_u32 v13, v8, v9, 0x7fff
                                        ; implicit-def: $vgpr8_vgpr9
; %bb.804:                              ;   in Loop: Header=BB12_787 Depth=4
	s_and_not1_saveexec_b32 s15, s15
; %bb.805:                              ;   in Loop: Header=BB12_787 Depth=4
	v_and_b32_e32 v9, 0xffff, v8
	v_or_b32_e32 v13, 0x10000, v8
	s_delay_alu instid0(VALU_DEP_2) | instskip(NEXT) | instid1(VALU_DEP_2)
	v_cmp_eq_u32_e32 vcc_lo, 0, v9
	v_cndmask_b32_e32 v13, v13, v8, vcc_lo
; %bb.806:                              ;   in Loop: Header=BB12_787 Depth=4
	s_or_b32 exec_lo, exec_lo, s15
	v_lshlrev_b32_e32 v8, 16, v10
	v_lshlrev_b32_e32 v9, 16, v14
	s_mov_b32 s15, exec_lo
                                        ; implicit-def: $vgpr22
	s_delay_alu instid0(VALU_DEP_1) | instskip(NEXT) | instid1(VALU_DEP_1)
	v_mul_f32_e32 v8, v9, v8
	v_and_b32_e32 v9, 0x7f800000, v8
	s_delay_alu instid0(VALU_DEP_1)
	v_cmpx_ne_u32_e32 0x7f800000, v9
	s_xor_b32 s15, exec_lo, s15
; %bb.807:                              ;   in Loop: Header=BB12_787 Depth=4
	v_bfe_u32 v9, v8, 16, 1
	s_delay_alu instid0(VALU_DEP_1)
	v_add3_u32 v22, v8, v9, 0x7fff
                                        ; implicit-def: $vgpr8
; %bb.808:                              ;   in Loop: Header=BB12_787 Depth=4
	s_and_not1_saveexec_b32 s15, s15
; %bb.809:                              ;   in Loop: Header=BB12_787 Depth=4
	v_and_b32_e32 v9, 0xffff, v8
	v_or_b32_e32 v22, 0x10000, v8
	s_delay_alu instid0(VALU_DEP_2) | instskip(NEXT) | instid1(VALU_DEP_2)
	v_cmp_eq_u32_e32 vcc_lo, 0, v9
	v_cndmask_b32_e32 v22, v22, v8, vcc_lo
; %bb.810:                              ;   in Loop: Header=BB12_787 Depth=4
	s_or_b32 exec_lo, exec_lo, s15
	v_and_b32_e32 v9, 0xffff0000, v14
	v_and_b32_e32 v8, 0xffff0000, v10
	s_mov_b32 s15, exec_lo
	s_delay_alu instid0(VALU_DEP_2) | instskip(NEXT) | instid1(VALU_DEP_1)
	v_mov_b32_e32 v10, v9
	v_pk_mul_f32 v[8:9], v[10:11], v[8:9]
                                        ; implicit-def: $vgpr10
	s_delay_alu instid0(VALU_DEP_1) | instskip(NEXT) | instid1(VALU_DEP_1)
	v_and_b32_e32 v9, 0x7f800000, v8
	v_cmpx_ne_u32_e32 0x7f800000, v9
	s_xor_b32 s15, exec_lo, s15
; %bb.811:                              ;   in Loop: Header=BB12_787 Depth=4
	v_bfe_u32 v9, v8, 16, 1
	s_delay_alu instid0(VALU_DEP_1)
	v_add3_u32 v10, v8, v9, 0x7fff
                                        ; implicit-def: $vgpr8_vgpr9
; %bb.812:                              ;   in Loop: Header=BB12_787 Depth=4
	s_and_not1_saveexec_b32 s15, s15
; %bb.813:                              ;   in Loop: Header=BB12_787 Depth=4
	v_and_b32_e32 v9, 0xffff, v8
	v_or_b32_e32 v10, 0x10000, v8
	s_delay_alu instid0(VALU_DEP_2) | instskip(NEXT) | instid1(VALU_DEP_2)
	v_cmp_eq_u32_e32 vcc_lo, 0, v9
	v_cndmask_b32_e32 v10, v10, v8, vcc_lo
; %bb.814:                              ;   in Loop: Header=BB12_787 Depth=4
	s_or_b32 exec_lo, exec_lo, s15
	v_lshlrev_b32_e32 v8, 16, v11
	v_lshlrev_b32_e32 v9, 16, v15
	s_mov_b32 s15, exec_lo
                                        ; implicit-def: $vgpr14
	s_delay_alu instid0(VALU_DEP_1) | instskip(NEXT) | instid1(VALU_DEP_1)
	v_mul_f32_e32 v8, v9, v8
	v_and_b32_e32 v9, 0x7f800000, v8
	s_delay_alu instid0(VALU_DEP_1)
	v_cmpx_ne_u32_e32 0x7f800000, v9
	s_xor_b32 s15, exec_lo, s15
; %bb.815:                              ;   in Loop: Header=BB12_787 Depth=4
	v_bfe_u32 v9, v8, 16, 1
	s_delay_alu instid0(VALU_DEP_1)
	v_add3_u32 v14, v8, v9, 0x7fff
                                        ; implicit-def: $vgpr8
; %bb.816:                              ;   in Loop: Header=BB12_787 Depth=4
	s_and_not1_saveexec_b32 s15, s15
; %bb.817:                              ;   in Loop: Header=BB12_787 Depth=4
	v_and_b32_e32 v9, 0xffff, v8
	v_or_b32_e32 v14, 0x10000, v8
	s_delay_alu instid0(VALU_DEP_2) | instskip(NEXT) | instid1(VALU_DEP_2)
	v_cmp_eq_u32_e32 vcc_lo, 0, v9
	v_cndmask_b32_e32 v14, v14, v8, vcc_lo
; %bb.818:                              ;   in Loop: Header=BB12_787 Depth=4
	s_or_b32 exec_lo, exec_lo, s15
	v_and_b32_e32 v9, 0xffff0000, v15
	v_and_b32_e32 v8, 0xffff0000, v11
	s_mov_b32 s15, exec_lo
                                        ; implicit-def: $vgpr11
	s_delay_alu instid0(VALU_DEP_2) | instskip(NEXT) | instid1(VALU_DEP_1)
	v_mov_b32_e32 v32, v9
	v_pk_mul_f32 v[8:9], v[32:33], v[8:9]
	s_delay_alu instid0(VALU_DEP_1) | instskip(NEXT) | instid1(VALU_DEP_1)
	v_and_b32_e32 v9, 0x7f800000, v8
	v_cmpx_ne_u32_e32 0x7f800000, v9
	s_xor_b32 s15, exec_lo, s15
; %bb.819:                              ;   in Loop: Header=BB12_787 Depth=4
	v_bfe_u32 v9, v8, 16, 1
	s_delay_alu instid0(VALU_DEP_1)
	v_add3_u32 v11, v8, v9, 0x7fff
                                        ; implicit-def: $vgpr8_vgpr9
; %bb.820:                              ;   in Loop: Header=BB12_787 Depth=4
	s_and_not1_saveexec_b32 s15, s15
; %bb.821:                              ;   in Loop: Header=BB12_787 Depth=4
	v_and_b32_e32 v9, 0xffff, v8
	v_or_b32_e32 v11, 0x10000, v8
	s_delay_alu instid0(VALU_DEP_2) | instskip(NEXT) | instid1(VALU_DEP_2)
	v_cmp_eq_u32_e32 vcc_lo, 0, v9
	v_cndmask_b32_e32 v11, v11, v8, vcc_lo
; %bb.822:                              ;   in Loop: Header=BB12_787 Depth=4
	s_or_b32 exec_lo, exec_lo, s15
	v_dual_lshrrev_b32 v8, 16, v12 :: v_dual_lshrrev_b32 v6, 16, v6
	v_lshrrev_b32_e32 v12, 16, v22
	v_lshrrev_b32_e32 v14, 16, v14
	s_delay_alu instid0(VALU_DEP_3) | instskip(NEXT) | instid1(VALU_DEP_4)
	v_and_or_b32 v9, 0xffff0000, v13, v8
	v_and_or_b32 v8, 0xffff0000, v7, v6
	v_add_nc_u64_e32 v[6:7], 0x200, v[90:91]
	v_and_or_b32 v10, 0xffff0000, v10, v12
	v_and_or_b32 v11, 0xffff0000, v11, v14
	global_store_b128 v[16:17], v[8:11], off th:TH_STORE_NT
	s_wait_xcnt 0x0
	v_add_nc_u64_e32 v[16:17], v[6:7], v[16:17]
	scratch_store_b128 off, v[8:11], s33 offset:224
.LBB12_823:                             ;   in Loop: Header=BB12_787 Depth=4
	s_wait_xcnt 0x0
	s_or_b32 exec_lo, exec_lo, s14
	v_sub_nc_u32_e32 v31, v31, v121
	v_add_nc_u64_e32 v[18:19], v[18:19], v[90:91]
	v_add_nc_u64_e32 v[20:21], v[20:21], v[90:91]
	s_delay_alu instid0(VALU_DEP_3)
	v_cmp_lt_i32_e64 s90, 15, v31
	s_and_saveexec_b32 s91, s90
	s_cbranch_execz .LBB12_826
; %bb.824:                              ;   in Loop: Header=BB12_787 Depth=4
	s_add_co_i32 s14, s33, 0xe0
	s_mov_b64 s[40:41], 0
	s_mov_b32 s92, s14
	s_mov_b32 s93, -1
.LBB12_825:                             ;   Parent Loop BB12_47 Depth=1
                                        ;     Parent Loop BB12_304 Depth=2
                                        ;       Parent Loop BB12_307 Depth=3
                                        ;         Parent Loop BB12_787 Depth=4
                                        ; =>        This Inner Loop Header: Depth=5
	s_cmp_eq_u32 s40, 1
	s_cselect_b32 vcc_lo, -1, 0
	s_cmp_eq_u32 s40, 0
	v_dual_cndmask_b32 v11, v19, v21 :: v_dual_cndmask_b32 v10, v18, v20
	s_cselect_b32 s14, -1, 0
	s_and_b32 s15, exec_lo, s93
	s_mov_b64 s[40:41], 1
	s_mov_b32 s93, 0
	global_load_b128 v[6:9], v[10:11], off th:TH_LOAD_NT
	s_wait_xcnt 0x0
	v_add_nc_u64_e32 v[10:11], 0x200, v[10:11]
	s_delay_alu instid0(VALU_DEP_1)
	v_dual_cndmask_b32 v19, v19, v11, s14 :: v_dual_cndmask_b32 v18, v18, v10, s14
	v_dual_cndmask_b32 v21, v21, v11 :: v_dual_cndmask_b32 v20, v20, v10
	s_mov_b32 vcc_lo, s15
	s_wait_loadcnt 0x0
	scratch_store_b128 off, v[6:9], s92
	s_wait_xcnt 0x0
	s_mov_b32 s92, s47
	s_cbranch_vccnz .LBB12_825
.LBB12_826:                             ;   in Loop: Header=BB12_787 Depth=4
	s_or_b32 exec_lo, exec_lo, s91
	s_clause 0x1
	scratch_load_b128 v[8:11], off, s33 offset:192
	scratch_load_b128 v[12:15], off, s33 offset:208
	s_wait_loadcnt 0x1
	v_lshlrev_b32_e32 v6, 16, v8
	s_wait_loadcnt 0x0
	v_lshlrev_b32_e32 v7, 16, v12
	s_delay_alu instid0(VALU_DEP_1) | instskip(NEXT) | instid1(VALU_DEP_1)
	v_mul_f32_e32 v7, v6, v7
	v_and_b32_e32 v6, 0x7f800000, v7
	s_delay_alu instid0(VALU_DEP_1) | instskip(SKIP_2) | instid1(SALU_CYCLE_1)
	v_cmp_ne_u32_e32 vcc_lo, 0x7f800000, v6
                                        ; implicit-def: $vgpr6
	s_wait_xcnt 0x0
	s_and_saveexec_b32 s14, vcc_lo
	s_xor_b32 s14, exec_lo, s14
; %bb.827:                              ;   in Loop: Header=BB12_787 Depth=4
	v_bfe_u32 v6, v7, 16, 1
	s_delay_alu instid0(VALU_DEP_1)
	v_add3_u32 v6, v7, v6, 0x7fff
                                        ; implicit-def: $vgpr7
; %bb.828:                              ;   in Loop: Header=BB12_787 Depth=4
	s_and_not1_saveexec_b32 s14, s14
; %bb.829:                              ;   in Loop: Header=BB12_787 Depth=4
	v_and_b32_e32 v6, 0xffff, v7
	v_or_b32_e32 v22, 0x10000, v7
	s_delay_alu instid0(VALU_DEP_2) | instskip(NEXT) | instid1(VALU_DEP_2)
	v_cmp_eq_u32_e32 vcc_lo, 0, v6
	v_cndmask_b32_e32 v6, v22, v7, vcc_lo
; %bb.830:                              ;   in Loop: Header=BB12_787 Depth=4
	s_or_b32 exec_lo, exec_lo, s14
	v_and_b32_e32 v23, 0xffff0000, v12
	v_and_b32_e32 v22, 0xffff0000, v8
	s_delay_alu instid0(VALU_DEP_2) | instskip(NEXT) | instid1(VALU_DEP_1)
	v_mov_b32_e32 v8, v23
	v_pk_mul_f32 v[22:23], v[8:9], v[22:23]
	s_delay_alu instid0(VALU_DEP_1) | instskip(NEXT) | instid1(VALU_DEP_1)
	v_and_b32_e32 v7, 0x7f800000, v22
	v_cmp_ne_u32_e32 vcc_lo, 0x7f800000, v7
                                        ; implicit-def: $vgpr7
	s_and_saveexec_b32 s14, vcc_lo
	s_delay_alu instid0(SALU_CYCLE_1)
	s_xor_b32 s14, exec_lo, s14
; %bb.831:                              ;   in Loop: Header=BB12_787 Depth=4
	v_bfe_u32 v7, v22, 16, 1
	s_delay_alu instid0(VALU_DEP_1)
	v_add3_u32 v7, v22, v7, 0x7fff
                                        ; implicit-def: $vgpr22_vgpr23
; %bb.832:                              ;   in Loop: Header=BB12_787 Depth=4
	s_and_not1_saveexec_b32 s14, s14
; %bb.833:                              ;   in Loop: Header=BB12_787 Depth=4
	v_and_b32_e32 v7, 0xffff, v22
	v_or_b32_e32 v8, 0x10000, v22
	s_delay_alu instid0(VALU_DEP_2) | instskip(NEXT) | instid1(VALU_DEP_2)
	v_cmp_eq_u32_e32 vcc_lo, 0, v7
	v_cndmask_b32_e32 v7, v8, v22, vcc_lo
; %bb.834:                              ;   in Loop: Header=BB12_787 Depth=4
	s_or_b32 exec_lo, exec_lo, s14
	v_lshlrev_b32_e32 v8, 16, v9
	v_lshlrev_b32_e32 v12, 16, v13
	s_delay_alu instid0(VALU_DEP_1) | instskip(NEXT) | instid1(VALU_DEP_1)
	v_mul_f32_e32 v8, v12, v8
	v_and_b32_e32 v12, 0x7f800000, v8
	s_delay_alu instid0(VALU_DEP_1) | instskip(SKIP_1) | instid1(SALU_CYCLE_1)
	v_cmp_ne_u32_e32 vcc_lo, 0x7f800000, v12
                                        ; implicit-def: $vgpr12
	s_and_saveexec_b32 s14, vcc_lo
	s_xor_b32 s14, exec_lo, s14
; %bb.835:                              ;   in Loop: Header=BB12_787 Depth=4
	v_bfe_u32 v12, v8, 16, 1
	s_delay_alu instid0(VALU_DEP_1)
	v_add3_u32 v12, v8, v12, 0x7fff
                                        ; implicit-def: $vgpr8
; %bb.836:                              ;   in Loop: Header=BB12_787 Depth=4
	s_and_not1_saveexec_b32 s14, s14
; %bb.837:                              ;   in Loop: Header=BB12_787 Depth=4
	v_and_b32_e32 v12, 0xffff, v8
	v_or_b32_e32 v22, 0x10000, v8
	s_delay_alu instid0(VALU_DEP_2) | instskip(NEXT) | instid1(VALU_DEP_2)
	v_cmp_eq_u32_e32 vcc_lo, 0, v12
	v_cndmask_b32_e32 v12, v22, v8, vcc_lo
; %bb.838:                              ;   in Loop: Header=BB12_787 Depth=4
	s_or_b32 exec_lo, exec_lo, s14
	v_and_b32_e32 v23, 0xffff0000, v13
	v_and_b32_e32 v22, 0xffff0000, v9
	s_mov_b32 s14, exec_lo
                                        ; implicit-def: $vgpr13
	s_delay_alu instid0(VALU_DEP_2) | instskip(NEXT) | instid1(VALU_DEP_1)
	v_mov_b32_e32 v8, v23
	v_pk_mul_f32 v[8:9], v[8:9], v[22:23]
	s_delay_alu instid0(VALU_DEP_1) | instskip(NEXT) | instid1(VALU_DEP_1)
	v_and_b32_e32 v9, 0x7f800000, v8
	v_cmpx_ne_u32_e32 0x7f800000, v9
	s_xor_b32 s14, exec_lo, s14
; %bb.839:                              ;   in Loop: Header=BB12_787 Depth=4
	v_bfe_u32 v9, v8, 16, 1
	s_delay_alu instid0(VALU_DEP_1)
	v_add3_u32 v13, v8, v9, 0x7fff
                                        ; implicit-def: $vgpr8_vgpr9
; %bb.840:                              ;   in Loop: Header=BB12_787 Depth=4
	s_and_not1_saveexec_b32 s14, s14
; %bb.841:                              ;   in Loop: Header=BB12_787 Depth=4
	v_and_b32_e32 v9, 0xffff, v8
	v_or_b32_e32 v13, 0x10000, v8
	s_delay_alu instid0(VALU_DEP_2) | instskip(NEXT) | instid1(VALU_DEP_2)
	v_cmp_eq_u32_e32 vcc_lo, 0, v9
	v_cndmask_b32_e32 v13, v13, v8, vcc_lo
; %bb.842:                              ;   in Loop: Header=BB12_787 Depth=4
	s_or_b32 exec_lo, exec_lo, s14
	v_lshlrev_b32_e32 v8, 16, v10
	v_lshlrev_b32_e32 v9, 16, v14
	s_mov_b32 s14, exec_lo
                                        ; implicit-def: $vgpr22
	s_delay_alu instid0(VALU_DEP_1) | instskip(NEXT) | instid1(VALU_DEP_1)
	v_mul_f32_e32 v8, v9, v8
	v_and_b32_e32 v9, 0x7f800000, v8
	s_delay_alu instid0(VALU_DEP_1)
	v_cmpx_ne_u32_e32 0x7f800000, v9
	s_xor_b32 s14, exec_lo, s14
; %bb.843:                              ;   in Loop: Header=BB12_787 Depth=4
	v_bfe_u32 v9, v8, 16, 1
	s_delay_alu instid0(VALU_DEP_1)
	v_add3_u32 v22, v8, v9, 0x7fff
                                        ; implicit-def: $vgpr8
; %bb.844:                              ;   in Loop: Header=BB12_787 Depth=4
	s_and_not1_saveexec_b32 s14, s14
; %bb.845:                              ;   in Loop: Header=BB12_787 Depth=4
	v_and_b32_e32 v9, 0xffff, v8
	v_or_b32_e32 v22, 0x10000, v8
	s_delay_alu instid0(VALU_DEP_2) | instskip(NEXT) | instid1(VALU_DEP_2)
	v_cmp_eq_u32_e32 vcc_lo, 0, v9
	v_cndmask_b32_e32 v22, v22, v8, vcc_lo
; %bb.846:                              ;   in Loop: Header=BB12_787 Depth=4
	s_or_b32 exec_lo, exec_lo, s14
	v_and_b32_e32 v9, 0xffff0000, v14
	v_and_b32_e32 v8, 0xffff0000, v10
	s_mov_b32 s14, exec_lo
	s_delay_alu instid0(VALU_DEP_2) | instskip(NEXT) | instid1(VALU_DEP_1)
	v_mov_b32_e32 v10, v9
	v_pk_mul_f32 v[8:9], v[10:11], v[8:9]
                                        ; implicit-def: $vgpr10
	s_delay_alu instid0(VALU_DEP_1) | instskip(NEXT) | instid1(VALU_DEP_1)
	v_and_b32_e32 v9, 0x7f800000, v8
	v_cmpx_ne_u32_e32 0x7f800000, v9
	s_xor_b32 s14, exec_lo, s14
; %bb.847:                              ;   in Loop: Header=BB12_787 Depth=4
	v_bfe_u32 v9, v8, 16, 1
	s_delay_alu instid0(VALU_DEP_1)
	v_add3_u32 v10, v8, v9, 0x7fff
                                        ; implicit-def: $vgpr8_vgpr9
; %bb.848:                              ;   in Loop: Header=BB12_787 Depth=4
	s_and_not1_saveexec_b32 s14, s14
; %bb.849:                              ;   in Loop: Header=BB12_787 Depth=4
	v_and_b32_e32 v9, 0xffff, v8
	v_or_b32_e32 v10, 0x10000, v8
	s_delay_alu instid0(VALU_DEP_2) | instskip(NEXT) | instid1(VALU_DEP_2)
	v_cmp_eq_u32_e32 vcc_lo, 0, v9
	v_cndmask_b32_e32 v10, v10, v8, vcc_lo
; %bb.850:                              ;   in Loop: Header=BB12_787 Depth=4
	s_or_b32 exec_lo, exec_lo, s14
	v_lshlrev_b32_e32 v8, 16, v11
	v_lshlrev_b32_e32 v9, 16, v15
	s_mov_b32 s14, exec_lo
                                        ; implicit-def: $vgpr14
	s_delay_alu instid0(VALU_DEP_1) | instskip(NEXT) | instid1(VALU_DEP_1)
	v_mul_f32_e32 v8, v9, v8
	v_and_b32_e32 v9, 0x7f800000, v8
	s_delay_alu instid0(VALU_DEP_1)
	v_cmpx_ne_u32_e32 0x7f800000, v9
	s_xor_b32 s14, exec_lo, s14
; %bb.851:                              ;   in Loop: Header=BB12_787 Depth=4
	v_bfe_u32 v9, v8, 16, 1
	s_delay_alu instid0(VALU_DEP_1)
	v_add3_u32 v14, v8, v9, 0x7fff
                                        ; implicit-def: $vgpr8
; %bb.852:                              ;   in Loop: Header=BB12_787 Depth=4
	s_and_not1_saveexec_b32 s14, s14
; %bb.853:                              ;   in Loop: Header=BB12_787 Depth=4
	v_and_b32_e32 v9, 0xffff, v8
	v_or_b32_e32 v14, 0x10000, v8
	s_delay_alu instid0(VALU_DEP_2) | instskip(NEXT) | instid1(VALU_DEP_2)
	v_cmp_eq_u32_e32 vcc_lo, 0, v9
	v_cndmask_b32_e32 v14, v14, v8, vcc_lo
; %bb.854:                              ;   in Loop: Header=BB12_787 Depth=4
	s_or_b32 exec_lo, exec_lo, s14
	v_and_b32_e32 v9, 0xffff0000, v15
	v_and_b32_e32 v8, 0xffff0000, v11
	s_mov_b32 s14, exec_lo
                                        ; implicit-def: $vgpr11
	s_delay_alu instid0(VALU_DEP_2) | instskip(NEXT) | instid1(VALU_DEP_1)
	v_mov_b32_e32 v32, v9
	v_pk_mul_f32 v[8:9], v[32:33], v[8:9]
	s_delay_alu instid0(VALU_DEP_1) | instskip(NEXT) | instid1(VALU_DEP_1)
	v_and_b32_e32 v9, 0x7f800000, v8
	v_cmpx_ne_u32_e32 0x7f800000, v9
	s_xor_b32 s14, exec_lo, s14
; %bb.855:                              ;   in Loop: Header=BB12_787 Depth=4
	v_bfe_u32 v9, v8, 16, 1
	s_delay_alu instid0(VALU_DEP_1)
	v_add3_u32 v11, v8, v9, 0x7fff
                                        ; implicit-def: $vgpr8_vgpr9
; %bb.856:                              ;   in Loop: Header=BB12_787 Depth=4
	s_and_not1_saveexec_b32 s14, s14
; %bb.857:                              ;   in Loop: Header=BB12_787 Depth=4
	v_and_b32_e32 v9, 0xffff, v8
	v_or_b32_e32 v11, 0x10000, v8
	s_delay_alu instid0(VALU_DEP_2) | instskip(NEXT) | instid1(VALU_DEP_2)
	v_cmp_eq_u32_e32 vcc_lo, 0, v9
	v_cndmask_b32_e32 v11, v11, v8, vcc_lo
; %bb.858:                              ;   in Loop: Header=BB12_787 Depth=4
	s_or_b32 exec_lo, exec_lo, s14
	v_dual_lshrrev_b32 v8, 16, v12 :: v_dual_lshrrev_b32 v6, 16, v6
	v_dual_lshrrev_b32 v12, 16, v22 :: v_dual_sub_nc_u32 v29, v29, v60
	v_lshrrev_b32_e32 v14, 16, v14
	s_delay_alu instid0(VALU_DEP_3) | instskip(NEXT) | instid1(VALU_DEP_4)
	v_and_or_b32 v9, 0xffff0000, v13, v8
	v_and_or_b32 v8, 0xffff0000, v7, v6
	s_delay_alu instid0(VALU_DEP_4) | instskip(NEXT) | instid1(VALU_DEP_4)
	v_and_or_b32 v10, 0xffff0000, v10, v12
	v_and_or_b32 v11, 0xffff0000, v11, v14
	global_store_b128 v[16:17], v[8:11], off th:TH_STORE_NT
	s_wait_xcnt 0x0
	v_add_nc_u64_e32 v[16:17], 0x200, v[16:17]
	scratch_store_b128 off, v[8:11], s33 offset:192
	s_wait_xcnt 0x0
	s_and_saveexec_b32 s14, s90
	s_cbranch_execz .LBB12_786
; %bb.859:                              ;   in Loop: Header=BB12_787 Depth=4
	v_add_nc_u64_e32 v[18:19], v[18:19], v[90:91]
	v_add_nc_u64_e32 v[20:21], v[20:21], v[90:91]
	v_add_nc_u64_e32 v[16:17], v[16:17], v[90:91]
	v_dual_sub_nc_u32 v31, v31, v121 :: v_dual_sub_nc_u32 v29, v29, v60
	s_branch .LBB12_786
.LBB12_860:                             ;   in Loop: Header=BB12_307 Depth=3
	s_or_b32 exec_lo, exec_lo, s88
	s_delay_alu instid0(SALU_CYCLE_1)
	s_and_b32 s15, s89, exec_lo
.LBB12_861:                             ;   in Loop: Header=BB12_307 Depth=3
	s_or_b32 exec_lo, exec_lo, s79
	s_and_saveexec_b32 s14, s15
	s_cbranch_execz .LBB12_895
; %bb.862:                              ;   in Loop: Header=BB12_307 Depth=3
	s_clause 0x1
	scratch_load_b128 v[8:11], off, s33 offset:224
	scratch_load_b128 v[12:15], off, s33 offset:240
	s_wait_loadcnt 0x1
	v_lshlrev_b32_e32 v6, 16, v8
	s_wait_loadcnt 0x0
	v_lshlrev_b32_e32 v7, 16, v12
	s_delay_alu instid0(VALU_DEP_1) | instskip(NEXT) | instid1(VALU_DEP_1)
	v_mul_f32_e32 v7, v6, v7
	v_and_b32_e32 v6, 0x7f800000, v7
	s_delay_alu instid0(VALU_DEP_1) | instskip(SKIP_2) | instid1(SALU_CYCLE_1)
	v_cmp_ne_u32_e32 vcc_lo, 0x7f800000, v6
                                        ; implicit-def: $vgpr6
	s_wait_xcnt 0x0
	s_and_saveexec_b32 s15, vcc_lo
	s_xor_b32 s15, exec_lo, s15
; %bb.863:                              ;   in Loop: Header=BB12_307 Depth=3
	v_bfe_u32 v6, v7, 16, 1
	s_delay_alu instid0(VALU_DEP_1)
	v_add3_u32 v6, v7, v6, 0x7fff
                                        ; implicit-def: $vgpr7
; %bb.864:                              ;   in Loop: Header=BB12_307 Depth=3
	s_and_not1_saveexec_b32 s15, s15
; %bb.865:                              ;   in Loop: Header=BB12_307 Depth=3
	v_and_b32_e32 v6, 0xffff, v7
	v_or_b32_e32 v18, 0x10000, v7
	s_delay_alu instid0(VALU_DEP_2) | instskip(NEXT) | instid1(VALU_DEP_2)
	v_cmp_eq_u32_e32 vcc_lo, 0, v6
	v_cndmask_b32_e32 v6, v18, v7, vcc_lo
; %bb.866:                              ;   in Loop: Header=BB12_307 Depth=3
	s_or_b32 exec_lo, exec_lo, s15
	v_and_b32_e32 v19, 0xffff0000, v12
	v_and_b32_e32 v18, 0xffff0000, v8
	s_delay_alu instid0(VALU_DEP_2) | instskip(NEXT) | instid1(VALU_DEP_1)
	v_mov_b32_e32 v8, v19
	v_pk_mul_f32 v[18:19], v[8:9], v[18:19]
	s_delay_alu instid0(VALU_DEP_1) | instskip(NEXT) | instid1(VALU_DEP_1)
	v_and_b32_e32 v7, 0x7f800000, v18
	v_cmp_ne_u32_e32 vcc_lo, 0x7f800000, v7
                                        ; implicit-def: $vgpr7
	s_and_saveexec_b32 s15, vcc_lo
	s_delay_alu instid0(SALU_CYCLE_1)
	s_xor_b32 s15, exec_lo, s15
; %bb.867:                              ;   in Loop: Header=BB12_307 Depth=3
	v_bfe_u32 v7, v18, 16, 1
	s_delay_alu instid0(VALU_DEP_1)
	v_add3_u32 v7, v18, v7, 0x7fff
                                        ; implicit-def: $vgpr18_vgpr19
; %bb.868:                              ;   in Loop: Header=BB12_307 Depth=3
	s_and_not1_saveexec_b32 s15, s15
; %bb.869:                              ;   in Loop: Header=BB12_307 Depth=3
	v_and_b32_e32 v7, 0xffff, v18
	v_or_b32_e32 v8, 0x10000, v18
	s_delay_alu instid0(VALU_DEP_2) | instskip(NEXT) | instid1(VALU_DEP_2)
	v_cmp_eq_u32_e32 vcc_lo, 0, v7
	v_cndmask_b32_e32 v7, v8, v18, vcc_lo
; %bb.870:                              ;   in Loop: Header=BB12_307 Depth=3
	s_or_b32 exec_lo, exec_lo, s15
	v_lshlrev_b32_e32 v8, 16, v9
	v_lshlrev_b32_e32 v12, 16, v13
	s_delay_alu instid0(VALU_DEP_1) | instskip(NEXT) | instid1(VALU_DEP_1)
	v_mul_f32_e32 v8, v12, v8
	v_and_b32_e32 v12, 0x7f800000, v8
	s_delay_alu instid0(VALU_DEP_1) | instskip(SKIP_1) | instid1(SALU_CYCLE_1)
	v_cmp_ne_u32_e32 vcc_lo, 0x7f800000, v12
                                        ; implicit-def: $vgpr12
	s_and_saveexec_b32 s15, vcc_lo
	s_xor_b32 s15, exec_lo, s15
; %bb.871:                              ;   in Loop: Header=BB12_307 Depth=3
	v_bfe_u32 v12, v8, 16, 1
	s_delay_alu instid0(VALU_DEP_1)
	v_add3_u32 v12, v8, v12, 0x7fff
                                        ; implicit-def: $vgpr8
; %bb.872:                              ;   in Loop: Header=BB12_307 Depth=3
	s_and_not1_saveexec_b32 s15, s15
; %bb.873:                              ;   in Loop: Header=BB12_307 Depth=3
	v_and_b32_e32 v12, 0xffff, v8
	v_or_b32_e32 v18, 0x10000, v8
	s_delay_alu instid0(VALU_DEP_2) | instskip(NEXT) | instid1(VALU_DEP_2)
	v_cmp_eq_u32_e32 vcc_lo, 0, v12
	v_cndmask_b32_e32 v12, v18, v8, vcc_lo
; %bb.874:                              ;   in Loop: Header=BB12_307 Depth=3
	s_or_b32 exec_lo, exec_lo, s15
	v_and_b32_e32 v19, 0xffff0000, v13
	v_and_b32_e32 v18, 0xffff0000, v9
	s_mov_b32 s15, exec_lo
                                        ; implicit-def: $vgpr13
	s_delay_alu instid0(VALU_DEP_2) | instskip(NEXT) | instid1(VALU_DEP_1)
	v_mov_b32_e32 v8, v19
	v_pk_mul_f32 v[8:9], v[8:9], v[18:19]
	s_delay_alu instid0(VALU_DEP_1) | instskip(NEXT) | instid1(VALU_DEP_1)
	v_and_b32_e32 v9, 0x7f800000, v8
	v_cmpx_ne_u32_e32 0x7f800000, v9
	s_xor_b32 s15, exec_lo, s15
; %bb.875:                              ;   in Loop: Header=BB12_307 Depth=3
	v_bfe_u32 v9, v8, 16, 1
	s_delay_alu instid0(VALU_DEP_1)
	v_add3_u32 v13, v8, v9, 0x7fff
                                        ; implicit-def: $vgpr8_vgpr9
; %bb.876:                              ;   in Loop: Header=BB12_307 Depth=3
	s_and_not1_saveexec_b32 s15, s15
; %bb.877:                              ;   in Loop: Header=BB12_307 Depth=3
	v_and_b32_e32 v9, 0xffff, v8
	v_or_b32_e32 v13, 0x10000, v8
	s_delay_alu instid0(VALU_DEP_2) | instskip(NEXT) | instid1(VALU_DEP_2)
	v_cmp_eq_u32_e32 vcc_lo, 0, v9
	v_cndmask_b32_e32 v13, v13, v8, vcc_lo
; %bb.878:                              ;   in Loop: Header=BB12_307 Depth=3
	s_or_b32 exec_lo, exec_lo, s15
	v_lshlrev_b32_e32 v8, 16, v10
	v_lshlrev_b32_e32 v9, 16, v14
	s_mov_b32 s15, exec_lo
                                        ; implicit-def: $vgpr18
	s_delay_alu instid0(VALU_DEP_1) | instskip(NEXT) | instid1(VALU_DEP_1)
	v_mul_f32_e32 v8, v9, v8
	v_and_b32_e32 v9, 0x7f800000, v8
	s_delay_alu instid0(VALU_DEP_1)
	v_cmpx_ne_u32_e32 0x7f800000, v9
	s_xor_b32 s15, exec_lo, s15
; %bb.879:                              ;   in Loop: Header=BB12_307 Depth=3
	v_bfe_u32 v9, v8, 16, 1
	s_delay_alu instid0(VALU_DEP_1)
	v_add3_u32 v18, v8, v9, 0x7fff
                                        ; implicit-def: $vgpr8
; %bb.880:                              ;   in Loop: Header=BB12_307 Depth=3
	s_and_not1_saveexec_b32 s15, s15
; %bb.881:                              ;   in Loop: Header=BB12_307 Depth=3
	v_and_b32_e32 v9, 0xffff, v8
	v_or_b32_e32 v18, 0x10000, v8
	s_delay_alu instid0(VALU_DEP_2) | instskip(NEXT) | instid1(VALU_DEP_2)
	v_cmp_eq_u32_e32 vcc_lo, 0, v9
	v_cndmask_b32_e32 v18, v18, v8, vcc_lo
; %bb.882:                              ;   in Loop: Header=BB12_307 Depth=3
	s_or_b32 exec_lo, exec_lo, s15
	v_and_b32_e32 v9, 0xffff0000, v14
	v_and_b32_e32 v8, 0xffff0000, v10
	s_mov_b32 s15, exec_lo
	s_delay_alu instid0(VALU_DEP_2) | instskip(NEXT) | instid1(VALU_DEP_1)
	v_mov_b32_e32 v10, v9
	v_pk_mul_f32 v[8:9], v[10:11], v[8:9]
                                        ; implicit-def: $vgpr10
	s_delay_alu instid0(VALU_DEP_1) | instskip(NEXT) | instid1(VALU_DEP_1)
	v_and_b32_e32 v9, 0x7f800000, v8
	v_cmpx_ne_u32_e32 0x7f800000, v9
	s_xor_b32 s15, exec_lo, s15
; %bb.883:                              ;   in Loop: Header=BB12_307 Depth=3
	v_bfe_u32 v9, v8, 16, 1
	s_delay_alu instid0(VALU_DEP_1)
	v_add3_u32 v10, v8, v9, 0x7fff
                                        ; implicit-def: $vgpr8_vgpr9
; %bb.884:                              ;   in Loop: Header=BB12_307 Depth=3
	s_and_not1_saveexec_b32 s15, s15
; %bb.885:                              ;   in Loop: Header=BB12_307 Depth=3
	v_and_b32_e32 v9, 0xffff, v8
	v_or_b32_e32 v10, 0x10000, v8
	s_delay_alu instid0(VALU_DEP_2) | instskip(NEXT) | instid1(VALU_DEP_2)
	v_cmp_eq_u32_e32 vcc_lo, 0, v9
	v_cndmask_b32_e32 v10, v10, v8, vcc_lo
; %bb.886:                              ;   in Loop: Header=BB12_307 Depth=3
	s_or_b32 exec_lo, exec_lo, s15
	v_lshlrev_b32_e32 v8, 16, v11
	v_lshlrev_b32_e32 v9, 16, v15
	s_mov_b32 s15, exec_lo
                                        ; implicit-def: $vgpr14
	s_delay_alu instid0(VALU_DEP_1) | instskip(NEXT) | instid1(VALU_DEP_1)
	v_mul_f32_e32 v8, v9, v8
	v_and_b32_e32 v9, 0x7f800000, v8
	s_delay_alu instid0(VALU_DEP_1)
	v_cmpx_ne_u32_e32 0x7f800000, v9
	s_xor_b32 s15, exec_lo, s15
; %bb.887:                              ;   in Loop: Header=BB12_307 Depth=3
	v_bfe_u32 v9, v8, 16, 1
	s_delay_alu instid0(VALU_DEP_1)
	v_add3_u32 v14, v8, v9, 0x7fff
                                        ; implicit-def: $vgpr8
; %bb.888:                              ;   in Loop: Header=BB12_307 Depth=3
	s_and_not1_saveexec_b32 s15, s15
; %bb.889:                              ;   in Loop: Header=BB12_307 Depth=3
	v_and_b32_e32 v9, 0xffff, v8
	v_or_b32_e32 v14, 0x10000, v8
	s_delay_alu instid0(VALU_DEP_2) | instskip(NEXT) | instid1(VALU_DEP_2)
	v_cmp_eq_u32_e32 vcc_lo, 0, v9
	v_cndmask_b32_e32 v14, v14, v8, vcc_lo
; %bb.890:                              ;   in Loop: Header=BB12_307 Depth=3
	s_or_b32 exec_lo, exec_lo, s15
	v_and_b32_e32 v9, 0xffff0000, v15
	v_and_b32_e32 v8, 0xffff0000, v11
	s_mov_b32 s15, exec_lo
                                        ; implicit-def: $vgpr11
	s_delay_alu instid0(VALU_DEP_2) | instskip(NEXT) | instid1(VALU_DEP_1)
	v_mov_b32_e32 v20, v9
	v_pk_mul_f32 v[8:9], v[20:21], v[8:9]
	s_delay_alu instid0(VALU_DEP_1) | instskip(NEXT) | instid1(VALU_DEP_1)
	v_and_b32_e32 v9, 0x7f800000, v8
	v_cmpx_ne_u32_e32 0x7f800000, v9
	s_xor_b32 s15, exec_lo, s15
; %bb.891:                              ;   in Loop: Header=BB12_307 Depth=3
	v_bfe_u32 v9, v8, 16, 1
	s_delay_alu instid0(VALU_DEP_1)
	v_add3_u32 v11, v8, v9, 0x7fff
                                        ; implicit-def: $vgpr8_vgpr9
; %bb.892:                              ;   in Loop: Header=BB12_307 Depth=3
	s_and_not1_saveexec_b32 s15, s15
; %bb.893:                              ;   in Loop: Header=BB12_307 Depth=3
	v_and_b32_e32 v9, 0xffff, v8
	v_or_b32_e32 v11, 0x10000, v8
	s_delay_alu instid0(VALU_DEP_2) | instskip(NEXT) | instid1(VALU_DEP_2)
	v_cmp_eq_u32_e32 vcc_lo, 0, v9
	v_cndmask_b32_e32 v11, v11, v8, vcc_lo
; %bb.894:                              ;   in Loop: Header=BB12_307 Depth=3
	s_or_b32 exec_lo, exec_lo, s15
	v_dual_lshrrev_b32 v8, 16, v12 :: v_dual_lshrrev_b32 v6, 16, v6
	v_lshrrev_b32_e32 v12, 16, v18
	v_lshrrev_b32_e32 v14, 16, v14
	s_delay_alu instid0(VALU_DEP_3) | instskip(NEXT) | instid1(VALU_DEP_4)
	v_and_or_b32 v9, 0xffff0000, v13, v8
	v_and_or_b32 v8, 0xffff0000, v7, v6
	s_delay_alu instid0(VALU_DEP_4) | instskip(NEXT) | instid1(VALU_DEP_4)
	v_and_or_b32 v10, 0xffff0000, v10, v12
	v_and_or_b32 v11, 0xffff0000, v11, v14
	global_store_b128 v[16:17], v[8:11], off th:TH_STORE_NT
.LBB12_895:                             ;   in Loop: Header=BB12_307 Depth=3
	s_wait_xcnt 0x0
	s_or_b32 exec_lo, exec_lo, s14
	v_and_b32_e32 v6, 14, v5
	s_mov_b32 s15, s77
	s_mov_b32 s14, exec_lo
                                        ; implicit-def: $vgpr14
                                        ; implicit-def: $vgpr15
                                        ; implicit-def: $vgpr8
	s_delay_alu instid0(VALU_DEP_1) | instskip(NEXT) | instid1(VALU_DEP_1)
	v_cndmask_b32_e64 v5, v27, v6, s13
	v_cmpx_ne_u32_e32 0, v5
	s_cbranch_execz .LBB12_897
; %bb.896:                              ;   in Loop: Header=BB12_307 Depth=3
	v_cmp_lt_i32_e32 vcc_lo, 0, v29
	s_or_b32 s15, s77, exec_lo
	v_dual_cndmask_b32 v7, 0, v60 :: v_dual_sub_nc_u32 v6, v27, v6
	s_delay_alu instid0(VALU_DEP_1) | instskip(NEXT) | instid1(VALU_DEP_1)
	v_dual_cndmask_b32 v6, 0, v6, s13 :: v_dual_sub_nc_u32 v7, v7, v29
	v_add3_u32 v14, v25, v24, v6
	s_delay_alu instid0(VALU_DEP_2) | instskip(NEXT) | instid1(VALU_DEP_1)
	v_lshl_add_u32 v7, v7, 5, v26
	v_ashrrev_i32_e32 v8, 31, v7
	s_delay_alu instid0(VALU_DEP_1) | instskip(NEXT) | instid1(VALU_DEP_1)
	v_lshrrev_b32_e32 v8, 27, v8
	v_add_nc_u32_e32 v8, v7, v8
	s_delay_alu instid0(VALU_DEP_1) | instskip(NEXT) | instid1(VALU_DEP_1)
	v_and_b32_e32 v9, 0xffffffe0, v8
	v_dual_sub_nc_u32 v15, v7, v9 :: v_dual_ashrrev_i32 v8, 5, v8
.LBB12_897:                             ;   in Loop: Header=BB12_307 Depth=3
	s_or_b32 exec_lo, exec_lo, s14
	s_delay_alu instid0(SALU_CYCLE_1) | instskip(SKIP_1) | instid1(SALU_CYCLE_1)
	s_and_not1_b32 s13, s77, exec_lo
	s_and_b32 s14, s15, exec_lo
	s_or_b32 s77, s13, s14
.LBB12_898:                             ;   in Loop: Header=BB12_307 Depth=3
	s_or_b32 exec_lo, exec_lo, s78
	s_and_saveexec_b32 s15, s77
	s_cbranch_execz .LBB12_1126
.LBB12_899:                             ;   in Loop: Header=BB12_307 Depth=3
	s_wait_loadcnt 0x0
	v_dual_ashrrev_i32 v6, 31, v5 :: v_dual_lshlrev_b32 v7, 10, v8
	v_dual_lshlrev_b32 v9, 1, v15 :: v_dual_mov_b32 v97, 0
	s_delay_alu instid0(VALU_DEP_2) | instskip(SKIP_1) | instid1(VALU_DEP_3)
	v_dual_mov_b32 v86, 0 :: v_dual_lshrrev_b32 v10, 22, v6
	v_dual_mov_b32 v83, 0 :: v_dual_mov_b32 v6, 0
	v_add3_u32 v12, v14, v9, v7
	v_dual_mov_b32 v70, 0 :: v_dual_mov_b32 v68, 0
	s_delay_alu instid0(VALU_DEP_4) | instskip(NEXT) | instid1(VALU_DEP_3)
	v_dual_mov_b32 v65, 0 :: v_dual_add_nc_u32 v10, v5, v10
	v_dual_ashrrev_i32 v13, 31, v12 :: v_dual_mov_b32 v21, 0
	s_delay_alu instid0(VALU_DEP_2) | instskip(SKIP_2) | instid1(VALU_DEP_3)
	v_dual_mov_b32 v7, 0 :: v_dual_ashrrev_i32 v16, 10, v10
	v_dual_mov_b32 v54, 0 :: v_dual_mov_b32 v51, 0
	v_dual_mov_b32 v26, 0 :: v_dual_mov_b32 v23, 0
	v_dual_sub_nc_u32 v35, v16, v8 :: v_dual_mov_b32 v19, 0
	v_add_nc_u64_e32 v[8:9], v[72:73], v[12:13]
	v_dual_mov_b32 v17, 0 :: v_dual_mov_b32 v10, 0
	v_dual_mov_b32 v98, 0 :: v_dual_mov_b32 v87, 0
	;; [unrolled: 1-line block ×9, first 2 shown]
	s_mov_b32 s14, 0
	s_mov_b32 s13, exec_lo
	v_cmpx_lt_i32_e32 0, v35
	s_cbranch_execz .LBB12_1035
; %bb.900:                              ;   in Loop: Header=BB12_307 Depth=3
	s_trap 2
	ds_load_b64 v[6:7], v0
	v_add_nc_u64_e32 v[10:11], v[12:13], v[0:1]
	s_mov_b32 s41, 0
	s_mov_b32 s40, 0
                                        ; implicit-def: $sgpr14
                                        ; implicit-def: $vgpr114
                                        ; implicit-def: $vgpr102
                                        ; implicit-def: $vgpr99
                                        ; implicit-def: $vgpr96
                                        ; implicit-def: $vgpr85
                                        ; implicit-def: $vgpr82
                                        ; implicit-def: $vgpr71
                                        ; implicit-def: $vgpr67
                                        ; implicit-def: $vgpr64
                                        ; implicit-def: $vgpr53
                                        ; implicit-def: $vgpr50
                                        ; implicit-def: $vgpr48
                                        ; implicit-def: $vgpr39
                                        ; implicit-def: $vgpr38
                                        ; implicit-def: $vgpr37
                                        ; implicit-def: $vgpr36
                                        ; implicit-def: $vgpr17
                                        ; implicit-def: $vgpr18
                                        ; implicit-def: $vgpr19
                                        ; implicit-def: $vgpr20
                                        ; implicit-def: $vgpr21
                                        ; implicit-def: $vgpr22
                                        ; implicit-def: $vgpr23
                                        ; implicit-def: $vgpr24
                                        ; implicit-def: $vgpr25
                                        ; implicit-def: $vgpr26
                                        ; implicit-def: $vgpr27
                                        ; implicit-def: $vgpr29
                                        ; implicit-def: $vgpr31
                                        ; implicit-def: $vgpr32
                                        ; implicit-def: $vgpr33
                                        ; implicit-def: $vgpr34
	s_wait_dscnt 0x0
	v_add_nc_u64_e32 v[12:13], v[6:7], v[12:13]
	s_branch .LBB12_902
.LBB12_901:                             ;   in Loop: Header=BB12_902 Depth=4
	s_or_b32 exec_lo, exec_lo, s77
	v_dual_cndmask_b32 v51, 0, v60, s41 :: v_dual_cndmask_b32 v113, 0, v105, s41
	s_clause 0x7
	flat_store_d16_hi_b16 v[8:9], v46 th:TH_STORE_NT
	flat_store_d16_hi_b16 v[8:9], v47 offset:64 th:TH_STORE_NT
	flat_store_d16_hi_b16 v[8:9], v62 offset:128 th:TH_STORE_NT
	;; [unrolled: 1-line block ×7, first 2 shown]
	s_wait_xcnt 0x2
	v_add_nc_u64_e32 v[6:7], v[10:11], v[78:79]
	s_wait_xcnt 0x1
	v_add_nc_u64_e32 v[100:101], v[12:13], v[78:79]
	v_sub_nc_u32_e32 v35, v35, v51
	v_cndmask_b32_e64 v112, 0x400, v104, s41
	s_clause 0x7
	flat_store_d16_hi_b16 v[8:9], v86 offset:512 th:TH_STORE_NT
	flat_store_d16_hi_b16 v[8:9], v83 offset:576 th:TH_STORE_NT
	;; [unrolled: 1-line block ×8, first 2 shown]
	v_cndmask_b32_e64 v10, v10, v6, s41
	v_cmp_gt_i32_e32 vcc_lo, 1, v35
	s_wait_xcnt 0x0
	v_add_nc_u64_e32 v[8:9], v[8:9], v[112:113]
	v_dual_cndmask_b32 v11, v11, v7, s41 :: v_dual_cndmask_b32 v13, v13, v101, s41
	v_cndmask_b32_e64 v12, v12, v100, s41
	s_or_b32 s40, vcc_lo, s40
	s_and_not1_b32 s14, s14, exec_lo
	s_and_b32 s77, s41, exec_lo
	s_delay_alu instid0(SALU_CYCLE_1)
	s_or_b32 s14, s14, s77
	s_and_not1_b32 exec_lo, exec_lo, s40
	s_cbranch_execz .LBB12_1034
.LBB12_902:                             ;   Parent Loop BB12_47 Depth=1
                                        ;     Parent Loop BB12_304 Depth=2
                                        ;       Parent Loop BB12_307 Depth=3
                                        ; =>      This Inner Loop Header: Depth=4
	s_clause 0xf
	flat_load_u16 v77, v[10:11] th:TH_LOAD_NT
	flat_load_u16 v74, v[10:11] offset:64 th:TH_LOAD_NT
	flat_load_u16 v62, v[10:11] offset:128 th:TH_LOAD_NT
	;; [unrolled: 1-line block ×15, first 2 shown]
	s_clause 0xf
	flat_load_u16 v94, v[12:13] th:TH_LOAD_NT
	flat_load_u16 v75, v[12:13] offset:64 th:TH_LOAD_NT
	flat_load_u16 v63, v[12:13] offset:128 th:TH_LOAD_NT
	flat_load_u16 v43, v[12:13] offset:192 th:TH_LOAD_NT
	flat_load_u16 v115, v[12:13] offset:256 th:TH_LOAD_NT
	flat_load_u16 v112, v[12:13] offset:320 th:TH_LOAD_NT
	flat_load_u16 v101, v[12:13] offset:384 th:TH_LOAD_NT
	flat_load_u16 v98, v[12:13] offset:448 th:TH_LOAD_NT
	flat_load_u16 v87, v[12:13] offset:512 th:TH_LOAD_NT
	flat_load_u16 v84, v[12:13] offset:576 th:TH_LOAD_NT
	flat_load_u16 v81, v[12:13] offset:640 th:TH_LOAD_NT
	flat_load_u16 v70, v[12:13] offset:704 th:TH_LOAD_NT
	flat_load_u16 v68, v[12:13] offset:768 th:TH_LOAD_NT
	flat_load_u16 v65, v[12:13] offset:832 th:TH_LOAD_NT
	flat_load_u16 v54, v[12:13] offset:896 th:TH_LOAD_NT
	flat_load_u16 v51, v[12:13] offset:960 th:TH_LOAD_NT
	s_wait_xcnt 0x0
	s_and_saveexec_b32 s77, s41
	s_cbranch_execz .LBB12_968
; %bb.903:                              ;   in Loop: Header=BB12_902 Depth=4
	v_dual_lshlrev_b32 v6, 16, v114 :: v_dual_lshlrev_b32 v7, 16, v17
	s_mov_b32 s41, exec_lo
                                        ; implicit-def: $vgpr114
	s_delay_alu instid0(VALU_DEP_1) | instskip(NEXT) | instid1(VALU_DEP_1)
	v_mul_f32_e32 v6, v6, v7
	v_and_b32_e32 v7, 0x7f800000, v6
	s_delay_alu instid0(VALU_DEP_1)
	v_cmpx_ne_u32_e32 0x7f800000, v7
	s_xor_b32 s41, exec_lo, s41
; %bb.904:                              ;   in Loop: Header=BB12_902 Depth=4
	v_bfe_u32 v7, v6, 16, 1
	s_delay_alu instid0(VALU_DEP_1)
	v_add3_u32 v114, v6, v7, 0x7fff
                                        ; implicit-def: $vgpr6
; %bb.905:                              ;   in Loop: Header=BB12_902 Depth=4
	s_and_not1_saveexec_b32 s41, s41
; %bb.906:                              ;   in Loop: Header=BB12_902 Depth=4
	v_and_b32_e32 v7, 0xffff, v6
	v_or_b32_e32 v114, 0x10000, v6
	s_delay_alu instid0(VALU_DEP_2) | instskip(NEXT) | instid1(VALU_DEP_2)
	v_cmp_eq_u32_e32 vcc_lo, 0, v7
	v_cndmask_b32_e32 v114, v114, v6, vcc_lo
; %bb.907:                              ;   in Loop: Header=BB12_902 Depth=4
	s_or_b32 exec_lo, exec_lo, s41
	v_lshlrev_b32_e32 v6, 16, v102
	v_lshlrev_b32_e32 v7, 16, v18
	s_mov_b32 s41, exec_lo
                                        ; implicit-def: $vgpr102
	s_delay_alu instid0(VALU_DEP_1) | instskip(NEXT) | instid1(VALU_DEP_1)
	v_mul_f32_e32 v6, v6, v7
	v_and_b32_e32 v7, 0x7f800000, v6
	s_delay_alu instid0(VALU_DEP_1)
	v_cmpx_ne_u32_e32 0x7f800000, v7
	s_xor_b32 s41, exec_lo, s41
; %bb.908:                              ;   in Loop: Header=BB12_902 Depth=4
	v_bfe_u32 v7, v6, 16, 1
	s_delay_alu instid0(VALU_DEP_1)
	v_add3_u32 v102, v6, v7, 0x7fff
                                        ; implicit-def: $vgpr6
; %bb.909:                              ;   in Loop: Header=BB12_902 Depth=4
	s_and_not1_saveexec_b32 s41, s41
; %bb.910:                              ;   in Loop: Header=BB12_902 Depth=4
	v_and_b32_e32 v7, 0xffff, v6
	v_or_b32_e32 v102, 0x10000, v6
	s_delay_alu instid0(VALU_DEP_2) | instskip(NEXT) | instid1(VALU_DEP_2)
	v_cmp_eq_u32_e32 vcc_lo, 0, v7
	v_cndmask_b32_e32 v102, v102, v6, vcc_lo
; %bb.911:                              ;   in Loop: Header=BB12_902 Depth=4
	s_or_b32 exec_lo, exec_lo, s41
	v_lshlrev_b32_e32 v6, 16, v99
	v_lshlrev_b32_e32 v7, 16, v19
	s_mov_b32 s41, exec_lo
                                        ; implicit-def: $vgpr99
	s_delay_alu instid0(VALU_DEP_1) | instskip(NEXT) | instid1(VALU_DEP_1)
	v_mul_f32_e32 v6, v6, v7
	v_and_b32_e32 v7, 0x7f800000, v6
	s_delay_alu instid0(VALU_DEP_1)
	v_cmpx_ne_u32_e32 0x7f800000, v7
	s_xor_b32 s41, exec_lo, s41
; %bb.912:                              ;   in Loop: Header=BB12_902 Depth=4
	v_bfe_u32 v7, v6, 16, 1
	s_delay_alu instid0(VALU_DEP_1)
	v_add3_u32 v99, v6, v7, 0x7fff
                                        ; implicit-def: $vgpr6
; %bb.913:                              ;   in Loop: Header=BB12_902 Depth=4
	s_and_not1_saveexec_b32 s41, s41
; %bb.914:                              ;   in Loop: Header=BB12_902 Depth=4
	v_and_b32_e32 v7, 0xffff, v6
	v_or_b32_e32 v99, 0x10000, v6
	s_delay_alu instid0(VALU_DEP_2) | instskip(NEXT) | instid1(VALU_DEP_2)
	v_cmp_eq_u32_e32 vcc_lo, 0, v7
	v_cndmask_b32_e32 v99, v99, v6, vcc_lo
; %bb.915:                              ;   in Loop: Header=BB12_902 Depth=4
	s_or_b32 exec_lo, exec_lo, s41
	v_lshlrev_b32_e32 v6, 16, v96
	v_lshlrev_b32_e32 v7, 16, v20
	s_mov_b32 s41, exec_lo
                                        ; implicit-def: $vgpr96
	s_delay_alu instid0(VALU_DEP_1) | instskip(NEXT) | instid1(VALU_DEP_1)
	v_mul_f32_e32 v6, v6, v7
	v_and_b32_e32 v7, 0x7f800000, v6
	s_delay_alu instid0(VALU_DEP_1)
	v_cmpx_ne_u32_e32 0x7f800000, v7
	s_xor_b32 s41, exec_lo, s41
; %bb.916:                              ;   in Loop: Header=BB12_902 Depth=4
	v_bfe_u32 v7, v6, 16, 1
	s_delay_alu instid0(VALU_DEP_1)
	v_add3_u32 v96, v6, v7, 0x7fff
                                        ; implicit-def: $vgpr6
; %bb.917:                              ;   in Loop: Header=BB12_902 Depth=4
	s_and_not1_saveexec_b32 s41, s41
; %bb.918:                              ;   in Loop: Header=BB12_902 Depth=4
	v_and_b32_e32 v7, 0xffff, v6
	v_or_b32_e32 v96, 0x10000, v6
	s_delay_alu instid0(VALU_DEP_2) | instskip(NEXT) | instid1(VALU_DEP_2)
	v_cmp_eq_u32_e32 vcc_lo, 0, v7
	v_cndmask_b32_e32 v96, v96, v6, vcc_lo
; %bb.919:                              ;   in Loop: Header=BB12_902 Depth=4
	s_or_b32 exec_lo, exec_lo, s41
	v_lshlrev_b32_e32 v6, 16, v85
	v_lshlrev_b32_e32 v7, 16, v21
	s_delay_alu instid0(VALU_DEP_1) | instskip(NEXT) | instid1(VALU_DEP_1)
	v_mul_f32_e32 v7, v6, v7
	v_and_b32_e32 v6, 0x7f800000, v7
	s_delay_alu instid0(VALU_DEP_1) | instskip(SKIP_1) | instid1(SALU_CYCLE_1)
	v_cmp_ne_u32_e32 vcc_lo, 0x7f800000, v6
                                        ; implicit-def: $vgpr6
	s_and_saveexec_b32 s41, vcc_lo
	s_xor_b32 s41, exec_lo, s41
; %bb.920:                              ;   in Loop: Header=BB12_902 Depth=4
	v_bfe_u32 v6, v7, 16, 1
	s_delay_alu instid0(VALU_DEP_1)
	v_add3_u32 v6, v7, v6, 0x7fff
                                        ; implicit-def: $vgpr7
; %bb.921:                              ;   in Loop: Header=BB12_902 Depth=4
	s_and_not1_saveexec_b32 s41, s41
; %bb.922:                              ;   in Loop: Header=BB12_902 Depth=4
	v_and_b32_e32 v6, 0xffff, v7
	v_or_b32_e32 v85, 0x10000, v7
	s_delay_alu instid0(VALU_DEP_2) | instskip(NEXT) | instid1(VALU_DEP_2)
	v_cmp_eq_u32_e32 vcc_lo, 0, v6
	v_cndmask_b32_e32 v6, v85, v7, vcc_lo
; %bb.923:                              ;   in Loop: Header=BB12_902 Depth=4
	s_or_b32 exec_lo, exec_lo, s41
	v_lshlrev_b32_e32 v7, 16, v82
	v_lshlrev_b32_e32 v82, 16, v22
	s_delay_alu instid0(VALU_DEP_1) | instskip(NEXT) | instid1(VALU_DEP_1)
	v_mul_f32_e32 v82, v7, v82
	v_and_b32_e32 v7, 0x7f800000, v82
	s_delay_alu instid0(VALU_DEP_1) | instskip(SKIP_1) | instid1(SALU_CYCLE_1)
	v_cmp_ne_u32_e32 vcc_lo, 0x7f800000, v7
                                        ; implicit-def: $vgpr7
	s_and_saveexec_b32 s41, vcc_lo
	s_xor_b32 s41, exec_lo, s41
; %bb.924:                              ;   in Loop: Header=BB12_902 Depth=4
	v_bfe_u32 v7, v82, 16, 1
	s_delay_alu instid0(VALU_DEP_1)
	v_add3_u32 v7, v82, v7, 0x7fff
                                        ; implicit-def: $vgpr82
; %bb.925:                              ;   in Loop: Header=BB12_902 Depth=4
	s_and_not1_saveexec_b32 s41, s41
; %bb.926:                              ;   in Loop: Header=BB12_902 Depth=4
	v_and_b32_e32 v7, 0xffff, v82
	v_or_b32_e32 v85, 0x10000, v82
	s_delay_alu instid0(VALU_DEP_2) | instskip(NEXT) | instid1(VALU_DEP_2)
	v_cmp_eq_u32_e32 vcc_lo, 0, v7
	v_cndmask_b32_e32 v7, v85, v82, vcc_lo
; %bb.927:                              ;   in Loop: Header=BB12_902 Depth=4
	s_or_b32 exec_lo, exec_lo, s41
	v_lshlrev_b32_e32 v71, 16, v71
	v_lshlrev_b32_e32 v82, 16, v23
	s_delay_alu instid0(VALU_DEP_1) | instskip(NEXT) | instid1(VALU_DEP_1)
	v_mul_f32_e32 v82, v71, v82
	v_and_b32_e32 v71, 0x7f800000, v82
	s_delay_alu instid0(VALU_DEP_1) | instskip(SKIP_1) | instid1(SALU_CYCLE_1)
	v_cmp_ne_u32_e32 vcc_lo, 0x7f800000, v71
                                        ; implicit-def: $vgpr71
	s_and_saveexec_b32 s41, vcc_lo
	s_xor_b32 s41, exec_lo, s41
; %bb.928:                              ;   in Loop: Header=BB12_902 Depth=4
	v_bfe_u32 v71, v82, 16, 1
	s_delay_alu instid0(VALU_DEP_1)
	v_add3_u32 v71, v82, v71, 0x7fff
                                        ; implicit-def: $vgpr82
; %bb.929:                              ;   in Loop: Header=BB12_902 Depth=4
	s_and_not1_saveexec_b32 s41, s41
; %bb.930:                              ;   in Loop: Header=BB12_902 Depth=4
	v_and_b32_e32 v71, 0xffff, v82
	v_or_b32_e32 v85, 0x10000, v82
	s_delay_alu instid0(VALU_DEP_2) | instskip(NEXT) | instid1(VALU_DEP_2)
	v_cmp_eq_u32_e32 vcc_lo, 0, v71
	v_cndmask_b32_e32 v71, v85, v82, vcc_lo
; %bb.931:                              ;   in Loop: Header=BB12_902 Depth=4
	s_or_b32 exec_lo, exec_lo, s41
	v_dual_lshlrev_b32 v67, 16, v67 :: v_dual_lshlrev_b32 v82, 16, v24
	s_delay_alu instid0(VALU_DEP_1) | instskip(NEXT) | instid1(VALU_DEP_1)
	v_mul_f32_e32 v82, v67, v82
	v_and_b32_e32 v67, 0x7f800000, v82
	s_delay_alu instid0(VALU_DEP_1) | instskip(SKIP_1) | instid1(SALU_CYCLE_1)
	v_cmp_ne_u32_e32 vcc_lo, 0x7f800000, v67
                                        ; implicit-def: $vgpr67
	s_and_saveexec_b32 s41, vcc_lo
	s_xor_b32 s41, exec_lo, s41
; %bb.932:                              ;   in Loop: Header=BB12_902 Depth=4
	v_bfe_u32 v67, v82, 16, 1
	s_delay_alu instid0(VALU_DEP_1)
	v_add3_u32 v67, v82, v67, 0x7fff
                                        ; implicit-def: $vgpr82
; %bb.933:                              ;   in Loop: Header=BB12_902 Depth=4
	s_and_not1_saveexec_b32 s41, s41
; %bb.934:                              ;   in Loop: Header=BB12_902 Depth=4
	v_and_b32_e32 v67, 0xffff, v82
	v_or_b32_e32 v85, 0x10000, v82
	s_delay_alu instid0(VALU_DEP_2) | instskip(NEXT) | instid1(VALU_DEP_2)
	v_cmp_eq_u32_e32 vcc_lo, 0, v67
	v_cndmask_b32_e32 v67, v85, v82, vcc_lo
; %bb.935:                              ;   in Loop: Header=BB12_902 Depth=4
	s_or_b32 exec_lo, exec_lo, s41
	v_dual_lshlrev_b32 v64, 16, v64 :: v_dual_lshlrev_b32 v82, 16, v25
	s_delay_alu instid0(VALU_DEP_1) | instskip(NEXT) | instid1(VALU_DEP_1)
	v_mul_f32_e32 v82, v64, v82
	v_and_b32_e32 v64, 0x7f800000, v82
	s_delay_alu instid0(VALU_DEP_1) | instskip(SKIP_1) | instid1(SALU_CYCLE_1)
	v_cmp_ne_u32_e32 vcc_lo, 0x7f800000, v64
                                        ; implicit-def: $vgpr64
	s_and_saveexec_b32 s41, vcc_lo
	s_xor_b32 s41, exec_lo, s41
; %bb.936:                              ;   in Loop: Header=BB12_902 Depth=4
	v_bfe_u32 v64, v82, 16, 1
	s_delay_alu instid0(VALU_DEP_1)
	v_add3_u32 v64, v82, v64, 0x7fff
                                        ; implicit-def: $vgpr82
; %bb.937:                              ;   in Loop: Header=BB12_902 Depth=4
	s_and_not1_saveexec_b32 s41, s41
; %bb.938:                              ;   in Loop: Header=BB12_902 Depth=4
	v_and_b32_e32 v64, 0xffff, v82
	v_or_b32_e32 v85, 0x10000, v82
	s_delay_alu instid0(VALU_DEP_2) | instskip(NEXT) | instid1(VALU_DEP_2)
	v_cmp_eq_u32_e32 vcc_lo, 0, v64
	v_cndmask_b32_e32 v64, v85, v82, vcc_lo
; %bb.939:                              ;   in Loop: Header=BB12_902 Depth=4
	s_or_b32 exec_lo, exec_lo, s41
	v_dual_lshlrev_b32 v53, 16, v53 :: v_dual_lshlrev_b32 v82, 16, v26
	s_delay_alu instid0(VALU_DEP_1) | instskip(NEXT) | instid1(VALU_DEP_1)
	v_mul_f32_e32 v82, v53, v82
	v_and_b32_e32 v53, 0x7f800000, v82
	s_delay_alu instid0(VALU_DEP_1) | instskip(SKIP_1) | instid1(SALU_CYCLE_1)
	v_cmp_ne_u32_e32 vcc_lo, 0x7f800000, v53
                                        ; implicit-def: $vgpr53
	s_and_saveexec_b32 s41, vcc_lo
	s_xor_b32 s41, exec_lo, s41
; %bb.940:                              ;   in Loop: Header=BB12_902 Depth=4
	v_bfe_u32 v53, v82, 16, 1
	s_delay_alu instid0(VALU_DEP_1)
	v_add3_u32 v53, v82, v53, 0x7fff
                                        ; implicit-def: $vgpr82
; %bb.941:                              ;   in Loop: Header=BB12_902 Depth=4
	s_and_not1_saveexec_b32 s41, s41
; %bb.942:                              ;   in Loop: Header=BB12_902 Depth=4
	v_and_b32_e32 v53, 0xffff, v82
	v_or_b32_e32 v85, 0x10000, v82
	s_delay_alu instid0(VALU_DEP_2) | instskip(NEXT) | instid1(VALU_DEP_2)
	v_cmp_eq_u32_e32 vcc_lo, 0, v53
	v_cndmask_b32_e32 v53, v85, v82, vcc_lo
; %bb.943:                              ;   in Loop: Header=BB12_902 Depth=4
	s_or_b32 exec_lo, exec_lo, s41
	v_dual_lshlrev_b32 v50, 16, v50 :: v_dual_lshlrev_b32 v82, 16, v27
	s_delay_alu instid0(VALU_DEP_1) | instskip(NEXT) | instid1(VALU_DEP_1)
	v_mul_f32_e32 v82, v50, v82
	v_and_b32_e32 v50, 0x7f800000, v82
	s_delay_alu instid0(VALU_DEP_1) | instskip(SKIP_1) | instid1(SALU_CYCLE_1)
	v_cmp_ne_u32_e32 vcc_lo, 0x7f800000, v50
                                        ; implicit-def: $vgpr50
	s_and_saveexec_b32 s41, vcc_lo
	s_xor_b32 s41, exec_lo, s41
; %bb.944:                              ;   in Loop: Header=BB12_902 Depth=4
	v_bfe_u32 v50, v82, 16, 1
	s_delay_alu instid0(VALU_DEP_1)
	v_add3_u32 v50, v82, v50, 0x7fff
                                        ; implicit-def: $vgpr82
; %bb.945:                              ;   in Loop: Header=BB12_902 Depth=4
	s_and_not1_saveexec_b32 s41, s41
; %bb.946:                              ;   in Loop: Header=BB12_902 Depth=4
	v_and_b32_e32 v50, 0xffff, v82
	v_or_b32_e32 v85, 0x10000, v82
	s_delay_alu instid0(VALU_DEP_2) | instskip(NEXT) | instid1(VALU_DEP_2)
	v_cmp_eq_u32_e32 vcc_lo, 0, v50
	v_cndmask_b32_e32 v50, v85, v82, vcc_lo
; %bb.947:                              ;   in Loop: Header=BB12_902 Depth=4
	s_or_b32 exec_lo, exec_lo, s41
	v_dual_lshlrev_b32 v48, 16, v48 :: v_dual_lshlrev_b32 v82, 16, v29
	s_delay_alu instid0(VALU_DEP_1) | instskip(NEXT) | instid1(VALU_DEP_1)
	v_mul_f32_e32 v82, v48, v82
	v_and_b32_e32 v48, 0x7f800000, v82
	s_delay_alu instid0(VALU_DEP_1) | instskip(SKIP_1) | instid1(SALU_CYCLE_1)
	v_cmp_ne_u32_e32 vcc_lo, 0x7f800000, v48
                                        ; implicit-def: $vgpr48
	s_and_saveexec_b32 s41, vcc_lo
	s_xor_b32 s41, exec_lo, s41
; %bb.948:                              ;   in Loop: Header=BB12_902 Depth=4
	v_bfe_u32 v48, v82, 16, 1
	s_delay_alu instid0(VALU_DEP_1)
	v_add3_u32 v48, v82, v48, 0x7fff
                                        ; implicit-def: $vgpr82
; %bb.949:                              ;   in Loop: Header=BB12_902 Depth=4
	s_and_not1_saveexec_b32 s41, s41
; %bb.950:                              ;   in Loop: Header=BB12_902 Depth=4
	v_and_b32_e32 v48, 0xffff, v82
	v_or_b32_e32 v85, 0x10000, v82
	s_delay_alu instid0(VALU_DEP_2) | instskip(NEXT) | instid1(VALU_DEP_2)
	v_cmp_eq_u32_e32 vcc_lo, 0, v48
	v_cndmask_b32_e32 v48, v85, v82, vcc_lo
; %bb.951:                              ;   in Loop: Header=BB12_902 Depth=4
	s_or_b32 exec_lo, exec_lo, s41
	v_lshlrev_b32_e32 v39, 16, v39
	v_lshlrev_b32_e32 v82, 16, v31
	s_delay_alu instid0(VALU_DEP_1) | instskip(NEXT) | instid1(VALU_DEP_1)
	v_mul_f32_e32 v82, v39, v82
	v_and_b32_e32 v39, 0x7f800000, v82
	s_delay_alu instid0(VALU_DEP_1) | instskip(SKIP_1) | instid1(SALU_CYCLE_1)
	v_cmp_ne_u32_e32 vcc_lo, 0x7f800000, v39
                                        ; implicit-def: $vgpr39
	s_and_saveexec_b32 s41, vcc_lo
	s_xor_b32 s41, exec_lo, s41
; %bb.952:                              ;   in Loop: Header=BB12_902 Depth=4
	v_bfe_u32 v39, v82, 16, 1
	s_delay_alu instid0(VALU_DEP_1)
	v_add3_u32 v39, v82, v39, 0x7fff
                                        ; implicit-def: $vgpr82
; %bb.953:                              ;   in Loop: Header=BB12_902 Depth=4
	s_and_not1_saveexec_b32 s41, s41
; %bb.954:                              ;   in Loop: Header=BB12_902 Depth=4
	v_and_b32_e32 v39, 0xffff, v82
	v_or_b32_e32 v85, 0x10000, v82
	s_delay_alu instid0(VALU_DEP_2) | instskip(NEXT) | instid1(VALU_DEP_2)
	v_cmp_eq_u32_e32 vcc_lo, 0, v39
	v_cndmask_b32_e32 v39, v85, v82, vcc_lo
; %bb.955:                              ;   in Loop: Header=BB12_902 Depth=4
	s_or_b32 exec_lo, exec_lo, s41
	v_dual_lshlrev_b32 v38, 16, v38 :: v_dual_lshlrev_b32 v82, 16, v32
	s_delay_alu instid0(VALU_DEP_1) | instskip(NEXT) | instid1(VALU_DEP_1)
	v_mul_f32_e32 v82, v38, v82
	v_and_b32_e32 v38, 0x7f800000, v82
	s_delay_alu instid0(VALU_DEP_1) | instskip(SKIP_1) | instid1(SALU_CYCLE_1)
	v_cmp_ne_u32_e32 vcc_lo, 0x7f800000, v38
                                        ; implicit-def: $vgpr38
	s_and_saveexec_b32 s41, vcc_lo
	s_xor_b32 s41, exec_lo, s41
; %bb.956:                              ;   in Loop: Header=BB12_902 Depth=4
	v_bfe_u32 v38, v82, 16, 1
	s_delay_alu instid0(VALU_DEP_1)
	v_add3_u32 v38, v82, v38, 0x7fff
                                        ; implicit-def: $vgpr82
; %bb.957:                              ;   in Loop: Header=BB12_902 Depth=4
	s_and_not1_saveexec_b32 s41, s41
; %bb.958:                              ;   in Loop: Header=BB12_902 Depth=4
	v_and_b32_e32 v38, 0xffff, v82
	v_or_b32_e32 v85, 0x10000, v82
	s_delay_alu instid0(VALU_DEP_2) | instskip(NEXT) | instid1(VALU_DEP_2)
	v_cmp_eq_u32_e32 vcc_lo, 0, v38
	v_cndmask_b32_e32 v38, v85, v82, vcc_lo
; %bb.959:                              ;   in Loop: Header=BB12_902 Depth=4
	s_or_b32 exec_lo, exec_lo, s41
	v_lshlrev_b32_e32 v37, 16, v37
	v_lshlrev_b32_e32 v82, 16, v33
	s_delay_alu instid0(VALU_DEP_1) | instskip(NEXT) | instid1(VALU_DEP_1)
	v_mul_f32_e32 v82, v37, v82
	v_and_b32_e32 v37, 0x7f800000, v82
	s_delay_alu instid0(VALU_DEP_1) | instskip(SKIP_1) | instid1(SALU_CYCLE_1)
	v_cmp_ne_u32_e32 vcc_lo, 0x7f800000, v37
                                        ; implicit-def: $vgpr37
	s_and_saveexec_b32 s41, vcc_lo
	s_xor_b32 s41, exec_lo, s41
; %bb.960:                              ;   in Loop: Header=BB12_902 Depth=4
	v_bfe_u32 v37, v82, 16, 1
	s_delay_alu instid0(VALU_DEP_1)
	v_add3_u32 v37, v82, v37, 0x7fff
                                        ; implicit-def: $vgpr82
; %bb.961:                              ;   in Loop: Header=BB12_902 Depth=4
	s_and_not1_saveexec_b32 s41, s41
; %bb.962:                              ;   in Loop: Header=BB12_902 Depth=4
	v_and_b32_e32 v37, 0xffff, v82
	v_or_b32_e32 v85, 0x10000, v82
	s_delay_alu instid0(VALU_DEP_2) | instskip(NEXT) | instid1(VALU_DEP_2)
	v_cmp_eq_u32_e32 vcc_lo, 0, v37
	v_cndmask_b32_e32 v37, v85, v82, vcc_lo
; %bb.963:                              ;   in Loop: Header=BB12_902 Depth=4
	s_or_b32 exec_lo, exec_lo, s41
	v_dual_lshlrev_b32 v36, 16, v36 :: v_dual_lshlrev_b32 v82, 16, v34
	s_delay_alu instid0(VALU_DEP_1) | instskip(NEXT) | instid1(VALU_DEP_1)
	v_mul_f32_e32 v82, v36, v82
	v_and_b32_e32 v36, 0x7f800000, v82
	s_delay_alu instid0(VALU_DEP_1) | instskip(SKIP_1) | instid1(SALU_CYCLE_1)
	v_cmp_ne_u32_e32 vcc_lo, 0x7f800000, v36
                                        ; implicit-def: $vgpr36
	s_and_saveexec_b32 s41, vcc_lo
	s_xor_b32 s41, exec_lo, s41
; %bb.964:                              ;   in Loop: Header=BB12_902 Depth=4
	v_bfe_u32 v36, v82, 16, 1
	s_delay_alu instid0(VALU_DEP_1)
	v_add3_u32 v36, v82, v36, 0x7fff
                                        ; implicit-def: $vgpr82
; %bb.965:                              ;   in Loop: Header=BB12_902 Depth=4
	s_and_not1_saveexec_b32 s41, s41
; %bb.966:                              ;   in Loop: Header=BB12_902 Depth=4
	v_and_b32_e32 v36, 0xffff, v82
	v_or_b32_e32 v85, 0x10000, v82
	s_delay_alu instid0(VALU_DEP_2) | instskip(NEXT) | instid1(VALU_DEP_2)
	v_cmp_eq_u32_e32 vcc_lo, 0, v36
	v_cndmask_b32_e32 v36, v85, v82, vcc_lo
; %bb.967:                              ;   in Loop: Header=BB12_902 Depth=4
	s_or_b32 exec_lo, exec_lo, s41
	v_dual_lshrrev_b32 v82, 16, v7 :: v_dual_lshrrev_b32 v114, 16, v114
	v_dual_lshrrev_b32 v102, 16, v102 :: v_dual_lshrrev_b32 v99, 16, v99
	;; [unrolled: 1-line block ×8, first 2 shown]
	s_clause 0xf
	flat_store_b16 v[8:9], v114 th:TH_STORE_NT
	flat_store_b16 v[8:9], v102 offset:64 th:TH_STORE_NT
	flat_store_b16 v[8:9], v99 offset:128 th:TH_STORE_NT
	;; [unrolled: 1-line block ×15, first 2 shown]
	s_wait_xcnt 0x0
	v_add_nc_u64_e32 v[8:9], v[8:9], v[104:105]
.LBB12_968:                             ;   in Loop: Header=BB12_902 Depth=4
	s_or_b32 exec_lo, exec_lo, s77
	v_sub_nc_u32_e32 v35, v35, v60
	v_add_nc_u64_e32 v[10:11], v[10:11], v[104:105]
	v_add_nc_u64_e32 v[12:13], v[12:13], v[104:105]
	s_delay_alu instid0(VALU_DEP_3)
	v_cmp_lt_i32_e64 s41, 0, v35
	s_and_saveexec_b32 s77, s41
	s_cbranch_execz .LBB12_970
; %bb.969:                              ;   in Loop: Header=BB12_902 Depth=4
	s_clause 0xf
	flat_load_u16 v114, v[10:11] th:TH_LOAD_NT
	flat_load_u16 v102, v[10:11] offset:64 th:TH_LOAD_NT
	flat_load_u16 v99, v[10:11] offset:128 th:TH_LOAD_NT
	;; [unrolled: 1-line block ×15, first 2 shown]
	s_clause 0xf
	flat_load_u16 v17, v[12:13] th:TH_LOAD_NT
	flat_load_u16 v18, v[12:13] offset:64 th:TH_LOAD_NT
	flat_load_u16 v19, v[12:13] offset:128 th:TH_LOAD_NT
	;; [unrolled: 1-line block ×15, first 2 shown]
	s_wait_xcnt 0x10
	v_add_nc_u64_e32 v[10:11], 0x400, v[10:11]
	s_wait_xcnt 0x0
	v_add_nc_u64_e32 v[12:13], 0x400, v[12:13]
.LBB12_970:                             ;   in Loop: Header=BB12_902 Depth=4
	s_or_b32 exec_lo, exec_lo, s77
	s_wait_loadcnt_dscnt 0xf0f
	v_dual_lshlrev_b32 v6, 16, v77 :: v_dual_lshlrev_b32 v7, 16, v94
	s_mov_b32 s77, exec_lo
                                        ; implicit-def: $vgpr46
	s_delay_alu instid0(VALU_DEP_1) | instskip(NEXT) | instid1(VALU_DEP_1)
	v_mul_f32_e32 v6, v7, v6
	v_and_b32_e32 v7, 0x7f800000, v6
	s_delay_alu instid0(VALU_DEP_1)
	v_cmpx_ne_u32_e32 0x7f800000, v7
	s_xor_b32 s77, exec_lo, s77
; %bb.971:                              ;   in Loop: Header=BB12_902 Depth=4
	v_bfe_u32 v7, v6, 16, 1
	s_delay_alu instid0(VALU_DEP_1)
	v_add3_u32 v46, v6, v7, 0x7fff
                                        ; implicit-def: $vgpr6
; %bb.972:                              ;   in Loop: Header=BB12_902 Depth=4
	s_and_not1_saveexec_b32 s77, s77
; %bb.973:                              ;   in Loop: Header=BB12_902 Depth=4
	v_and_b32_e32 v7, 0xffff, v6
	v_or_b32_e32 v118, 0x10000, v6
	s_delay_alu instid0(VALU_DEP_2) | instskip(NEXT) | instid1(VALU_DEP_2)
	v_cmp_eq_u32_e32 vcc_lo, 0, v7
	v_cndmask_b32_e32 v46, v118, v6, vcc_lo
; %bb.974:                              ;   in Loop: Header=BB12_902 Depth=4
	s_or_b32 exec_lo, exec_lo, s77
	s_wait_loadcnt_dscnt 0xe0e
	v_dual_lshlrev_b32 v6, 16, v74 :: v_dual_lshlrev_b32 v7, 16, v75
	s_mov_b32 s77, exec_lo
                                        ; implicit-def: $vgpr47
	s_delay_alu instid0(VALU_DEP_1) | instskip(NEXT) | instid1(VALU_DEP_1)
	v_mul_f32_e32 v6, v7, v6
	v_and_b32_e32 v7, 0x7f800000, v6
	s_delay_alu instid0(VALU_DEP_1)
	v_cmpx_ne_u32_e32 0x7f800000, v7
	s_xor_b32 s77, exec_lo, s77
; %bb.975:                              ;   in Loop: Header=BB12_902 Depth=4
	v_bfe_u32 v7, v6, 16, 1
	s_delay_alu instid0(VALU_DEP_1)
	v_add3_u32 v47, v6, v7, 0x7fff
                                        ; implicit-def: $vgpr6
; %bb.976:                              ;   in Loop: Header=BB12_902 Depth=4
	s_and_not1_saveexec_b32 s77, s77
; %bb.977:                              ;   in Loop: Header=BB12_902 Depth=4
	v_and_b32_e32 v7, 0xffff, v6
	v_or_b32_e32 v118, 0x10000, v6
	s_delay_alu instid0(VALU_DEP_2) | instskip(NEXT) | instid1(VALU_DEP_2)
	v_cmp_eq_u32_e32 vcc_lo, 0, v7
	v_cndmask_b32_e32 v47, v118, v6, vcc_lo
; %bb.978:                              ;   in Loop: Header=BB12_902 Depth=4
	s_or_b32 exec_lo, exec_lo, s77
	s_wait_loadcnt_dscnt 0xd0d
	v_dual_lshlrev_b32 v6, 16, v62 :: v_dual_lshlrev_b32 v7, 16, v63
	s_mov_b32 s77, exec_lo
                                        ; implicit-def: $vgpr62
	s_delay_alu instid0(VALU_DEP_1) | instskip(NEXT) | instid1(VALU_DEP_1)
	v_mul_f32_e32 v6, v7, v6
	v_and_b32_e32 v7, 0x7f800000, v6
	s_delay_alu instid0(VALU_DEP_1)
	v_cmpx_ne_u32_e32 0x7f800000, v7
	s_xor_b32 s77, exec_lo, s77
; %bb.979:                              ;   in Loop: Header=BB12_902 Depth=4
	v_bfe_u32 v7, v6, 16, 1
	s_delay_alu instid0(VALU_DEP_1)
	v_add3_u32 v62, v6, v7, 0x7fff
                                        ; implicit-def: $vgpr6
; %bb.980:                              ;   in Loop: Header=BB12_902 Depth=4
	s_and_not1_saveexec_b32 s77, s77
; %bb.981:                              ;   in Loop: Header=BB12_902 Depth=4
	v_and_b32_e32 v7, 0xffff, v6
	v_or_b32_e32 v118, 0x10000, v6
	s_delay_alu instid0(VALU_DEP_2) | instskip(NEXT) | instid1(VALU_DEP_2)
	v_cmp_eq_u32_e32 vcc_lo, 0, v7
	v_cndmask_b32_e32 v62, v118, v6, vcc_lo
; %bb.982:                              ;   in Loop: Header=BB12_902 Depth=4
	s_or_b32 exec_lo, exec_lo, s77
	s_wait_loadcnt_dscnt 0xc0c
	v_dual_lshlrev_b32 v6, 16, v42 :: v_dual_lshlrev_b32 v7, 16, v43
	s_mov_b32 s77, exec_lo
                                        ; implicit-def: $vgpr42
	s_delay_alu instid0(VALU_DEP_1) | instskip(NEXT) | instid1(VALU_DEP_1)
	v_mul_f32_e32 v6, v7, v6
	v_and_b32_e32 v7, 0x7f800000, v6
	s_delay_alu instid0(VALU_DEP_1)
	v_cmpx_ne_u32_e32 0x7f800000, v7
	s_xor_b32 s77, exec_lo, s77
; %bb.983:                              ;   in Loop: Header=BB12_902 Depth=4
	v_bfe_u32 v7, v6, 16, 1
	s_delay_alu instid0(VALU_DEP_1)
	v_add3_u32 v42, v6, v7, 0x7fff
                                        ; implicit-def: $vgpr6
; %bb.984:                              ;   in Loop: Header=BB12_902 Depth=4
	s_and_not1_saveexec_b32 s77, s77
; %bb.985:                              ;   in Loop: Header=BB12_902 Depth=4
	v_and_b32_e32 v7, 0xffff, v6
	v_or_b32_e32 v118, 0x10000, v6
	s_delay_alu instid0(VALU_DEP_2) | instskip(NEXT) | instid1(VALU_DEP_2)
	v_cmp_eq_u32_e32 vcc_lo, 0, v7
	v_cndmask_b32_e32 v42, v118, v6, vcc_lo
; %bb.986:                              ;   in Loop: Header=BB12_902 Depth=4
	s_or_b32 exec_lo, exec_lo, s77
	s_wait_loadcnt_dscnt 0xb0b
	v_dual_lshlrev_b32 v6, 16, v113 :: v_dual_lshlrev_b32 v7, 16, v115
	s_delay_alu instid0(VALU_DEP_1) | instskip(NEXT) | instid1(VALU_DEP_1)
	v_mul_f32_e32 v7, v7, v6
	v_and_b32_e32 v6, 0x7f800000, v7
	s_delay_alu instid0(VALU_DEP_1) | instskip(SKIP_1) | instid1(SALU_CYCLE_1)
	v_cmp_ne_u32_e32 vcc_lo, 0x7f800000, v6
                                        ; implicit-def: $vgpr6
	s_and_saveexec_b32 s77, vcc_lo
	s_xor_b32 s77, exec_lo, s77
; %bb.987:                              ;   in Loop: Header=BB12_902 Depth=4
	v_bfe_u32 v6, v7, 16, 1
	s_delay_alu instid0(VALU_DEP_1)
	v_add3_u32 v6, v7, v6, 0x7fff
                                        ; implicit-def: $vgpr7
; %bb.988:                              ;   in Loop: Header=BB12_902 Depth=4
	s_and_not1_saveexec_b32 s77, s77
; %bb.989:                              ;   in Loop: Header=BB12_902 Depth=4
	v_and_b32_e32 v6, 0xffff, v7
	v_or_b32_e32 v113, 0x10000, v7
	s_delay_alu instid0(VALU_DEP_2) | instskip(NEXT) | instid1(VALU_DEP_2)
	v_cmp_eq_u32_e32 vcc_lo, 0, v6
	v_cndmask_b32_e32 v6, v113, v7, vcc_lo
; %bb.990:                              ;   in Loop: Header=BB12_902 Depth=4
	s_or_b32 exec_lo, exec_lo, s77
	s_wait_loadcnt_dscnt 0xa0a
	v_dual_lshlrev_b32 v7, 16, v103 :: v_dual_lshlrev_b32 v103, 16, v112
	s_delay_alu instid0(VALU_DEP_1) | instskip(NEXT) | instid1(VALU_DEP_1)
	v_mul_f32_e32 v103, v103, v7
	v_and_b32_e32 v7, 0x7f800000, v103
	s_delay_alu instid0(VALU_DEP_1) | instskip(SKIP_1) | instid1(SALU_CYCLE_1)
	v_cmp_ne_u32_e32 vcc_lo, 0x7f800000, v7
                                        ; implicit-def: $vgpr7
	s_and_saveexec_b32 s77, vcc_lo
	s_xor_b32 s77, exec_lo, s77
; %bb.991:                              ;   in Loop: Header=BB12_902 Depth=4
	v_bfe_u32 v7, v103, 16, 1
	s_delay_alu instid0(VALU_DEP_1)
	v_add3_u32 v7, v103, v7, 0x7fff
                                        ; implicit-def: $vgpr103
; %bb.992:                              ;   in Loop: Header=BB12_902 Depth=4
	s_and_not1_saveexec_b32 s77, s77
; %bb.993:                              ;   in Loop: Header=BB12_902 Depth=4
	v_and_b32_e32 v7, 0xffff, v103
	v_or_b32_e32 v112, 0x10000, v103
	s_delay_alu instid0(VALU_DEP_2) | instskip(NEXT) | instid1(VALU_DEP_2)
	v_cmp_eq_u32_e32 vcc_lo, 0, v7
	v_cndmask_b32_e32 v7, v112, v103, vcc_lo
; %bb.994:                              ;   in Loop: Header=BB12_902 Depth=4
	s_or_b32 exec_lo, exec_lo, s77
	s_wait_loadcnt_dscnt 0x909
	v_dual_lshlrev_b32 v100, 16, v100 :: v_dual_lshlrev_b32 v101, 16, v101
	s_delay_alu instid0(VALU_DEP_1) | instskip(NEXT) | instid1(VALU_DEP_1)
	v_mul_f32_e32 v101, v101, v100
	v_and_b32_e32 v100, 0x7f800000, v101
	s_delay_alu instid0(VALU_DEP_1) | instskip(SKIP_1) | instid1(SALU_CYCLE_1)
	v_cmp_ne_u32_e32 vcc_lo, 0x7f800000, v100
                                        ; implicit-def: $vgpr100
	s_and_saveexec_b32 s77, vcc_lo
	s_xor_b32 s77, exec_lo, s77
; %bb.995:                              ;   in Loop: Header=BB12_902 Depth=4
	v_bfe_u32 v100, v101, 16, 1
	s_delay_alu instid0(VALU_DEP_1)
	v_add3_u32 v100, v101, v100, 0x7fff
                                        ; implicit-def: $vgpr101
; %bb.996:                              ;   in Loop: Header=BB12_902 Depth=4
	s_and_not1_saveexec_b32 s77, s77
; %bb.997:                              ;   in Loop: Header=BB12_902 Depth=4
	v_and_b32_e32 v100, 0xffff, v101
	v_or_b32_e32 v103, 0x10000, v101
	s_delay_alu instid0(VALU_DEP_2) | instskip(NEXT) | instid1(VALU_DEP_2)
	v_cmp_eq_u32_e32 vcc_lo, 0, v100
	v_cndmask_b32_e32 v100, v103, v101, vcc_lo
; %bb.998:                              ;   in Loop: Header=BB12_902 Depth=4
	s_or_b32 exec_lo, exec_lo, s77
	s_wait_loadcnt_dscnt 0x808
	v_dual_lshlrev_b32 v97, 16, v97 :: v_dual_lshlrev_b32 v98, 16, v98
	s_delay_alu instid0(VALU_DEP_1) | instskip(NEXT) | instid1(VALU_DEP_1)
	v_mul_f32_e32 v98, v98, v97
	v_and_b32_e32 v97, 0x7f800000, v98
	s_delay_alu instid0(VALU_DEP_1) | instskip(SKIP_1) | instid1(SALU_CYCLE_1)
	v_cmp_ne_u32_e32 vcc_lo, 0x7f800000, v97
                                        ; implicit-def: $vgpr97
	s_and_saveexec_b32 s77, vcc_lo
	s_xor_b32 s77, exec_lo, s77
; %bb.999:                              ;   in Loop: Header=BB12_902 Depth=4
	v_bfe_u32 v97, v98, 16, 1
	s_delay_alu instid0(VALU_DEP_1)
	v_add3_u32 v97, v98, v97, 0x7fff
                                        ; implicit-def: $vgpr98
; %bb.1000:                             ;   in Loop: Header=BB12_902 Depth=4
	s_and_not1_saveexec_b32 s77, s77
; %bb.1001:                             ;   in Loop: Header=BB12_902 Depth=4
	v_and_b32_e32 v97, 0xffff, v98
	v_or_b32_e32 v101, 0x10000, v98
	s_delay_alu instid0(VALU_DEP_2) | instskip(NEXT) | instid1(VALU_DEP_2)
	v_cmp_eq_u32_e32 vcc_lo, 0, v97
	v_cndmask_b32_e32 v97, v101, v98, vcc_lo
; %bb.1002:                             ;   in Loop: Header=BB12_902 Depth=4
	s_or_b32 exec_lo, exec_lo, s77
	s_wait_loadcnt_dscnt 0x707
	v_dual_lshlrev_b32 v86, 16, v86 :: v_dual_lshlrev_b32 v87, 16, v87
	s_delay_alu instid0(VALU_DEP_1) | instskip(NEXT) | instid1(VALU_DEP_1)
	v_mul_f32_e32 v87, v87, v86
	v_and_b32_e32 v86, 0x7f800000, v87
	s_delay_alu instid0(VALU_DEP_1) | instskip(SKIP_1) | instid1(SALU_CYCLE_1)
	v_cmp_ne_u32_e32 vcc_lo, 0x7f800000, v86
                                        ; implicit-def: $vgpr86
	s_and_saveexec_b32 s77, vcc_lo
	s_xor_b32 s77, exec_lo, s77
; %bb.1003:                             ;   in Loop: Header=BB12_902 Depth=4
	v_bfe_u32 v86, v87, 16, 1
	s_delay_alu instid0(VALU_DEP_1)
	v_add3_u32 v86, v87, v86, 0x7fff
                                        ; implicit-def: $vgpr87
; %bb.1004:                             ;   in Loop: Header=BB12_902 Depth=4
	s_and_not1_saveexec_b32 s77, s77
; %bb.1005:                             ;   in Loop: Header=BB12_902 Depth=4
	v_and_b32_e32 v86, 0xffff, v87
	v_or_b32_e32 v98, 0x10000, v87
	s_delay_alu instid0(VALU_DEP_2) | instskip(NEXT) | instid1(VALU_DEP_2)
	v_cmp_eq_u32_e32 vcc_lo, 0, v86
	v_cndmask_b32_e32 v86, v98, v87, vcc_lo
; %bb.1006:                             ;   in Loop: Header=BB12_902 Depth=4
	s_or_b32 exec_lo, exec_lo, s77
	s_wait_loadcnt_dscnt 0x606
	v_dual_lshlrev_b32 v83, 16, v83 :: v_dual_lshlrev_b32 v84, 16, v84
	s_delay_alu instid0(VALU_DEP_1) | instskip(NEXT) | instid1(VALU_DEP_1)
	v_mul_f32_e32 v84, v84, v83
	v_and_b32_e32 v83, 0x7f800000, v84
	s_delay_alu instid0(VALU_DEP_1) | instskip(SKIP_1) | instid1(SALU_CYCLE_1)
	v_cmp_ne_u32_e32 vcc_lo, 0x7f800000, v83
                                        ; implicit-def: $vgpr83
	s_and_saveexec_b32 s77, vcc_lo
	s_xor_b32 s77, exec_lo, s77
; %bb.1007:                             ;   in Loop: Header=BB12_902 Depth=4
	v_bfe_u32 v83, v84, 16, 1
	s_delay_alu instid0(VALU_DEP_1)
	v_add3_u32 v83, v84, v83, 0x7fff
                                        ; implicit-def: $vgpr84
; %bb.1008:                             ;   in Loop: Header=BB12_902 Depth=4
	s_and_not1_saveexec_b32 s77, s77
; %bb.1009:                             ;   in Loop: Header=BB12_902 Depth=4
	v_and_b32_e32 v83, 0xffff, v84
	v_or_b32_e32 v87, 0x10000, v84
	s_delay_alu instid0(VALU_DEP_2) | instskip(NEXT) | instid1(VALU_DEP_2)
	v_cmp_eq_u32_e32 vcc_lo, 0, v83
	v_cndmask_b32_e32 v83, v87, v84, vcc_lo
; %bb.1010:                             ;   in Loop: Header=BB12_902 Depth=4
	s_or_b32 exec_lo, exec_lo, s77
	s_wait_loadcnt_dscnt 0x505
	v_dual_lshlrev_b32 v80, 16, v80 :: v_dual_lshlrev_b32 v81, 16, v81
	s_delay_alu instid0(VALU_DEP_1) | instskip(NEXT) | instid1(VALU_DEP_1)
	v_mul_f32_e32 v81, v81, v80
	v_and_b32_e32 v80, 0x7f800000, v81
	s_delay_alu instid0(VALU_DEP_1) | instskip(SKIP_1) | instid1(SALU_CYCLE_1)
	v_cmp_ne_u32_e32 vcc_lo, 0x7f800000, v80
                                        ; implicit-def: $vgpr80
	s_and_saveexec_b32 s77, vcc_lo
	s_xor_b32 s77, exec_lo, s77
; %bb.1011:                             ;   in Loop: Header=BB12_902 Depth=4
	v_bfe_u32 v80, v81, 16, 1
	s_delay_alu instid0(VALU_DEP_1)
	v_add3_u32 v80, v81, v80, 0x7fff
                                        ; implicit-def: $vgpr81
; %bb.1012:                             ;   in Loop: Header=BB12_902 Depth=4
	s_and_not1_saveexec_b32 s77, s77
; %bb.1013:                             ;   in Loop: Header=BB12_902 Depth=4
	v_and_b32_e32 v80, 0xffff, v81
	v_or_b32_e32 v84, 0x10000, v81
	s_delay_alu instid0(VALU_DEP_2) | instskip(NEXT) | instid1(VALU_DEP_2)
	v_cmp_eq_u32_e32 vcc_lo, 0, v80
	v_cndmask_b32_e32 v80, v84, v81, vcc_lo
; %bb.1014:                             ;   in Loop: Header=BB12_902 Depth=4
	s_or_b32 exec_lo, exec_lo, s77
	s_wait_loadcnt_dscnt 0x404
	v_dual_lshlrev_b32 v69, 16, v69 :: v_dual_lshlrev_b32 v70, 16, v70
	s_delay_alu instid0(VALU_DEP_1) | instskip(NEXT) | instid1(VALU_DEP_1)
	v_mul_f32_e32 v70, v70, v69
	v_and_b32_e32 v69, 0x7f800000, v70
	s_delay_alu instid0(VALU_DEP_1) | instskip(SKIP_1) | instid1(SALU_CYCLE_1)
	v_cmp_ne_u32_e32 vcc_lo, 0x7f800000, v69
                                        ; implicit-def: $vgpr69
	s_and_saveexec_b32 s77, vcc_lo
	s_xor_b32 s77, exec_lo, s77
; %bb.1015:                             ;   in Loop: Header=BB12_902 Depth=4
	v_bfe_u32 v69, v70, 16, 1
	s_delay_alu instid0(VALU_DEP_1)
	v_add3_u32 v69, v70, v69, 0x7fff
                                        ; implicit-def: $vgpr70
; %bb.1016:                             ;   in Loop: Header=BB12_902 Depth=4
	s_and_not1_saveexec_b32 s77, s77
; %bb.1017:                             ;   in Loop: Header=BB12_902 Depth=4
	v_and_b32_e32 v69, 0xffff, v70
	v_or_b32_e32 v81, 0x10000, v70
	s_delay_alu instid0(VALU_DEP_2) | instskip(NEXT) | instid1(VALU_DEP_2)
	v_cmp_eq_u32_e32 vcc_lo, 0, v69
	v_cndmask_b32_e32 v69, v81, v70, vcc_lo
; %bb.1018:                             ;   in Loop: Header=BB12_902 Depth=4
	s_or_b32 exec_lo, exec_lo, s77
	s_wait_loadcnt_dscnt 0x303
	v_dual_lshlrev_b32 v66, 16, v66 :: v_dual_lshlrev_b32 v68, 16, v68
	s_delay_alu instid0(VALU_DEP_1) | instskip(NEXT) | instid1(VALU_DEP_1)
	v_mul_f32_e32 v68, v68, v66
	v_and_b32_e32 v66, 0x7f800000, v68
	s_delay_alu instid0(VALU_DEP_1) | instskip(SKIP_1) | instid1(SALU_CYCLE_1)
	v_cmp_ne_u32_e32 vcc_lo, 0x7f800000, v66
                                        ; implicit-def: $vgpr66
	s_and_saveexec_b32 s77, vcc_lo
	s_xor_b32 s77, exec_lo, s77
; %bb.1019:                             ;   in Loop: Header=BB12_902 Depth=4
	v_bfe_u32 v66, v68, 16, 1
	s_delay_alu instid0(VALU_DEP_1)
	v_add3_u32 v66, v68, v66, 0x7fff
                                        ; implicit-def: $vgpr68
; %bb.1020:                             ;   in Loop: Header=BB12_902 Depth=4
	s_and_not1_saveexec_b32 s77, s77
; %bb.1021:                             ;   in Loop: Header=BB12_902 Depth=4
	v_and_b32_e32 v66, 0xffff, v68
	v_or_b32_e32 v70, 0x10000, v68
	s_delay_alu instid0(VALU_DEP_2) | instskip(NEXT) | instid1(VALU_DEP_2)
	v_cmp_eq_u32_e32 vcc_lo, 0, v66
	v_cndmask_b32_e32 v66, v70, v68, vcc_lo
; %bb.1022:                             ;   in Loop: Header=BB12_902 Depth=4
	s_or_b32 exec_lo, exec_lo, s77
	s_wait_loadcnt_dscnt 0x202
	v_dual_lshlrev_b32 v55, 16, v55 :: v_dual_lshlrev_b32 v65, 16, v65
	s_delay_alu instid0(VALU_DEP_1) | instskip(NEXT) | instid1(VALU_DEP_1)
	v_mul_f32_e32 v65, v65, v55
	v_and_b32_e32 v55, 0x7f800000, v65
	s_delay_alu instid0(VALU_DEP_1) | instskip(SKIP_1) | instid1(SALU_CYCLE_1)
	v_cmp_ne_u32_e32 vcc_lo, 0x7f800000, v55
                                        ; implicit-def: $vgpr55
	s_and_saveexec_b32 s77, vcc_lo
	s_xor_b32 s77, exec_lo, s77
; %bb.1023:                             ;   in Loop: Header=BB12_902 Depth=4
	v_bfe_u32 v55, v65, 16, 1
	s_delay_alu instid0(VALU_DEP_1)
	v_add3_u32 v55, v65, v55, 0x7fff
                                        ; implicit-def: $vgpr65
; %bb.1024:                             ;   in Loop: Header=BB12_902 Depth=4
	s_and_not1_saveexec_b32 s77, s77
; %bb.1025:                             ;   in Loop: Header=BB12_902 Depth=4
	v_and_b32_e32 v55, 0xffff, v65
	v_or_b32_e32 v68, 0x10000, v65
	s_delay_alu instid0(VALU_DEP_2) | instskip(NEXT) | instid1(VALU_DEP_2)
	v_cmp_eq_u32_e32 vcc_lo, 0, v55
	v_cndmask_b32_e32 v55, v68, v65, vcc_lo
; %bb.1026:                             ;   in Loop: Header=BB12_902 Depth=4
	s_or_b32 exec_lo, exec_lo, s77
	s_wait_loadcnt_dscnt 0x101
	v_dual_lshlrev_b32 v52, 16, v52 :: v_dual_lshlrev_b32 v54, 16, v54
	s_delay_alu instid0(VALU_DEP_1) | instskip(NEXT) | instid1(VALU_DEP_1)
	v_mul_f32_e32 v54, v54, v52
	v_and_b32_e32 v52, 0x7f800000, v54
	s_delay_alu instid0(VALU_DEP_1) | instskip(SKIP_1) | instid1(SALU_CYCLE_1)
	v_cmp_ne_u32_e32 vcc_lo, 0x7f800000, v52
                                        ; implicit-def: $vgpr52
	s_and_saveexec_b32 s77, vcc_lo
	s_xor_b32 s77, exec_lo, s77
; %bb.1027:                             ;   in Loop: Header=BB12_902 Depth=4
	v_bfe_u32 v52, v54, 16, 1
	s_delay_alu instid0(VALU_DEP_1)
	v_add3_u32 v52, v54, v52, 0x7fff
                                        ; implicit-def: $vgpr54
; %bb.1028:                             ;   in Loop: Header=BB12_902 Depth=4
	s_and_not1_saveexec_b32 s77, s77
; %bb.1029:                             ;   in Loop: Header=BB12_902 Depth=4
	v_and_b32_e32 v52, 0xffff, v54
	v_or_b32_e32 v65, 0x10000, v54
	s_delay_alu instid0(VALU_DEP_2) | instskip(NEXT) | instid1(VALU_DEP_2)
	v_cmp_eq_u32_e32 vcc_lo, 0, v52
	v_cndmask_b32_e32 v52, v65, v54, vcc_lo
; %bb.1030:                             ;   in Loop: Header=BB12_902 Depth=4
	s_or_b32 exec_lo, exec_lo, s77
	s_wait_loadcnt_dscnt 0x0
	v_dual_lshlrev_b32 v49, 16, v49 :: v_dual_lshlrev_b32 v51, 16, v51
	s_delay_alu instid0(VALU_DEP_1) | instskip(NEXT) | instid1(VALU_DEP_1)
	v_mul_f32_e32 v51, v51, v49
	v_and_b32_e32 v49, 0x7f800000, v51
	s_delay_alu instid0(VALU_DEP_1) | instskip(SKIP_1) | instid1(SALU_CYCLE_1)
	v_cmp_ne_u32_e32 vcc_lo, 0x7f800000, v49
                                        ; implicit-def: $vgpr49
	s_and_saveexec_b32 s77, vcc_lo
	s_xor_b32 s77, exec_lo, s77
; %bb.1031:                             ;   in Loop: Header=BB12_902 Depth=4
	v_bfe_u32 v49, v51, 16, 1
	s_delay_alu instid0(VALU_DEP_1)
	v_add3_u32 v49, v51, v49, 0x7fff
                                        ; implicit-def: $vgpr51
; %bb.1032:                             ;   in Loop: Header=BB12_902 Depth=4
	s_and_not1_saveexec_b32 s77, s77
	s_cbranch_execz .LBB12_901
; %bb.1033:                             ;   in Loop: Header=BB12_902 Depth=4
	v_and_b32_e32 v49, 0xffff, v51
	v_or_b32_e32 v54, 0x10000, v51
	s_delay_alu instid0(VALU_DEP_2) | instskip(NEXT) | instid1(VALU_DEP_2)
	v_cmp_eq_u32_e32 vcc_lo, 0, v49
	v_cndmask_b32_e32 v49, v54, v51, vcc_lo
	s_branch .LBB12_901
.LBB12_1034:                            ;   in Loop: Header=BB12_307 Depth=3
	s_or_b32 exec_lo, exec_lo, s40
	v_dual_lshlrev_b32 v97, 16, v114 :: v_dual_lshlrev_b32 v98, 16, v17
	v_dual_lshlrev_b32 v86, 16, v102 :: v_dual_lshlrev_b32 v83, 16, v99
	;; [unrolled: 1-line block ×16, first 2 shown]
	s_and_b32 s14, s14, exec_lo
.LBB12_1035:                            ;   in Loop: Header=BB12_307 Depth=3
	s_or_b32 exec_lo, exec_lo, s13
	s_and_saveexec_b32 s13, s14
	s_cbranch_execz .LBB12_1101
; %bb.1036:                             ;   in Loop: Header=BB12_307 Depth=3
	v_mul_f32_e32 v13, v98, v97
	s_delay_alu instid0(VALU_DEP_1) | instskip(NEXT) | instid1(VALU_DEP_1)
	v_and_b32_e32 v12, 0x7f800000, v13
	v_cmp_ne_u32_e32 vcc_lo, 0x7f800000, v12
                                        ; implicit-def: $vgpr12
	s_and_saveexec_b32 s14, vcc_lo
	s_delay_alu instid0(SALU_CYCLE_1)
	s_xor_b32 s14, exec_lo, s14
; %bb.1037:                             ;   in Loop: Header=BB12_307 Depth=3
	v_bfe_u32 v12, v13, 16, 1
	s_delay_alu instid0(VALU_DEP_1)
	v_add3_u32 v12, v13, v12, 0x7fff
                                        ; implicit-def: $vgpr13
; %bb.1038:                             ;   in Loop: Header=BB12_307 Depth=3
	s_and_not1_saveexec_b32 s14, s14
; %bb.1039:                             ;   in Loop: Header=BB12_307 Depth=3
	v_and_b32_e32 v12, 0xffff, v13
	v_or_b32_e32 v25, 0x10000, v13
	s_delay_alu instid0(VALU_DEP_2) | instskip(NEXT) | instid1(VALU_DEP_2)
	v_cmp_eq_u32_e32 vcc_lo, 0, v12
	v_cndmask_b32_e32 v12, v25, v13, vcc_lo
; %bb.1040:                             ;   in Loop: Header=BB12_307 Depth=3
	s_or_b32 exec_lo, exec_lo, s14
	v_mul_f32_e32 v25, v87, v86
	s_delay_alu instid0(VALU_DEP_1) | instskip(NEXT) | instid1(VALU_DEP_1)
	v_and_b32_e32 v13, 0x7f800000, v25
	v_cmp_ne_u32_e32 vcc_lo, 0x7f800000, v13
                                        ; implicit-def: $vgpr13
	s_and_saveexec_b32 s14, vcc_lo
	s_delay_alu instid0(SALU_CYCLE_1)
	s_xor_b32 s14, exec_lo, s14
; %bb.1041:                             ;   in Loop: Header=BB12_307 Depth=3
	v_bfe_u32 v13, v25, 16, 1
	s_delay_alu instid0(VALU_DEP_1)
	v_add3_u32 v13, v25, v13, 0x7fff
                                        ; implicit-def: $vgpr25
; %bb.1042:                             ;   in Loop: Header=BB12_307 Depth=3
	s_and_not1_saveexec_b32 s14, s14
; %bb.1043:                             ;   in Loop: Header=BB12_307 Depth=3
	v_and_b32_e32 v13, 0xffff, v25
	v_or_b32_e32 v29, 0x10000, v25
	s_delay_alu instid0(VALU_DEP_2) | instskip(NEXT) | instid1(VALU_DEP_2)
	v_cmp_eq_u32_e32 vcc_lo, 0, v13
	v_cndmask_b32_e32 v13, v29, v25, vcc_lo
; %bb.1044:                             ;   in Loop: Header=BB12_307 Depth=3
	s_or_b32 exec_lo, exec_lo, s14
	v_mul_f32_e32 v29, v84, v83
	s_delay_alu instid0(VALU_DEP_1) | instskip(NEXT) | instid1(VALU_DEP_1)
	v_and_b32_e32 v25, 0x7f800000, v29
	v_cmp_ne_u32_e32 vcc_lo, 0x7f800000, v25
                                        ; implicit-def: $vgpr25
	s_and_saveexec_b32 s14, vcc_lo
	s_delay_alu instid0(SALU_CYCLE_1)
	s_xor_b32 s14, exec_lo, s14
; %bb.1045:                             ;   in Loop: Header=BB12_307 Depth=3
	v_bfe_u32 v25, v29, 16, 1
	s_delay_alu instid0(VALU_DEP_1)
	v_add3_u32 v25, v29, v25, 0x7fff
                                        ; implicit-def: $vgpr29
; %bb.1046:                             ;   in Loop: Header=BB12_307 Depth=3
	s_and_not1_saveexec_b32 s14, s14
; %bb.1047:                             ;   in Loop: Header=BB12_307 Depth=3
	v_and_b32_e32 v25, 0xffff, v29
	v_or_b32_e32 v31, 0x10000, v29
	s_delay_alu instid0(VALU_DEP_2) | instskip(NEXT) | instid1(VALU_DEP_2)
	v_cmp_eq_u32_e32 vcc_lo, 0, v25
	v_cndmask_b32_e32 v25, v31, v29, vcc_lo
; %bb.1048:                             ;   in Loop: Header=BB12_307 Depth=3
	s_or_b32 exec_lo, exec_lo, s14
	v_mul_f32_e32 v29, v81, v6
	s_delay_alu instid0(VALU_DEP_1) | instskip(NEXT) | instid1(VALU_DEP_1)
	v_and_b32_e32 v6, 0x7f800000, v29
	v_cmp_ne_u32_e32 vcc_lo, 0x7f800000, v6
                                        ; implicit-def: $vgpr6
	s_and_saveexec_b32 s14, vcc_lo
	s_delay_alu instid0(SALU_CYCLE_1)
	s_xor_b32 s14, exec_lo, s14
; %bb.1049:                             ;   in Loop: Header=BB12_307 Depth=3
	v_bfe_u32 v6, v29, 16, 1
	s_delay_alu instid0(VALU_DEP_1)
	v_add3_u32 v6, v29, v6, 0x7fff
                                        ; implicit-def: $vgpr29
; %bb.1050:                             ;   in Loop: Header=BB12_307 Depth=3
	s_and_not1_saveexec_b32 s14, s14
; %bb.1051:                             ;   in Loop: Header=BB12_307 Depth=3
	v_and_b32_e32 v6, 0xffff, v29
	v_or_b32_e32 v31, 0x10000, v29
	s_delay_alu instid0(VALU_DEP_2) | instskip(NEXT) | instid1(VALU_DEP_2)
	v_cmp_eq_u32_e32 vcc_lo, 0, v6
	v_cndmask_b32_e32 v6, v31, v29, vcc_lo
; %bb.1052:                             ;   in Loop: Header=BB12_307 Depth=3
	s_or_b32 exec_lo, exec_lo, s14
	v_mul_f32_e32 v31, v80, v70
	s_delay_alu instid0(VALU_DEP_1) | instskip(NEXT) | instid1(VALU_DEP_1)
	v_and_b32_e32 v29, 0x7f800000, v31
	v_cmp_ne_u32_e32 vcc_lo, 0x7f800000, v29
                                        ; implicit-def: $vgpr29
	s_and_saveexec_b32 s14, vcc_lo
	s_delay_alu instid0(SALU_CYCLE_1)
	s_xor_b32 s14, exec_lo, s14
; %bb.1053:                             ;   in Loop: Header=BB12_307 Depth=3
	v_bfe_u32 v29, v31, 16, 1
	s_delay_alu instid0(VALU_DEP_1)
	v_add3_u32 v29, v31, v29, 0x7fff
                                        ; implicit-def: $vgpr31
; %bb.1054:                             ;   in Loop: Header=BB12_307 Depth=3
	s_and_not1_saveexec_b32 s14, s14
; %bb.1055:                             ;   in Loop: Header=BB12_307 Depth=3
	v_and_b32_e32 v29, 0xffff, v31
	v_or_b32_e32 v32, 0x10000, v31
	s_delay_alu instid0(VALU_DEP_2) | instskip(NEXT) | instid1(VALU_DEP_2)
	v_cmp_eq_u32_e32 vcc_lo, 0, v29
	v_cndmask_b32_e32 v29, v32, v31, vcc_lo
; %bb.1056:                             ;   in Loop: Header=BB12_307 Depth=3
	s_or_b32 exec_lo, exec_lo, s14
	v_mul_f32_e32 v32, v69, v68
	s_delay_alu instid0(VALU_DEP_1) | instskip(NEXT) | instid1(VALU_DEP_1)
	v_and_b32_e32 v31, 0x7f800000, v32
	v_cmp_ne_u32_e32 vcc_lo, 0x7f800000, v31
                                        ; implicit-def: $vgpr31
	s_and_saveexec_b32 s14, vcc_lo
	s_delay_alu instid0(SALU_CYCLE_1)
	s_xor_b32 s14, exec_lo, s14
; %bb.1057:                             ;   in Loop: Header=BB12_307 Depth=3
	v_bfe_u32 v31, v32, 16, 1
	s_delay_alu instid0(VALU_DEP_1)
	v_add3_u32 v31, v32, v31, 0x7fff
                                        ; implicit-def: $vgpr32
; %bb.1058:                             ;   in Loop: Header=BB12_307 Depth=3
	s_and_not1_saveexec_b32 s14, s14
; %bb.1059:                             ;   in Loop: Header=BB12_307 Depth=3
	v_and_b32_e32 v31, 0xffff, v32
	v_or_b32_e32 v33, 0x10000, v32
	s_delay_alu instid0(VALU_DEP_2) | instskip(NEXT) | instid1(VALU_DEP_2)
	v_cmp_eq_u32_e32 vcc_lo, 0, v31
	v_cndmask_b32_e32 v31, v33, v32, vcc_lo
; %bb.1060:                             ;   in Loop: Header=BB12_307 Depth=3
	s_or_b32 exec_lo, exec_lo, s14
	v_mul_f32_e32 v33, v66, v65
	s_delay_alu instid0(VALU_DEP_1) | instskip(NEXT) | instid1(VALU_DEP_1)
	v_and_b32_e32 v32, 0x7f800000, v33
	v_cmp_ne_u32_e32 vcc_lo, 0x7f800000, v32
                                        ; implicit-def: $vgpr32
	s_and_saveexec_b32 s14, vcc_lo
	s_delay_alu instid0(SALU_CYCLE_1)
	s_xor_b32 s14, exec_lo, s14
; %bb.1061:                             ;   in Loop: Header=BB12_307 Depth=3
	v_bfe_u32 v32, v33, 16, 1
	s_delay_alu instid0(VALU_DEP_1)
	v_add3_u32 v32, v33, v32, 0x7fff
                                        ; implicit-def: $vgpr33
; %bb.1062:                             ;   in Loop: Header=BB12_307 Depth=3
	s_and_not1_saveexec_b32 s14, s14
; %bb.1063:                             ;   in Loop: Header=BB12_307 Depth=3
	v_and_b32_e32 v32, 0xffff, v33
	v_or_b32_e32 v34, 0x10000, v33
	s_delay_alu instid0(VALU_DEP_2) | instskip(NEXT) | instid1(VALU_DEP_2)
	v_cmp_eq_u32_e32 vcc_lo, 0, v32
	v_cndmask_b32_e32 v32, v34, v33, vcc_lo
; %bb.1064:                             ;   in Loop: Header=BB12_307 Depth=3
	s_or_b32 exec_lo, exec_lo, s14
	v_mul_f32_e32 v34, v55, v54
	s_delay_alu instid0(VALU_DEP_1) | instskip(NEXT) | instid1(VALU_DEP_1)
	v_and_b32_e32 v33, 0x7f800000, v34
	v_cmp_ne_u32_e32 vcc_lo, 0x7f800000, v33
                                        ; implicit-def: $vgpr33
	s_and_saveexec_b32 s14, vcc_lo
	s_delay_alu instid0(SALU_CYCLE_1)
	s_xor_b32 s14, exec_lo, s14
; %bb.1065:                             ;   in Loop: Header=BB12_307 Depth=3
	v_bfe_u32 v33, v34, 16, 1
	s_delay_alu instid0(VALU_DEP_1)
	v_add3_u32 v33, v34, v33, 0x7fff
                                        ; implicit-def: $vgpr34
; %bb.1066:                             ;   in Loop: Header=BB12_307 Depth=3
	s_and_not1_saveexec_b32 s14, s14
; %bb.1067:                             ;   in Loop: Header=BB12_307 Depth=3
	v_and_b32_e32 v33, 0xffff, v34
	v_or_b32_e32 v36, 0x10000, v34
	s_delay_alu instid0(VALU_DEP_2) | instskip(NEXT) | instid1(VALU_DEP_2)
	v_cmp_eq_u32_e32 vcc_lo, 0, v33
	v_cndmask_b32_e32 v33, v36, v34, vcc_lo
; %bb.1068:                             ;   in Loop: Header=BB12_307 Depth=3
	s_or_b32 exec_lo, exec_lo, s14
	v_mul_f32_e32 v36, v52, v51
	s_delay_alu instid0(VALU_DEP_1) | instskip(NEXT) | instid1(VALU_DEP_1)
	v_and_b32_e32 v34, 0x7f800000, v36
	v_cmp_ne_u32_e32 vcc_lo, 0x7f800000, v34
                                        ; implicit-def: $vgpr34
	s_and_saveexec_b32 s14, vcc_lo
	s_delay_alu instid0(SALU_CYCLE_1)
	s_xor_b32 s14, exec_lo, s14
; %bb.1069:                             ;   in Loop: Header=BB12_307 Depth=3
	v_bfe_u32 v34, v36, 16, 1
	s_delay_alu instid0(VALU_DEP_1)
	v_add3_u32 v34, v36, v34, 0x7fff
                                        ; implicit-def: $vgpr36
; %bb.1070:                             ;   in Loop: Header=BB12_307 Depth=3
	s_and_not1_saveexec_b32 s14, s14
; %bb.1071:                             ;   in Loop: Header=BB12_307 Depth=3
	v_and_b32_e32 v34, 0xffff, v36
	v_or_b32_e32 v37, 0x10000, v36
	s_delay_alu instid0(VALU_DEP_2) | instskip(NEXT) | instid1(VALU_DEP_2)
	v_cmp_eq_u32_e32 vcc_lo, 0, v34
	v_cndmask_b32_e32 v34, v37, v36, vcc_lo
; %bb.1072:                             ;   in Loop: Header=BB12_307 Depth=3
	s_or_b32 exec_lo, exec_lo, s14
	v_mul_f32_e32 v36, v49, v7
	s_delay_alu instid0(VALU_DEP_1) | instskip(NEXT) | instid1(VALU_DEP_1)
	v_and_b32_e32 v7, 0x7f800000, v36
	v_cmp_ne_u32_e32 vcc_lo, 0x7f800000, v7
                                        ; implicit-def: $vgpr7
	s_and_saveexec_b32 s14, vcc_lo
	s_delay_alu instid0(SALU_CYCLE_1)
	s_xor_b32 s14, exec_lo, s14
; %bb.1073:                             ;   in Loop: Header=BB12_307 Depth=3
	v_bfe_u32 v7, v36, 16, 1
	s_delay_alu instid0(VALU_DEP_1)
	v_add3_u32 v7, v36, v7, 0x7fff
                                        ; implicit-def: $vgpr36
; %bb.1074:                             ;   in Loop: Header=BB12_307 Depth=3
	s_and_not1_saveexec_b32 s14, s14
; %bb.1075:                             ;   in Loop: Header=BB12_307 Depth=3
	v_and_b32_e32 v7, 0xffff, v36
	v_or_b32_e32 v37, 0x10000, v36
	s_delay_alu instid0(VALU_DEP_2) | instskip(NEXT) | instid1(VALU_DEP_2)
	v_cmp_eq_u32_e32 vcc_lo, 0, v7
	v_cndmask_b32_e32 v7, v37, v36, vcc_lo
; %bb.1076:                             ;   in Loop: Header=BB12_307 Depth=3
	s_or_b32 exec_lo, exec_lo, s14
	v_mul_f32_e32 v27, v27, v26
	s_delay_alu instid0(VALU_DEP_1) | instskip(NEXT) | instid1(VALU_DEP_1)
	v_and_b32_e32 v26, 0x7f800000, v27
	v_cmp_ne_u32_e32 vcc_lo, 0x7f800000, v26
                                        ; implicit-def: $vgpr26
	s_and_saveexec_b32 s14, vcc_lo
	s_delay_alu instid0(SALU_CYCLE_1)
	s_xor_b32 s14, exec_lo, s14
; %bb.1077:                             ;   in Loop: Header=BB12_307 Depth=3
	v_bfe_u32 v26, v27, 16, 1
	s_delay_alu instid0(VALU_DEP_1)
	v_add3_u32 v26, v27, v26, 0x7fff
                                        ; implicit-def: $vgpr27
; %bb.1078:                             ;   in Loop: Header=BB12_307 Depth=3
	s_and_not1_saveexec_b32 s14, s14
; %bb.1079:                             ;   in Loop: Header=BB12_307 Depth=3
	v_and_b32_e32 v26, 0xffff, v27
	v_or_b32_e32 v36, 0x10000, v27
	s_delay_alu instid0(VALU_DEP_2) | instskip(NEXT) | instid1(VALU_DEP_2)
	v_cmp_eq_u32_e32 vcc_lo, 0, v26
	v_cndmask_b32_e32 v26, v36, v27, vcc_lo
; %bb.1080:                             ;   in Loop: Header=BB12_307 Depth=3
	s_or_b32 exec_lo, exec_lo, s14
	v_mul_f32_e32 v24, v24, v23
	s_delay_alu instid0(VALU_DEP_1) | instskip(NEXT) | instid1(VALU_DEP_1)
	v_and_b32_e32 v23, 0x7f800000, v24
	v_cmp_ne_u32_e32 vcc_lo, 0x7f800000, v23
                                        ; implicit-def: $vgpr23
	s_and_saveexec_b32 s14, vcc_lo
	s_delay_alu instid0(SALU_CYCLE_1)
	s_xor_b32 s14, exec_lo, s14
; %bb.1081:                             ;   in Loop: Header=BB12_307 Depth=3
	v_bfe_u32 v23, v24, 16, 1
	s_delay_alu instid0(VALU_DEP_1)
	v_add3_u32 v23, v24, v23, 0x7fff
                                        ; implicit-def: $vgpr24
; %bb.1082:                             ;   in Loop: Header=BB12_307 Depth=3
	s_and_not1_saveexec_b32 s14, s14
; %bb.1083:                             ;   in Loop: Header=BB12_307 Depth=3
	v_and_b32_e32 v23, 0xffff, v24
	v_or_b32_e32 v27, 0x10000, v24
	s_delay_alu instid0(VALU_DEP_2) | instskip(NEXT) | instid1(VALU_DEP_2)
	v_cmp_eq_u32_e32 vcc_lo, 0, v23
	v_cndmask_b32_e32 v23, v27, v24, vcc_lo
; %bb.1084:                             ;   in Loop: Header=BB12_307 Depth=3
	s_or_b32 exec_lo, exec_lo, s14
	v_mul_f32_e32 v22, v22, v21
	s_delay_alu instid0(VALU_DEP_1) | instskip(NEXT) | instid1(VALU_DEP_1)
	v_and_b32_e32 v21, 0x7f800000, v22
	v_cmp_ne_u32_e32 vcc_lo, 0x7f800000, v21
                                        ; implicit-def: $vgpr21
	s_and_saveexec_b32 s14, vcc_lo
	s_delay_alu instid0(SALU_CYCLE_1)
	s_xor_b32 s14, exec_lo, s14
; %bb.1085:                             ;   in Loop: Header=BB12_307 Depth=3
	v_bfe_u32 v21, v22, 16, 1
	s_delay_alu instid0(VALU_DEP_1)
	v_add3_u32 v21, v22, v21, 0x7fff
                                        ; implicit-def: $vgpr22
; %bb.1086:                             ;   in Loop: Header=BB12_307 Depth=3
	s_and_not1_saveexec_b32 s14, s14
; %bb.1087:                             ;   in Loop: Header=BB12_307 Depth=3
	v_and_b32_e32 v21, 0xffff, v22
	v_or_b32_e32 v24, 0x10000, v22
	s_delay_alu instid0(VALU_DEP_2) | instskip(NEXT) | instid1(VALU_DEP_2)
	v_cmp_eq_u32_e32 vcc_lo, 0, v21
	v_cndmask_b32_e32 v21, v24, v22, vcc_lo
; %bb.1088:                             ;   in Loop: Header=BB12_307 Depth=3
	s_or_b32 exec_lo, exec_lo, s14
	v_mul_f32_e32 v20, v20, v19
	s_delay_alu instid0(VALU_DEP_1) | instskip(NEXT) | instid1(VALU_DEP_1)
	v_and_b32_e32 v19, 0x7f800000, v20
	v_cmp_ne_u32_e32 vcc_lo, 0x7f800000, v19
                                        ; implicit-def: $vgpr19
	s_and_saveexec_b32 s14, vcc_lo
	s_delay_alu instid0(SALU_CYCLE_1)
	s_xor_b32 s14, exec_lo, s14
; %bb.1089:                             ;   in Loop: Header=BB12_307 Depth=3
	v_bfe_u32 v19, v20, 16, 1
	s_delay_alu instid0(VALU_DEP_1)
	v_add3_u32 v19, v20, v19, 0x7fff
                                        ; implicit-def: $vgpr20
; %bb.1090:                             ;   in Loop: Header=BB12_307 Depth=3
	s_and_not1_saveexec_b32 s14, s14
; %bb.1091:                             ;   in Loop: Header=BB12_307 Depth=3
	v_and_b32_e32 v19, 0xffff, v20
	v_or_b32_e32 v22, 0x10000, v20
	s_delay_alu instid0(VALU_DEP_2) | instskip(NEXT) | instid1(VALU_DEP_2)
	v_cmp_eq_u32_e32 vcc_lo, 0, v19
	v_cndmask_b32_e32 v19, v22, v20, vcc_lo
; %bb.1092:                             ;   in Loop: Header=BB12_307 Depth=3
	s_or_b32 exec_lo, exec_lo, s14
	v_mul_f32_e32 v18, v18, v17
	s_delay_alu instid0(VALU_DEP_1) | instskip(NEXT) | instid1(VALU_DEP_1)
	v_and_b32_e32 v17, 0x7f800000, v18
	v_cmp_ne_u32_e32 vcc_lo, 0x7f800000, v17
                                        ; implicit-def: $vgpr17
	s_and_saveexec_b32 s14, vcc_lo
	s_delay_alu instid0(SALU_CYCLE_1)
	s_xor_b32 s14, exec_lo, s14
; %bb.1093:                             ;   in Loop: Header=BB12_307 Depth=3
	v_bfe_u32 v17, v18, 16, 1
	s_delay_alu instid0(VALU_DEP_1)
	v_add3_u32 v17, v18, v17, 0x7fff
                                        ; implicit-def: $vgpr18
; %bb.1094:                             ;   in Loop: Header=BB12_307 Depth=3
	s_and_not1_saveexec_b32 s14, s14
; %bb.1095:                             ;   in Loop: Header=BB12_307 Depth=3
	v_and_b32_e32 v17, 0xffff, v18
	v_or_b32_e32 v20, 0x10000, v18
	s_delay_alu instid0(VALU_DEP_2) | instskip(NEXT) | instid1(VALU_DEP_2)
	v_cmp_eq_u32_e32 vcc_lo, 0, v17
	v_cndmask_b32_e32 v17, v20, v18, vcc_lo
; %bb.1096:                             ;   in Loop: Header=BB12_307 Depth=3
	s_or_b32 exec_lo, exec_lo, s14
	v_mul_f32_e32 v11, v11, v10
	s_delay_alu instid0(VALU_DEP_1) | instskip(NEXT) | instid1(VALU_DEP_1)
	v_and_b32_e32 v10, 0x7f800000, v11
	v_cmp_ne_u32_e32 vcc_lo, 0x7f800000, v10
                                        ; implicit-def: $vgpr10
	s_and_saveexec_b32 s14, vcc_lo
	s_delay_alu instid0(SALU_CYCLE_1)
	s_xor_b32 s14, exec_lo, s14
; %bb.1097:                             ;   in Loop: Header=BB12_307 Depth=3
	v_bfe_u32 v10, v11, 16, 1
	s_delay_alu instid0(VALU_DEP_1)
	v_add3_u32 v10, v11, v10, 0x7fff
                                        ; implicit-def: $vgpr11
; %bb.1098:                             ;   in Loop: Header=BB12_307 Depth=3
	s_and_not1_saveexec_b32 s14, s14
; %bb.1099:                             ;   in Loop: Header=BB12_307 Depth=3
	v_and_b32_e32 v10, 0xffff, v11
	v_or_b32_e32 v18, 0x10000, v11
	s_delay_alu instid0(VALU_DEP_2) | instskip(NEXT) | instid1(VALU_DEP_2)
	v_cmp_eq_u32_e32 vcc_lo, 0, v10
	v_cndmask_b32_e32 v10, v18, v11, vcc_lo
; %bb.1100:                             ;   in Loop: Header=BB12_307 Depth=3
	s_or_b32 exec_lo, exec_lo, s14
	s_clause 0xf
	flat_store_d16_hi_b16 v[8:9], v12 th:TH_STORE_NT
	flat_store_d16_hi_b16 v[8:9], v13 offset:64 th:TH_STORE_NT
	flat_store_d16_hi_b16 v[8:9], v25 offset:128 th:TH_STORE_NT
	flat_store_d16_hi_b16 v[8:9], v6 offset:192 th:TH_STORE_NT
	flat_store_d16_hi_b16 v[8:9], v29 offset:256 th:TH_STORE_NT
	flat_store_d16_hi_b16 v[8:9], v31 offset:320 th:TH_STORE_NT
	flat_store_d16_hi_b16 v[8:9], v32 offset:384 th:TH_STORE_NT
	flat_store_d16_hi_b16 v[8:9], v33 offset:448 th:TH_STORE_NT
	flat_store_d16_hi_b16 v[8:9], v34 offset:512 th:TH_STORE_NT
	flat_store_d16_hi_b16 v[8:9], v7 offset:576 th:TH_STORE_NT
	flat_store_d16_hi_b16 v[8:9], v26 offset:640 th:TH_STORE_NT
	flat_store_d16_hi_b16 v[8:9], v23 offset:704 th:TH_STORE_NT
	flat_store_d16_hi_b16 v[8:9], v21 offset:768 th:TH_STORE_NT
	flat_store_d16_hi_b16 v[8:9], v19 offset:832 th:TH_STORE_NT
	flat_store_d16_hi_b16 v[8:9], v17 offset:896 th:TH_STORE_NT
	flat_store_d16_hi_b16 v[8:9], v10 offset:960 th:TH_STORE_NT
.LBB12_1101:                            ;   in Loop: Header=BB12_307 Depth=3
	s_wait_xcnt 0x0
	s_or_b32 exec_lo, exec_lo, s13
	v_lshlrev_b32_e32 v6, 10, v16
	s_delay_alu instid0(VALU_DEP_1)
	v_cmp_ne_u32_e32 vcc_lo, v5, v6
	s_and_b32 exec_lo, exec_lo, vcc_lo
	s_cbranch_execz .LBB12_1126
; %bb.1102:                             ;   in Loop: Header=BB12_307 Depth=3
	v_lshlrev_b32_e32 v7, 5, v35
	s_delay_alu instid0(VALU_DEP_1) | instskip(NEXT) | instid1(VALU_DEP_1)
	v_sub_nc_u32_e32 v7, v15, v7
	v_ashrrev_i32_e32 v8, 31, v7
	s_delay_alu instid0(VALU_DEP_1) | instskip(NEXT) | instid1(VALU_DEP_1)
	v_lshrrev_b32_e32 v8, 27, v8
	v_add_nc_u32_e32 v8, v7, v8
	s_delay_alu instid0(VALU_DEP_1) | instskip(NEXT) | instid1(VALU_DEP_1)
	v_and_b32_e32 v9, 0x7fffffe0, v8
	v_dual_lshlrev_b32 v8, 1, v8 :: v_dual_sub_nc_u32 v7, v7, v9
	s_delay_alu instid0(VALU_DEP_1) | instskip(NEXT) | instid1(VALU_DEP_2)
	v_and_b32_e32 v8, 0xffffffc0, v8
	v_lshlrev_b32_e32 v7, 1, v7
	s_delay_alu instid0(VALU_DEP_1) | instskip(NEXT) | instid1(VALU_DEP_1)
	v_add3_u32 v6, v8, v7, v6
	v_sub_nc_u32_e32 v5, v5, v6
	s_delay_alu instid0(VALU_DEP_1)
	v_cmp_lt_i32_e32 vcc_lo, 1, v5
	s_and_b32 exec_lo, exec_lo, vcc_lo
	s_cbranch_execz .LBB12_1126
; %bb.1103:                             ;   in Loop: Header=BB12_307 Depth=3
	s_trap 2
	ds_load_b64 v[12:13], v0
	v_add_nc_u32_e32 v6, v6, v14
	s_mov_b32 s79, 0
	s_mov_b32 s77, 0
                                        ; implicit-def: $sgpr78
	s_delay_alu instid0(VALU_DEP_1) | instskip(NEXT) | instid1(VALU_DEP_1)
	v_ashrrev_i32_e32 v7, 31, v6
	v_add_nc_u64_e32 v[8:9], v[72:73], v[6:7]
	v_add_nc_u64_e32 v[10:11], v[6:7], v[0:1]
	s_wait_dscnt 0x0
	v_add_nc_u64_e32 v[0:1], v[12:13], v[6:7]
	s_branch .LBB12_1105
.LBB12_1104:                            ;   in Loop: Header=BB12_1105 Depth=4
	s_or_b32 exec_lo, exec_lo, s13
	s_delay_alu instid0(VALU_DEP_1) | instskip(SKIP_2) | instid1(VALU_DEP_3)
	v_dual_cndmask_b32 v14, 0, v76, s79 :: v_dual_lshrrev_b32 v16, 16, v6
	v_add_nc_u64_e32 v[12:13], 64, v[92:93]
	v_add_nc_u64_e32 v[6:7], v[0:1], v[92:93]
	v_sub_nc_u32_e32 v5, v5, v14
	v_add_nc_u64_e32 v[14:15], v[10:11], v[92:93]
	flat_store_b16 v[8:9], v16 th:TH_STORE_NT
	scratch_store_b16 off, v16, s33 offset:192
	v_dual_cndmask_b32 v13, 0, v13, s79 :: v_dual_cndmask_b32 v12, 64, v12, s79
	v_dual_cndmask_b32 v1, v1, v7, s79 :: v_dual_cndmask_b32 v0, v0, v6, s79
	v_cndmask_b32_e64 v11, v11, v15, s79
	v_cmp_gt_i32_e32 vcc_lo, 2, v5
	s_wait_xcnt 0x1
	v_add_nc_u64_e32 v[8:9], v[8:9], v[12:13]
	v_cndmask_b32_e64 v10, v10, v14, s79
	s_or_b32 s77, vcc_lo, s77
	s_and_not1_b32 s13, s78, exec_lo
	s_and_b32 s14, s79, exec_lo
	s_delay_alu instid0(SALU_CYCLE_1)
	s_or_b32 s78, s13, s14
	s_wait_xcnt 0x0
	s_and_not1_b32 exec_lo, exec_lo, s77
	s_cbranch_execz .LBB12_1120
.LBB12_1105:                            ;   Parent Loop BB12_47 Depth=1
                                        ;     Parent Loop BB12_304 Depth=2
                                        ;       Parent Loop BB12_307 Depth=3
                                        ; =>      This Loop Header: Depth=4
                                        ;           Child Loop BB12_1106 Depth 5
                                        ;           Child Loop BB12_1115 Depth 5
	s_add_co_i32 s13, s33, 0xc0
	s_mov_b64 s[40:41], 0
	s_mov_b32 s88, s13
	s_mov_b32 s89, -1
.LBB12_1106:                            ;   Parent Loop BB12_47 Depth=1
                                        ;     Parent Loop BB12_304 Depth=2
                                        ;       Parent Loop BB12_307 Depth=3
                                        ;         Parent Loop BB12_1105 Depth=4
                                        ; =>        This Inner Loop Header: Depth=5
	s_cmp_eq_u32 s40, 1
	s_cselect_b32 vcc_lo, -1, 0
	s_cmp_eq_u32 s40, 0
	v_dual_cndmask_b32 v7, v11, v1 :: v_dual_cndmask_b32 v6, v10, v0
	s_cselect_b32 s13, -1, 0
	s_and_b32 s14, exec_lo, s89
	s_mov_b64 s[40:41], 1
	s_mov_b32 s89, 0
	flat_load_u16 v12, v[6:7] th:TH_LOAD_NT
	s_wait_xcnt 0x0
	v_add_nc_u64_e32 v[6:7], 64, v[6:7]
	s_delay_alu instid0(VALU_DEP_1)
	v_dual_cndmask_b32 v1, v1, v7 :: v_dual_cndmask_b32 v0, v0, v6
	v_dual_cndmask_b32 v11, v11, v7, s13 :: v_dual_cndmask_b32 v10, v10, v6, s13
	s_add_co_i32 s13, s33, 0xe0
	s_mov_b32 vcc_lo, s14
	s_wait_loadcnt_dscnt 0x0
	scratch_store_b16 off, v12, s88
	s_wait_xcnt 0x0
	s_mov_b32 s88, s13
	s_cbranch_vccnz .LBB12_1106
; %bb.1107:                             ;   in Loop: Header=BB12_1105 Depth=4
	s_and_saveexec_b32 s13, s79
	s_cbranch_execz .LBB12_1113
; %bb.1108:                             ;   in Loop: Header=BB12_1105 Depth=4
	s_clause 0x1
	scratch_load_u16 v6, off, s33 offset:188
	scratch_load_u16 v7, off, s33 offset:190
	s_wait_loadcnt 0x0
	v_dual_lshlrev_b32 v6, 16, v6 :: v_dual_lshlrev_b32 v7, 16, v7
	s_delay_alu instid0(VALU_DEP_1) | instskip(NEXT) | instid1(VALU_DEP_1)
	v_mul_f32_e32 v6, v7, v6
	v_and_b32_e32 v7, 0x7f800000, v6
	s_delay_alu instid0(VALU_DEP_1) | instskip(SKIP_2) | instid1(SALU_CYCLE_1)
	v_cmp_ne_u32_e32 vcc_lo, 0x7f800000, v7
                                        ; implicit-def: $vgpr7
	s_wait_xcnt 0x0
	s_and_saveexec_b32 s14, vcc_lo
	s_xor_b32 s14, exec_lo, s14
; %bb.1109:                             ;   in Loop: Header=BB12_1105 Depth=4
	v_bfe_u32 v7, v6, 16, 1
	s_delay_alu instid0(VALU_DEP_1)
	v_add3_u32 v7, v6, v7, 0x7fff
                                        ; implicit-def: $vgpr6
; %bb.1110:                             ;   in Loop: Header=BB12_1105 Depth=4
	s_and_not1_saveexec_b32 s14, s14
; %bb.1111:                             ;   in Loop: Header=BB12_1105 Depth=4
	v_and_b32_e32 v7, 0xffff, v6
	v_or_b32_e32 v12, 0x10000, v6
	s_delay_alu instid0(VALU_DEP_2) | instskip(NEXT) | instid1(VALU_DEP_2)
	v_cmp_eq_u32_e32 vcc_lo, 0, v7
	v_cndmask_b32_e32 v7, v12, v6, vcc_lo
; %bb.1112:                             ;   in Loop: Header=BB12_1105 Depth=4
	s_or_b32 exec_lo, exec_lo, s14
	v_add_nc_u64_e32 v[12:13], 64, v[92:93]
	s_delay_alu instid0(VALU_DEP_2)
	v_lshrrev_b32_e32 v6, 16, v7
	flat_store_b16 v[8:9], v6 th:TH_STORE_NT
	s_wait_xcnt 0x0
	v_add_nc_u64_e32 v[8:9], v[8:9], v[12:13]
	scratch_store_b16 off, v6, s33 offset:188
.LBB12_1113:                            ;   in Loop: Header=BB12_1105 Depth=4
	s_wait_xcnt 0x0
	s_or_b32 exec_lo, exec_lo, s13
	v_sub_nc_u32_e32 v5, v5, v76
	v_add_nc_u64_e32 v[10:11], v[10:11], v[92:93]
	v_add_nc_u64_e32 v[0:1], v[0:1], v[92:93]
	s_delay_alu instid0(VALU_DEP_3)
	v_cmp_lt_i32_e64 s79, 1, v5
	s_and_saveexec_b32 s88, s79
	s_cbranch_execz .LBB12_1116
; %bb.1114:                             ;   in Loop: Header=BB12_1105 Depth=4
	s_add_co_i32 s13, s33, 0xbc
	s_mov_b64 s[40:41], 0
	s_mov_b32 s89, s13
	s_mov_b32 s90, -1
.LBB12_1115:                            ;   Parent Loop BB12_47 Depth=1
                                        ;     Parent Loop BB12_304 Depth=2
                                        ;       Parent Loop BB12_307 Depth=3
                                        ;         Parent Loop BB12_1105 Depth=4
                                        ; =>        This Inner Loop Header: Depth=5
	s_cmp_eq_u32 s40, 1
	s_cselect_b32 vcc_lo, -1, 0
	s_cmp_eq_u32 s40, 0
	v_dual_cndmask_b32 v7, v11, v1 :: v_dual_cndmask_b32 v6, v10, v0
	s_cselect_b32 s13, -1, 0
	s_and_b32 s14, exec_lo, s90
	s_mov_b64 s[40:41], 1
	s_mov_b32 s90, 0
	flat_load_u16 v12, v[6:7] th:TH_LOAD_NT
	s_wait_xcnt 0x0
	v_add_nc_u64_e32 v[6:7], 64, v[6:7]
	s_delay_alu instid0(VALU_DEP_1)
	v_dual_cndmask_b32 v11, v11, v7, s13 :: v_dual_cndmask_b32 v10, v10, v6, s13
	v_dual_cndmask_b32 v1, v1, v7 :: v_dual_cndmask_b32 v0, v0, v6
	s_add_co_i32 s13, s33, 0xbe
	s_mov_b32 vcc_lo, s14
	s_wait_loadcnt_dscnt 0x0
	scratch_store_b16 off, v12, s89
	s_wait_xcnt 0x0
	s_mov_b32 s89, s13
	s_cbranch_vccnz .LBB12_1115
.LBB12_1116:                            ;   in Loop: Header=BB12_1105 Depth=4
	s_or_b32 exec_lo, exec_lo, s88
	s_clause 0x1
	scratch_load_u16 v6, off, s33 offset:192
	scratch_load_u16 v7, off, s33 offset:224
	s_wait_loadcnt 0x0
	v_dual_lshlrev_b32 v6, 16, v6 :: v_dual_lshlrev_b32 v7, 16, v7
	s_delay_alu instid0(VALU_DEP_1) | instskip(NEXT) | instid1(VALU_DEP_1)
	v_mul_f32_e32 v7, v7, v6
	v_and_b32_e32 v6, 0x7f800000, v7
	s_delay_alu instid0(VALU_DEP_1) | instskip(SKIP_2) | instid1(SALU_CYCLE_1)
	v_cmp_ne_u32_e32 vcc_lo, 0x7f800000, v6
                                        ; implicit-def: $vgpr6
	s_wait_xcnt 0x0
	s_and_saveexec_b32 s13, vcc_lo
	s_xor_b32 s13, exec_lo, s13
; %bb.1117:                             ;   in Loop: Header=BB12_1105 Depth=4
	v_bfe_u32 v6, v7, 16, 1
	s_delay_alu instid0(VALU_DEP_1)
	v_add3_u32 v6, v7, v6, 0x7fff
                                        ; implicit-def: $vgpr7
; %bb.1118:                             ;   in Loop: Header=BB12_1105 Depth=4
	s_and_not1_saveexec_b32 s13, s13
	s_cbranch_execz .LBB12_1104
; %bb.1119:                             ;   in Loop: Header=BB12_1105 Depth=4
	v_and_b32_e32 v6, 0xffff, v7
	v_or_b32_e32 v12, 0x10000, v7
	s_delay_alu instid0(VALU_DEP_2) | instskip(NEXT) | instid1(VALU_DEP_2)
	v_cmp_eq_u32_e32 vcc_lo, 0, v6
	v_cndmask_b32_e32 v6, v12, v7, vcc_lo
	s_branch .LBB12_1104
.LBB12_1120:                            ;   in Loop: Header=BB12_307 Depth=3
	s_or_b32 exec_lo, exec_lo, s77
	s_delay_alu instid0(SALU_CYCLE_1)
	s_and_b32 exec_lo, exec_lo, s78
	s_cbranch_execz .LBB12_1126
; %bb.1121:                             ;   in Loop: Header=BB12_307 Depth=3
	s_clause 0x1
	scratch_load_u16 v0, off, s33 offset:188
	scratch_load_u16 v1, off, s33 offset:190
	s_wait_loadcnt 0x0
	v_dual_lshlrev_b32 v0, 16, v0 :: v_dual_lshlrev_b32 v1, 16, v1
	s_delay_alu instid0(VALU_DEP_1) | instskip(NEXT) | instid1(VALU_DEP_1)
	v_mul_f32_e32 v0, v1, v0
	v_and_b32_e32 v1, 0x7f800000, v0
	s_delay_alu instid0(VALU_DEP_1) | instskip(SKIP_2) | instid1(SALU_CYCLE_1)
	v_cmp_ne_u32_e32 vcc_lo, 0x7f800000, v1
                                        ; implicit-def: $vgpr1
	s_wait_xcnt 0x0
	s_and_saveexec_b32 s13, vcc_lo
	s_xor_b32 s13, exec_lo, s13
; %bb.1122:                             ;   in Loop: Header=BB12_307 Depth=3
	v_bfe_u32 v1, v0, 16, 1
	s_delay_alu instid0(VALU_DEP_1)
	v_add3_u32 v1, v0, v1, 0x7fff
                                        ; implicit-def: $vgpr0
; %bb.1123:                             ;   in Loop: Header=BB12_307 Depth=3
	s_and_not1_saveexec_b32 s13, s13
; %bb.1124:                             ;   in Loop: Header=BB12_307 Depth=3
	v_and_b32_e32 v1, 0xffff, v0
	v_or_b32_e32 v5, 0x10000, v0
	s_delay_alu instid0(VALU_DEP_2) | instskip(NEXT) | instid1(VALU_DEP_2)
	v_cmp_eq_u32_e32 vcc_lo, 0, v1
	v_cndmask_b32_e32 v1, v5, v0, vcc_lo
; %bb.1125:                             ;   in Loop: Header=BB12_307 Depth=3
	s_or_b32 exec_lo, exec_lo, s13
	flat_store_d16_hi_b16 v[8:9], v1 th:TH_STORE_NT
.LBB12_1126:                            ;   in Loop: Header=BB12_307 Depth=3
	s_wait_xcnt 0x0
	s_or_b32 exec_lo, exec_lo, s15
	v_cmp_lt_i32_e64 s13, 0, v2
	s_and_saveexec_b32 s14, s2
	s_cbranch_execz .LBB12_382
.LBB12_1127:                            ;   in Loop: Header=BB12_307 Depth=3
	s_and_saveexec_b32 s15, s3
	s_delay_alu instid0(SALU_CYCLE_1)
	s_xor_b32 s15, exec_lo, s15
	s_cbranch_execz .LBB12_1142
; %bb.1128:                             ;   in Loop: Header=BB12_307 Depth=3
	s_and_saveexec_b32 s40, s6
	s_cbranch_execz .LBB12_1141
; %bb.1129:                             ;   in Loop: Header=BB12_307 Depth=3
	s_mov_b32 s77, exec_lo
	s_mov_b32 s41, exec_lo
	v_mbcnt_lo_u32_b32 v0, s77, 0
	global_wb scope:SCOPE_DEV
	s_wait_storecnt 0x0
	s_wait_loadcnt_dscnt 0x0
	global_inv scope:SCOPE_DEV
	v_cmpx_eq_u32_e32 0, v0
	s_cbranch_execz .LBB12_1131
; %bb.1130:                             ;   in Loop: Header=BB12_307 Depth=3
	s_bcnt1_i32_b32 s77, s77
	s_delay_alu instid0(SALU_CYCLE_1)
	v_mov_b32_e32 v2, s77
	s_wait_loadcnt 0x0
	ds_add_u64 v0, v[2:3]
	s_trap 2
.LBB12_1131:                            ;   in Loop: Header=BB12_307 Depth=3
	s_or_b32 exec_lo, exec_lo, s41
	s_trap 2
	ds_load_b64 v[0:1], v0
	s_wait_dscnt 0x0
	v_add_nc_u64_e32 v[56:57], v[56:57], v[60:61]
	s_mov_b32 s41, exec_lo
	s_delay_alu instid0(VALU_DEP_1)
	v_cmpx_lt_u64_e64 v[0:1], v[56:57]
	s_cbranch_execz .LBB12_1140
; %bb.1132:                             ;   in Loop: Header=BB12_307 Depth=3
	s_mov_b32 s77, 0
	s_mov_b32 s88, 0
                                        ; implicit-def: $sgpr78
                                        ; implicit-def: $sgpr79
	s_branch .LBB12_1134
.LBB12_1133:                            ;   in Loop: Header=BB12_1134 Depth=4
	s_or_b32 exec_lo, exec_lo, s90
	s_delay_alu instid0(SALU_CYCLE_1) | instskip(NEXT) | instid1(SALU_CYCLE_1)
	s_and_b32 s89, exec_lo, s91
	s_or_b32 s77, s89, s77
	s_and_not1_b32 s78, s78, exec_lo
	s_and_b32 s89, s79, exec_lo
	s_delay_alu instid0(SALU_CYCLE_1)
	s_or_b32 s78, s78, s89
	s_and_not1_b32 exec_lo, exec_lo, s77
	s_cbranch_execz .LBB12_1138
.LBB12_1134:                            ;   Parent Loop BB12_47 Depth=1
                                        ;     Parent Loop BB12_304 Depth=2
                                        ;       Parent Loop BB12_307 Depth=3
                                        ; =>      This Inner Loop Header: Depth=4
	s_add_co_i32 s88, s88, 1
	s_delay_alu instid0(SALU_CYCLE_1) | instskip(SKIP_1) | instid1(SALU_CYCLE_1)
	s_cmp_lg_u32 s88, 0x2710
	s_cselect_b32 s89, -1, 0
	s_and_b32 vcc_lo, exec_lo, s89
	s_cbranch_vccz .LBB12_1136
; %bb.1135:                             ;   in Loop: Header=BB12_1134 Depth=4
	s_mov_b32 s91, -1
	s_or_b32 s79, s79, exec_lo
	s_and_saveexec_b32 s90, s89
	s_cbranch_execz .LBB12_1133
	s_branch .LBB12_1137
.LBB12_1136:                            ;   in Loop: Header=BB12_1134 Depth=4
	s_trap 2
	ds_load_b64 v[0:1], v0
	s_and_not1_b32 s89, s89, exec_lo
	s_mov_b32 s88, 0
	s_wait_loadcnt_dscnt 0x0
	flat_load_b32 v0, v[0:1] scope:SCOPE_SYS
	s_wait_loadcnt_dscnt 0x0
	global_inv scope:SCOPE_SYS
	v_cmp_eq_u32_e32 vcc_lo, 0, v0
	s_and_b32 s90, vcc_lo, exec_lo
	s_delay_alu instid0(SALU_CYCLE_1)
	s_or_b32 s89, s89, s90
	s_mov_b32 s91, -1
	s_or_b32 s79, s79, exec_lo
	s_wait_xcnt 0x0
	s_and_saveexec_b32 s90, s89
	s_cbranch_execz .LBB12_1133
.LBB12_1137:                            ;   in Loop: Header=BB12_1134 Depth=4
	s_sleep 1
	s_trap 2
	ds_load_b64 v[0:1], v0
	s_wait_dscnt 0x0
	s_and_not1_b32 s79, s79, exec_lo
	v_cmp_ge_u64_e32 vcc_lo, v[0:1], v[56:57]
	s_or_not1_b32 s91, vcc_lo, exec_lo
	s_branch .LBB12_1133
.LBB12_1138:                            ;   in Loop: Header=BB12_307 Depth=3
	s_or_b32 exec_lo, exec_lo, s77
	s_and_saveexec_b32 s77, s78
	s_delay_alu instid0(SALU_CYCLE_1)
	s_xor_b32 s77, exec_lo, s77
	s_cbranch_execz .LBB12_1140
; %bb.1139:                             ;   in Loop: Header=BB12_307 Depth=3
	v_mov_b32_e32 v0, 1
	ds_store_b32 v0, v0
	s_trap 2
.LBB12_1140:                            ;   in Loop: Header=BB12_307 Depth=3
	s_or_b32 exec_lo, exec_lo, s41
	;;#ASMSTART
	s_wakeup
	;;#ASMEND
.LBB12_1141:                            ;   in Loop: Header=BB12_307 Depth=3
	s_or_b32 exec_lo, exec_lo, s40
.LBB12_1142:                            ;   in Loop: Header=BB12_307 Depth=3
	s_and_not1_saveexec_b32 s15, s15
	s_cbranch_execz .LBB12_1144
; %bb.1143:                             ;   in Loop: Header=BB12_307 Depth=3
	global_wb scope:SCOPE_DEV
	s_wait_storecnt 0x0
	s_wait_loadcnt_dscnt 0x0
	global_inv scope:SCOPE_DEV
	s_barrier_signal -1
	s_barrier_wait -1
.LBB12_1144:                            ;   in Loop: Header=BB12_307 Depth=3
	s_or_b32 exec_lo, exec_lo, s15
	s_delay_alu instid0(SALU_CYCLE_1) | instskip(SKIP_1) | instid1(SALU_CYCLE_1)
	s_or_b32 exec_lo, exec_lo, s14
                                        ; implicit-def: $vgpr0
	s_and_saveexec_b32 s14, s10
	s_xor_b32 s14, exec_lo, s14
	s_cbranch_execnz .LBB12_383
.LBB12_1145:                            ;   in Loop: Header=BB12_307 Depth=3
	s_and_not1_saveexec_b32 s13, s14
	s_cbranch_execz .LBB12_1164
.LBB12_1146:                            ;   in Loop: Header=BB12_307 Depth=3
	s_and_saveexec_b32 s14, s3
	s_delay_alu instid0(SALU_CYCLE_1)
	s_xor_b32 s14, exec_lo, s14
	s_cbranch_execz .LBB12_1161
; %bb.1147:                             ;   in Loop: Header=BB12_307 Depth=3
	s_and_saveexec_b32 s15, s6
	s_cbranch_execz .LBB12_1160
; %bb.1148:                             ;   in Loop: Header=BB12_307 Depth=3
	s_mov_b32 s41, exec_lo
	s_mov_b32 s40, exec_lo
	v_mbcnt_lo_u32_b32 v0, s41, 0
	;;#ASMSTART
	s_waitcnt lgkmcnt(0) vmcnt(0)
	;;#ASMEND
	s_delay_alu instid0(VALU_DEP_1)
	v_cmpx_eq_u32_e32 0, v0
	s_cbranch_execz .LBB12_1150
; %bb.1149:                             ;   in Loop: Header=BB12_307 Depth=3
	s_bcnt1_i32_b32 s41, s41
	s_delay_alu instid0(SALU_CYCLE_1)
	v_mov_b32_e32 v2, s41
	s_wait_storecnt 0x0
	s_wait_loadcnt_dscnt 0x0
	ds_add_u64 v0, v[2:3]
	s_trap 2
.LBB12_1150:                            ;   in Loop: Header=BB12_307 Depth=3
	s_or_b32 exec_lo, exec_lo, s40
	s_trap 2
	ds_load_b64 v[0:1], v0
	s_wait_dscnt 0x0
	v_add_nc_u64_e32 v[56:57], v[56:57], v[60:61]
	s_mov_b32 s40, exec_lo
	s_delay_alu instid0(VALU_DEP_1)
	v_cmpx_lt_u64_e64 v[0:1], v[56:57]
	s_cbranch_execz .LBB12_1159
; %bb.1151:                             ;   in Loop: Header=BB12_307 Depth=3
	s_mov_b32 s41, 0
	s_mov_b32 s79, 0
                                        ; implicit-def: $sgpr77
                                        ; implicit-def: $sgpr78
	s_branch .LBB12_1153
.LBB12_1152:                            ;   in Loop: Header=BB12_1153 Depth=4
	s_or_b32 exec_lo, exec_lo, s89
	s_delay_alu instid0(SALU_CYCLE_1) | instskip(NEXT) | instid1(SALU_CYCLE_1)
	s_and_b32 s88, exec_lo, s90
	s_or_b32 s41, s88, s41
	s_and_not1_b32 s77, s77, exec_lo
	s_and_b32 s88, s78, exec_lo
	s_delay_alu instid0(SALU_CYCLE_1)
	s_or_b32 s77, s77, s88
	s_and_not1_b32 exec_lo, exec_lo, s41
	s_cbranch_execz .LBB12_1157
.LBB12_1153:                            ;   Parent Loop BB12_47 Depth=1
                                        ;     Parent Loop BB12_304 Depth=2
                                        ;       Parent Loop BB12_307 Depth=3
                                        ; =>      This Inner Loop Header: Depth=4
	s_add_co_i32 s79, s79, 1
	s_delay_alu instid0(SALU_CYCLE_1) | instskip(SKIP_1) | instid1(SALU_CYCLE_1)
	s_cmp_lg_u32 s79, 0x2710
	s_cselect_b32 s88, -1, 0
	s_and_b32 vcc_lo, exec_lo, s88
	s_cbranch_vccz .LBB12_1155
; %bb.1154:                             ;   in Loop: Header=BB12_1153 Depth=4
	s_mov_b32 s90, -1
	s_or_b32 s78, s78, exec_lo
	s_and_saveexec_b32 s89, s88
	s_cbranch_execz .LBB12_1152
	s_branch .LBB12_1156
.LBB12_1155:                            ;   in Loop: Header=BB12_1153 Depth=4
	s_trap 2
	ds_load_b64 v[0:1], v0
	s_and_not1_b32 s88, s88, exec_lo
	s_mov_b32 s79, 0
	s_wait_storecnt 0x0
	s_wait_loadcnt_dscnt 0x0
	flat_load_b32 v0, v[0:1] scope:SCOPE_SYS
	s_wait_loadcnt_dscnt 0x0
	global_inv scope:SCOPE_SYS
	v_cmp_eq_u32_e32 vcc_lo, 0, v0
	s_and_b32 s89, vcc_lo, exec_lo
	s_delay_alu instid0(SALU_CYCLE_1)
	s_or_b32 s88, s88, s89
	s_mov_b32 s90, -1
	s_or_b32 s78, s78, exec_lo
	s_wait_xcnt 0x0
	s_and_saveexec_b32 s89, s88
	s_cbranch_execz .LBB12_1152
.LBB12_1156:                            ;   in Loop: Header=BB12_1153 Depth=4
	s_sleep 1
	s_trap 2
	ds_load_b64 v[0:1], v0
	s_wait_dscnt 0x0
	s_and_not1_b32 s78, s78, exec_lo
	v_cmp_ge_u64_e32 vcc_lo, v[0:1], v[56:57]
	s_or_not1_b32 s90, vcc_lo, exec_lo
	s_branch .LBB12_1152
.LBB12_1157:                            ;   in Loop: Header=BB12_307 Depth=3
	s_or_b32 exec_lo, exec_lo, s41
	s_and_saveexec_b32 s41, s77
	s_delay_alu instid0(SALU_CYCLE_1)
	s_xor_b32 s41, exec_lo, s41
	s_cbranch_execz .LBB12_1159
; %bb.1158:                             ;   in Loop: Header=BB12_307 Depth=3
	v_mov_b32_e32 v0, 1
	ds_store_b32 v0, v0
	s_trap 2
.LBB12_1159:                            ;   in Loop: Header=BB12_307 Depth=3
	s_or_b32 exec_lo, exec_lo, s40
	;;#ASMSTART
	s_wakeup
	;;#ASMEND
.LBB12_1160:                            ;   in Loop: Header=BB12_307 Depth=3
	s_or_b32 exec_lo, exec_lo, s15
.LBB12_1161:                            ;   in Loop: Header=BB12_307 Depth=3
	s_and_not1_saveexec_b32 s14, s14
	s_cbranch_execz .LBB12_1163
; %bb.1162:                             ;   in Loop: Header=BB12_307 Depth=3
	;;#ASMSTART
	s_waitcnt lgkmcnt(0) vmcnt(0)
	;;#ASMEND
	s_barrier_signal -1
	s_barrier_wait -1
.LBB12_1163:                            ;   in Loop: Header=BB12_307 Depth=3
	s_or_b32 exec_lo, exec_lo, s14
	v_and_b32_e32 v0, 16, v126
.LBB12_1164:                            ;   in Loop: Header=BB12_307 Depth=3
	s_or_b32 exec_lo, exec_lo, s13
	s_delay_alu instid0(VALU_DEP_1) | instskip(SKIP_1) | instid1(SALU_CYCLE_1)
	v_cmp_ne_u32_e32 vcc_lo, 0, v0
	s_xor_b32 s13, s4, -1
	s_and_b32 s14, vcc_lo, s13
	s_delay_alu instid0(SALU_CYCLE_1)
	s_and_saveexec_b32 s13, s14
	s_cbranch_execz .LBB12_1166
; %bb.1165:                             ;   in Loop: Header=BB12_307 Depth=3
	scratch_load_b64 v[0:1], off, s33 offset:288 ; 8-byte Folded Reload
	v_mov_b32_e32 v2, 1
	global_wb scope:SCOPE_SYS
	s_wait_storecnt 0x0
	s_wait_xcnt 0x0
	s_wait_loadcnt_dscnt 0x0
	flat_store_b32 v[0:1], v2 scope:SCOPE_SYS
.LBB12_1166:                            ;   in Loop: Header=BB12_307 Depth=3
	s_wait_xcnt 0x0
	s_or_b32 exec_lo, exec_lo, s13
	v_and_b32_e32 v0, 48, v126
	s_mov_b32 s13, exec_lo
	s_delay_alu instid0(VALU_DEP_1)
	v_cmpx_ne_u32_e32 0, v0
	s_cbranch_execz .LBB12_306
; %bb.1167:                             ;   in Loop: Header=BB12_307 Depth=3
	v_add_nc_u64_e32 v[116:117], 2, v[116:117]
	global_wb scope:SCOPE_SYS
	s_wait_storecnt 0x0
	s_wait_loadcnt_dscnt 0x0
	flat_store_b64 v[40:41], v[116:117] scope:SCOPE_SYS
	s_branch .LBB12_306
.LBB12_1168:                            ;   in Loop: Header=BB12_304 Depth=2
	s_or_b32 exec_lo, exec_lo, s74
.LBB12_1169:                            ;   in Loop: Header=BB12_304 Depth=2
	s_delay_alu instid0(SALU_CYCLE_1) | instskip(NEXT) | instid1(SALU_CYCLE_1)
	s_or_b32 exec_lo, exec_lo, s27
	s_mov_b32 s14, exec_lo
	v_cmpx_gt_i32_e32 2, v0
	s_cbranch_execz .LBB12_303
; %bb.1170:                             ;   in Loop: Header=BB12_304 Depth=2
	v_cmp_eq_u32_e64 s27, 0, v0
	s_mov_b32 s15, 0
	s_branch .LBB12_1172
.LBB12_1171:                            ;   in Loop: Header=BB12_1172 Depth=3
	s_wait_xcnt 0x0
	s_or_b32 exec_lo, exec_lo, s13
	v_add_nc_u32_e32 v28, v4, v28
	s_mov_b32 s27, 0
	s_and_not1_b32 exec_lo, exec_lo, s15
	s_cbranch_execz .LBB12_302
.LBB12_1172:                            ;   Parent Loop BB12_47 Depth=1
                                        ;     Parent Loop BB12_304 Depth=2
                                        ; =>    This Loop Header: Depth=3
                                        ;         Child Loop BB12_1178 Depth 4
                                        ;         Child Loop BB12_1206 Depth 4
	;; [unrolled: 1-line block ×3, first 2 shown]
	s_delay_alu instid0(VALU_DEP_1) | instskip(SKIP_1) | instid1(VALU_DEP_1)
	v_dual_sub_nc_u32 v0, v30, v28 :: v_dual_bitop2_b32 v1, 12, v126 bitop3:0x40
	s_mov_b32 s40, exec_lo
	v_min_i32_e32 v4, v4, v0
	s_delay_alu instid0(VALU_DEP_2)
	v_cmpx_ne_u32_e32 0, v1
	s_cbranch_execz .LBB12_1198
; %bb.1173:                             ;   in Loop: Header=BB12_1172 Depth=3
	v_and_b32_e32 v2, 8, v126
	v_add_nc_u64_e32 v[0:1], 2, v[116:117]
	s_mov_b32 s41, exec_lo
	s_wait_dscnt 0x1
	s_delay_alu instid0(VALU_DEP_2) | instskip(NEXT) | instid1(VALU_DEP_1)
	v_add_nc_u64_e32 v[6:7], v[58:59], v[2:3]
	v_cmpx_lt_u64_e64 v[6:7], v[0:1]
	s_cbranch_execz .LBB12_1185
; %bb.1174:                             ;   in Loop: Header=BB12_1172 Depth=3
	v_and_b32_e32 v5, 64, v126
	s_mov_b32 s74, 0
	s_mov_b32 s78, 0
                                        ; implicit-def: $sgpr75
                                        ; implicit-def: $sgpr76
                                        ; implicit-def: $sgpr77
	s_delay_alu instid0(VALU_DEP_1)
	v_cmp_eq_u32_e32 vcc_lo, 0, v5
	s_branch .LBB12_1178
.LBB12_1175:                            ;   in Loop: Header=BB12_1178 Depth=4
	s_wait_loadcnt_dscnt 0x0
	v_add_nc_u64_e32 v[6:7], v[58:59], v[2:3]
	s_or_b32 s89, s89, exec_lo
	s_delay_alu instid0(VALU_DEP_1)
	v_cmp_ge_u64_e64 s13, v[6:7], v[0:1]
	s_or_not1_b32 s88, s13, exec_lo
.LBB12_1176:                            ;   in Loop: Header=BB12_1178 Depth=4
	s_or_b32 exec_lo, exec_lo, s91
	s_delay_alu instid0(SALU_CYCLE_1)
	s_and_not1_b32 s13, s77, exec_lo
	s_and_b32 s77, s89, exec_lo
	s_and_not1_b32 s76, s76, exec_lo
	s_and_b32 s88, s88, exec_lo
	s_or_b32 s77, s13, s77
	s_or_b32 s76, s76, s88
.LBB12_1177:                            ;   in Loop: Header=BB12_1178 Depth=4
	s_or_b32 exec_lo, exec_lo, s79
	s_delay_alu instid0(SALU_CYCLE_1) | instskip(NEXT) | instid1(SALU_CYCLE_1)
	s_and_b32 s13, exec_lo, s76
	s_or_b32 s74, s13, s74
	s_and_not1_b32 s13, s75, exec_lo
	s_and_b32 s75, s77, exec_lo
	s_delay_alu instid0(SALU_CYCLE_1)
	s_or_b32 s75, s13, s75
	s_and_not1_b32 exec_lo, exec_lo, s74
	s_cbranch_execz .LBB12_1182
.LBB12_1178:                            ;   Parent Loop BB12_47 Depth=1
                                        ;     Parent Loop BB12_304 Depth=2
                                        ;       Parent Loop BB12_1172 Depth=3
                                        ; =>      This Inner Loop Header: Depth=4
	s_sleep 1
	s_wait_loadcnt_dscnt 0x0
	flat_load_b64 v[58:59], v[40:41] scope:SCOPE_SYS
	s_or_b32 s77, s77, exec_lo
	s_or_b32 s76, s76, exec_lo
                                        ; implicit-def: $vgpr5
	s_wait_xcnt 0x0
	s_and_saveexec_b32 s79, vcc_lo
	s_cbranch_execz .LBB12_1177
; %bb.1179:                             ;   in Loop: Header=BB12_1178 Depth=4
	s_cmp_lt_i32 s78, 0x270f
	s_mov_b32 s88, -1
	s_cselect_b32 s90, -1, 0
	s_cmp_gt_i32 s78, 0x270e
	s_cbranch_scc0 .LBB12_1181
; %bb.1180:                             ;   in Loop: Header=BB12_1178 Depth=4
	s_trap 2
	ds_load_b64 v[6:7], v0
	s_and_not1_b32 s78, s90, exec_lo
	s_mov_b32 s89, 0
	s_wait_storecnt 0x0
	s_wait_loadcnt_dscnt 0x0
	flat_load_b32 v5, v[6:7] scope:SCOPE_SYS
	s_wait_loadcnt_dscnt 0x0
	global_inv scope:SCOPE_SYS
	v_cmp_eq_u32_e64 s13, 0, v5
	s_and_b32 s13, s13, exec_lo
	s_delay_alu instid0(SALU_CYCLE_1)
	s_or_b32 s90, s78, s13
	s_mov_b32 s78, 0
	s_wait_xcnt 0x0
	s_and_saveexec_b32 s91, s90
	s_cbranch_execz .LBB12_1176
	s_branch .LBB12_1175
.LBB12_1181:                            ;   in Loop: Header=BB12_1178 Depth=4
	s_add_co_i32 s78, s78, 1
	s_mov_b32 s89, -1
                                        ; implicit-def: $vgpr5
	s_and_saveexec_b32 s91, s90
	s_cbranch_execz .LBB12_1176
	s_branch .LBB12_1175
.LBB12_1182:                            ;   in Loop: Header=BB12_1172 Depth=3
	s_or_b32 exec_lo, exec_lo, s74
	s_xor_b32 s13, s75, -1
	s_delay_alu instid0(SALU_CYCLE_1) | instskip(NEXT) | instid1(SALU_CYCLE_1)
	s_and_saveexec_b32 s74, s13
	s_xor_b32 s13, exec_lo, s74
	s_cbranch_execz .LBB12_1184
; %bb.1183:                             ;   in Loop: Header=BB12_1172 Depth=3
	v_or_b32_e32 v126, 64, v126
	s_wait_storecnt 0x0
	s_wait_loadcnt_dscnt 0x0
	ds_store_b32 v0, v5
	s_trap 2
.LBB12_1184:                            ;   in Loop: Header=BB12_1172 Depth=3
	s_or_b32 exec_lo, exec_lo, s13
.LBB12_1185:                            ;   in Loop: Header=BB12_1172 Depth=3
	s_delay_alu instid0(SALU_CYCLE_1) | instskip(SKIP_3) | instid1(VALU_DEP_1)
	s_or_b32 exec_lo, exec_lo, s41
	v_and_b32_e32 v5, 0x108, v126
	s_mov_b32 s13, exec_lo
	;;#ASMSTART
	s_wakeup
	;;#ASMEND
                                        ; implicit-def: $vgpr8_vgpr9
	v_cmpx_ne_u32_e32 0x108, v5
	s_xor_b32 s13, exec_lo, s13
	s_cbranch_execz .LBB12_1187
; %bb.1186:                             ;   in Loop: Header=BB12_1172 Depth=3
	s_wait_loadcnt 0x0
	v_dual_mov_b32 v9, v3 :: v_dual_bitop2_b32 v8, 7, v116 bitop3:0x40
                                        ; implicit-def: $vgpr116_vgpr117
.LBB12_1187:                            ;   in Loop: Header=BB12_1172 Depth=3
	s_and_not1_saveexec_b32 s13, s13
	s_cbranch_execz .LBB12_1189
; %bb.1188:                             ;   in Loop: Header=BB12_1172 Depth=3
	scratch_load_b128 v[10:13], off, s33 offset:272 ; 16-byte Folded Reload
	s_wait_loadcnt 0x1
	v_dual_mov_b32 v9, v3 :: v_dual_bitop2_b32 v8, 7, v116 bitop3:0x40
	v_ashrrev_i32_e32 v5, 31, v4
	s_wait_loadcnt 0x0
	s_delay_alu instid0(VALU_DEP_2) | instskip(NEXT) | instid1(VALU_DEP_2)
	v_mad_nc_u64_u32 v[6:7], v8, 24, v[10:11]
	v_lshlrev_b64_e32 v[10:11], 1, v[4:5]
	flat_store_b64 v[6:7], v[10:11] offset:8
.LBB12_1189:                            ;   in Loop: Header=BB12_1172 Depth=3
	s_wait_xcnt 0x0
	s_or_b32 exec_lo, exec_lo, s13
	v_and_b32_e32 v5, 0x100, v126
	s_mov_b32 s13, -1
	s_mov_b32 s41, exec_lo
                                        ; implicit-def: $vgpr10_vgpr11
	s_delay_alu instid0(VALU_DEP_1)
	v_cmpx_ne_u32_e32 0, v5
	s_cbranch_execz .LBB12_1193
; %bb.1190:                             ;   in Loop: Header=BB12_1172 Depth=3
	scratch_load_b128 v[10:13], off, s33 offset:272 ; 16-byte Folded Reload
	s_mov_b32 s74, exec_lo
	s_wait_loadcnt 0x0
	v_mad_nc_u64_u32 v[12:13], v8, 24, v[10:11]
                                        ; implicit-def: $vgpr10_vgpr11
	s_delay_alu instid0(VALU_DEP_1)
	v_mad_u32 v13, v9, 24, v13
	flat_load_b32 v5, v[12:13]
	s_wait_loadcnt_dscnt 0x0
	v_cmp_ne_u32_e32 vcc_lo, 1, v5
	s_wait_xcnt 0x0
	v_cmpx_eq_u32_e32 1, v5
	s_cbranch_execz .LBB12_1192
; %bb.1191:                             ;   in Loop: Header=BB12_1172 Depth=3
	flat_load_b32 v6, v[12:13] offset:4 scope:SCOPE_SYS
	s_wait_loadcnt_dscnt 0x0
	v_ashrrev_i32_e32 v7, 31, v6
	s_delay_alu instid0(VALU_DEP_1)
	v_lshrrev_b64 v[10:11], 1, v[6:7]
.LBB12_1192:                            ;   in Loop: Header=BB12_1172 Depth=3
	s_wait_xcnt 0x0
	s_or_b32 exec_lo, exec_lo, s74
	s_delay_alu instid0(SALU_CYCLE_1)
	s_or_not1_b32 s13, vcc_lo, exec_lo
.LBB12_1193:                            ;   in Loop: Header=BB12_1172 Depth=3
	s_or_b32 exec_lo, exec_lo, s41
	s_and_saveexec_b32 s41, s13
	s_cbranch_execz .LBB12_1195
; %bb.1194:                             ;   in Loop: Header=BB12_1172 Depth=3
	scratch_load_b64 v[6:7], off, s33 offset:296 ; 8-byte Folded Reload
	s_wait_loadcnt 0x0
	v_mul_u64_e32 v[10:11], v[8:9], v[6:7]
.LBB12_1195:                            ;   in Loop: Header=BB12_1172 Depth=3
	s_wait_xcnt 0x0
	s_or_b32 exec_lo, exec_lo, s41
	scratch_load_b64 v[6:7], off, s33 offset:264 ; 8-byte Folded Reload
	v_cmp_eq_u32_e32 vcc_lo, 0, v2
	v_mov_b32_e32 v2, 0x90
	v_and_b32_e32 v5, 0x2000, v126
	s_mov_b32 s13, exec_lo
	s_delay_alu instid0(VALU_DEP_2) | instskip(NEXT) | instid1(VALU_DEP_1)
	v_cndmask_b32_e32 v2, 0xc8, v2, vcc_lo
	v_add_nc_u32_e32 v2, v0, v2
	s_wait_loadcnt 0x0
	v_lshl_add_u64 v[6:7], v[10:11], 1, v[6:7]
	ds_store_b64 v2, v[6:7] offset:584
	s_wait_xcnt 0x0
	v_cmpx_ne_u32_e32 0, v5
	s_cbranch_execz .LBB12_1197
; %bb.1196:                             ;   in Loop: Header=BB12_1172 Depth=3
	ds_load_b64 v[6:7], v0 offset:872
	s_wait_dscnt 0x0
	v_add_nc_u64_e32 v[6:7], 1, v[6:7]
	ds_store_b64 v0, v[6:7] offset:872
.LBB12_1197:                            ;   in Loop: Header=BB12_1172 Depth=3
	s_or_b32 exec_lo, exec_lo, s13
	v_mov_b64_e32 v[116:117], v[0:1]
.LBB12_1198:                            ;   in Loop: Header=BB12_1172 Depth=3
	s_or_b32 exec_lo, exec_lo, s40
	s_xor_b32 s13, s27, -1
	s_delay_alu instid0(SALU_CYCLE_1) | instskip(NEXT) | instid1(SALU_CYCLE_1)
	s_and_b32 s13, exec_lo, s13
	s_or_b32 s15, s13, s15
	s_and_saveexec_b32 s13, s2
	s_cbranch_execz .LBB12_1217
; %bb.1199:                             ;   in Loop: Header=BB12_1172 Depth=3
	s_and_saveexec_b32 s27, s3
	s_delay_alu instid0(SALU_CYCLE_1)
	s_xor_b32 s27, exec_lo, s27
	s_cbranch_execz .LBB12_1214
; %bb.1200:                             ;   in Loop: Header=BB12_1172 Depth=3
	s_and_saveexec_b32 s40, s6
	s_cbranch_execz .LBB12_1213
; %bb.1201:                             ;   in Loop: Header=BB12_1172 Depth=3
	s_mov_b32 s74, exec_lo
	s_mov_b32 s41, exec_lo
	v_mbcnt_lo_u32_b32 v0, s74, 0
	global_wb scope:SCOPE_DEV
	s_wait_storecnt 0x0
	s_wait_loadcnt_dscnt 0x0
	global_inv scope:SCOPE_DEV
	v_cmpx_eq_u32_e32 0, v0
	s_cbranch_execz .LBB12_1203
; %bb.1202:                             ;   in Loop: Header=BB12_1172 Depth=3
	s_bcnt1_i32_b32 s74, s74
	s_delay_alu instid0(SALU_CYCLE_1)
	v_mov_b32_e32 v2, s74
	s_wait_loadcnt 0x0
	ds_add_u64 v0, v[2:3]
	s_trap 2
.LBB12_1203:                            ;   in Loop: Header=BB12_1172 Depth=3
	s_or_b32 exec_lo, exec_lo, s41
	s_trap 2
	ds_load_b64 v[0:1], v0
	s_wait_dscnt 0x0
	v_add_nc_u64_e32 v[56:57], v[56:57], v[60:61]
	s_mov_b32 s41, exec_lo
	s_delay_alu instid0(VALU_DEP_1)
	v_cmpx_lt_u64_e64 v[0:1], v[56:57]
	s_cbranch_execz .LBB12_1212
; %bb.1204:                             ;   in Loop: Header=BB12_1172 Depth=3
	s_mov_b32 s74, 0
	s_mov_b32 s77, 0
                                        ; implicit-def: $sgpr75
                                        ; implicit-def: $sgpr76
	s_branch .LBB12_1206
.LBB12_1205:                            ;   in Loop: Header=BB12_1206 Depth=4
	s_or_b32 exec_lo, exec_lo, s79
	s_delay_alu instid0(SALU_CYCLE_1) | instskip(NEXT) | instid1(SALU_CYCLE_1)
	s_and_b32 s78, exec_lo, s88
	s_or_b32 s74, s78, s74
	s_and_not1_b32 s75, s75, exec_lo
	s_and_b32 s78, s76, exec_lo
	s_delay_alu instid0(SALU_CYCLE_1)
	s_or_b32 s75, s75, s78
	s_and_not1_b32 exec_lo, exec_lo, s74
	s_cbranch_execz .LBB12_1210
.LBB12_1206:                            ;   Parent Loop BB12_47 Depth=1
                                        ;     Parent Loop BB12_304 Depth=2
                                        ;       Parent Loop BB12_1172 Depth=3
                                        ; =>      This Inner Loop Header: Depth=4
	s_add_co_i32 s77, s77, 1
	s_delay_alu instid0(SALU_CYCLE_1) | instskip(SKIP_1) | instid1(SALU_CYCLE_1)
	s_cmp_lg_u32 s77, 0x2710
	s_cselect_b32 s78, -1, 0
	s_and_b32 vcc_lo, exec_lo, s78
	s_cbranch_vccz .LBB12_1208
; %bb.1207:                             ;   in Loop: Header=BB12_1206 Depth=4
	s_mov_b32 s88, -1
	s_or_b32 s76, s76, exec_lo
	s_and_saveexec_b32 s79, s78
	s_cbranch_execz .LBB12_1205
	s_branch .LBB12_1209
.LBB12_1208:                            ;   in Loop: Header=BB12_1206 Depth=4
	s_trap 2
	ds_load_b64 v[0:1], v0
	s_and_not1_b32 s78, s78, exec_lo
	s_mov_b32 s77, 0
	s_wait_loadcnt_dscnt 0x0
	flat_load_b32 v0, v[0:1] scope:SCOPE_SYS
	s_wait_loadcnt_dscnt 0x0
	global_inv scope:SCOPE_SYS
	v_cmp_eq_u32_e32 vcc_lo, 0, v0
	s_and_b32 s79, vcc_lo, exec_lo
	s_delay_alu instid0(SALU_CYCLE_1)
	s_or_b32 s78, s78, s79
	s_mov_b32 s88, -1
	s_or_b32 s76, s76, exec_lo
	s_wait_xcnt 0x0
	s_and_saveexec_b32 s79, s78
	s_cbranch_execz .LBB12_1205
.LBB12_1209:                            ;   in Loop: Header=BB12_1206 Depth=4
	s_sleep 1
	s_trap 2
	ds_load_b64 v[0:1], v0
	s_wait_dscnt 0x0
	s_and_not1_b32 s76, s76, exec_lo
	v_cmp_ge_u64_e32 vcc_lo, v[0:1], v[56:57]
	s_or_not1_b32 s88, vcc_lo, exec_lo
	s_branch .LBB12_1205
.LBB12_1210:                            ;   in Loop: Header=BB12_1172 Depth=3
	s_or_b32 exec_lo, exec_lo, s74
	s_and_saveexec_b32 s74, s75
	s_delay_alu instid0(SALU_CYCLE_1)
	s_xor_b32 s74, exec_lo, s74
	s_cbranch_execz .LBB12_1212
; %bb.1211:                             ;   in Loop: Header=BB12_1172 Depth=3
	v_mov_b32_e32 v0, 1
	ds_store_b32 v0, v0
	s_trap 2
.LBB12_1212:                            ;   in Loop: Header=BB12_1172 Depth=3
	s_or_b32 exec_lo, exec_lo, s41
	;;#ASMSTART
	s_wakeup
	;;#ASMEND
.LBB12_1213:                            ;   in Loop: Header=BB12_1172 Depth=3
	s_or_b32 exec_lo, exec_lo, s40
.LBB12_1214:                            ;   in Loop: Header=BB12_1172 Depth=3
	s_and_not1_saveexec_b32 s27, s27
	s_cbranch_execz .LBB12_1216
; %bb.1215:                             ;   in Loop: Header=BB12_1172 Depth=3
	global_wb scope:SCOPE_DEV
	s_wait_storecnt 0x0
	s_wait_loadcnt_dscnt 0x0
	global_inv scope:SCOPE_DEV
	s_barrier_signal -1
	s_barrier_wait -1
.LBB12_1216:                            ;   in Loop: Header=BB12_1172 Depth=3
	s_or_b32 exec_lo, exec_lo, s27
.LBB12_1217:                            ;   in Loop: Header=BB12_1172 Depth=3
	s_delay_alu instid0(SALU_CYCLE_1) | instskip(SKIP_1) | instid1(SALU_CYCLE_1)
	s_or_b32 exec_lo, exec_lo, s13
                                        ; implicit-def: $vgpr0
	s_and_saveexec_b32 s13, s61
	s_xor_b32 s13, exec_lo, s13
	s_cbranch_execz .LBB12_1229
; %bb.1218:                             ;   in Loop: Header=BB12_1172 Depth=3
	s_and_saveexec_b32 s27, s3
	s_delay_alu instid0(SALU_CYCLE_1)
	s_xor_b32 s27, exec_lo, s27
	s_cbranch_execz .LBB12_1234
; %bb.1219:                             ;   in Loop: Header=BB12_1172 Depth=3
	s_and_saveexec_b32 s40, s6
	s_cbranch_execz .LBB12_1233
; %bb.1220:                             ;   in Loop: Header=BB12_1172 Depth=3
	s_mov_b32 s74, exec_lo
	s_mov_b32 s41, exec_lo
	v_mbcnt_lo_u32_b32 v0, s74, 0
	;;#ASMSTART
	s_waitcnt lgkmcnt(0) vmcnt(0)
	;;#ASMEND
	s_delay_alu instid0(VALU_DEP_1)
	v_cmpx_eq_u32_e32 0, v0
	s_cbranch_execz .LBB12_1222
; %bb.1221:                             ;   in Loop: Header=BB12_1172 Depth=3
	s_bcnt1_i32_b32 s74, s74
	s_delay_alu instid0(SALU_CYCLE_1)
	v_mov_b32_e32 v2, s74
	s_wait_storecnt 0x0
	s_wait_loadcnt_dscnt 0x0
	ds_add_u64 v0, v[2:3]
	s_trap 2
.LBB12_1222:                            ;   in Loop: Header=BB12_1172 Depth=3
	s_or_b32 exec_lo, exec_lo, s41
	s_trap 2
	ds_load_b64 v[0:1], v0
	s_wait_dscnt 0x0
	v_add_nc_u64_e32 v[56:57], v[56:57], v[60:61]
	s_mov_b32 s41, exec_lo
	s_delay_alu instid0(VALU_DEP_1)
	v_cmpx_lt_u64_e64 v[0:1], v[56:57]
	s_cbranch_execz .LBB12_1232
; %bb.1223:                             ;   in Loop: Header=BB12_1172 Depth=3
	s_mov_b32 s74, 0
	s_mov_b32 s77, 0
                                        ; implicit-def: $sgpr75
                                        ; implicit-def: $sgpr76
	s_branch .LBB12_1225
.LBB12_1224:                            ;   in Loop: Header=BB12_1225 Depth=4
	s_or_b32 exec_lo, exec_lo, s79
	s_delay_alu instid0(SALU_CYCLE_1) | instskip(NEXT) | instid1(SALU_CYCLE_1)
	s_and_b32 s78, exec_lo, s88
	s_or_b32 s74, s78, s74
	s_and_not1_b32 s75, s75, exec_lo
	s_and_b32 s78, s76, exec_lo
	s_delay_alu instid0(SALU_CYCLE_1)
	s_or_b32 s75, s75, s78
	s_and_not1_b32 exec_lo, exec_lo, s74
	s_cbranch_execz .LBB12_1230
.LBB12_1225:                            ;   Parent Loop BB12_47 Depth=1
                                        ;     Parent Loop BB12_304 Depth=2
                                        ;       Parent Loop BB12_1172 Depth=3
                                        ; =>      This Inner Loop Header: Depth=4
	s_add_co_i32 s77, s77, 1
	s_delay_alu instid0(SALU_CYCLE_1) | instskip(SKIP_1) | instid1(SALU_CYCLE_1)
	s_cmp_lg_u32 s77, 0x2710
	s_cselect_b32 s78, -1, 0
	s_and_b32 vcc_lo, exec_lo, s78
	s_cbranch_vccz .LBB12_1227
; %bb.1226:                             ;   in Loop: Header=BB12_1225 Depth=4
	s_mov_b32 s88, -1
	s_or_b32 s76, s76, exec_lo
	s_and_saveexec_b32 s79, s78
	s_cbranch_execz .LBB12_1224
	s_branch .LBB12_1228
.LBB12_1227:                            ;   in Loop: Header=BB12_1225 Depth=4
	s_trap 2
	ds_load_b64 v[0:1], v0
	s_and_not1_b32 s78, s78, exec_lo
	s_mov_b32 s77, 0
	s_wait_storecnt 0x0
	s_wait_loadcnt_dscnt 0x0
	flat_load_b32 v0, v[0:1] scope:SCOPE_SYS
	s_wait_loadcnt_dscnt 0x0
	global_inv scope:SCOPE_SYS
	v_cmp_eq_u32_e32 vcc_lo, 0, v0
	s_and_b32 s79, vcc_lo, exec_lo
	s_delay_alu instid0(SALU_CYCLE_1)
	s_or_b32 s78, s78, s79
	s_mov_b32 s88, -1
	s_or_b32 s76, s76, exec_lo
	s_wait_xcnt 0x0
	s_and_saveexec_b32 s79, s78
	s_cbranch_execz .LBB12_1224
.LBB12_1228:                            ;   in Loop: Header=BB12_1225 Depth=4
	s_sleep 1
	s_trap 2
	ds_load_b64 v[0:1], v0
	s_wait_dscnt 0x0
	s_and_not1_b32 s76, s76, exec_lo
	v_cmp_ge_u64_e32 vcc_lo, v[0:1], v[56:57]
	s_or_not1_b32 s88, vcc_lo, exec_lo
	s_branch .LBB12_1224
.LBB12_1229:                            ;   in Loop: Header=BB12_1172 Depth=3
	s_and_not1_saveexec_b32 s27, s13
	s_cbranch_execnz .LBB12_1237
	s_branch .LBB12_1240
.LBB12_1230:                            ;   in Loop: Header=BB12_1172 Depth=3
	s_or_b32 exec_lo, exec_lo, s74
	s_and_saveexec_b32 s74, s75
	s_delay_alu instid0(SALU_CYCLE_1)
	s_xor_b32 s74, exec_lo, s74
	s_cbranch_execz .LBB12_1232
; %bb.1231:                             ;   in Loop: Header=BB12_1172 Depth=3
	v_mov_b32_e32 v0, 1
	ds_store_b32 v0, v0
	s_trap 2
.LBB12_1232:                            ;   in Loop: Header=BB12_1172 Depth=3
	s_or_b32 exec_lo, exec_lo, s41
	;;#ASMSTART
	s_wakeup
	;;#ASMEND
.LBB12_1233:                            ;   in Loop: Header=BB12_1172 Depth=3
	s_or_b32 exec_lo, exec_lo, s40
.LBB12_1234:                            ;   in Loop: Header=BB12_1172 Depth=3
	s_and_not1_saveexec_b32 s27, s27
	s_cbranch_execz .LBB12_1236
; %bb.1235:                             ;   in Loop: Header=BB12_1172 Depth=3
	;;#ASMSTART
	s_waitcnt lgkmcnt(0) vmcnt(0)
	;;#ASMEND
	s_barrier_signal -1
	s_barrier_wait -1
.LBB12_1236:                            ;   in Loop: Header=BB12_1172 Depth=3
	s_or_b32 exec_lo, exec_lo, s27
	v_and_b32_e32 v0, 16, v126
	s_and_not1_saveexec_b32 s27, s13
	s_cbranch_execz .LBB12_1240
.LBB12_1237:                            ;   in Loop: Header=BB12_1172 Depth=3
	s_trap 2
	ds_load_b32 v0, v0
	v_cmp_lt_i32_e32 vcc_lo, 0, v4
	s_wait_dscnt 0x0
	v_readfirstlane_b32 s13, v0
	v_and_b32_e32 v0, 16, v126
	s_cmp_eq_u32 s13, 0
	s_delay_alu instid0(VALU_DEP_1) | instskip(SKIP_3) | instid1(SALU_CYCLE_1)
	v_cmp_ne_u32_e64 s13, 0, v0
	s_cselect_b32 s40, -1, 0
	v_and_b32_e32 v0, 16, v126
	s_and_b32 s40, vcc_lo, s40
	s_and_b32 s40, s13, s40
	s_delay_alu instid0(SALU_CYCLE_1)
	s_and_saveexec_b32 s13, s40
	s_cbranch_execz .LBB12_1239
; %bb.1238:                             ;   in Loop: Header=BB12_1172 Depth=3
	v_mov_b32_e32 v0, 1
	global_wb scope:SCOPE_SYS
	s_wait_loadcnt 0x0
	s_wait_storecnt 0x0
	global_inv scope:SCOPE_SYS
.LBB12_1239:                            ;   in Loop: Header=BB12_1172 Depth=3
	s_or_b32 exec_lo, exec_lo, s13
.LBB12_1240:                            ;   in Loop: Header=BB12_1172 Depth=3
	s_delay_alu instid0(SALU_CYCLE_1) | instskip(NEXT) | instid1(VALU_DEP_1)
	s_or_b32 exec_lo, exec_lo, s27
	v_cmp_ne_u32_e32 vcc_lo, 0, v0
	s_xor_b32 s13, s4, -1
	s_delay_alu instid0(SALU_CYCLE_1) | instskip(NEXT) | instid1(SALU_CYCLE_1)
	s_and_b32 s27, vcc_lo, s13
	s_and_saveexec_b32 s13, s27
	s_cbranch_execz .LBB12_1242
; %bb.1241:                             ;   in Loop: Header=BB12_1172 Depth=3
	scratch_load_b64 v[0:1], off, s33 offset:288 ; 8-byte Folded Reload
	v_mov_b32_e32 v2, 1
	global_wb scope:SCOPE_SYS
	s_wait_storecnt 0x0
	s_wait_xcnt 0x0
	s_wait_loadcnt_dscnt 0x0
	flat_store_b32 v[0:1], v2 scope:SCOPE_SYS
.LBB12_1242:                            ;   in Loop: Header=BB12_1172 Depth=3
	s_wait_xcnt 0x0
	s_or_b32 exec_lo, exec_lo, s13
	v_and_b32_e32 v0, 48, v126
	s_mov_b32 s13, exec_lo
	s_delay_alu instid0(VALU_DEP_1)
	v_cmpx_ne_u32_e32 0, v0
	s_cbranch_execz .LBB12_1171
; %bb.1243:                             ;   in Loop: Header=BB12_1172 Depth=3
	v_add_nc_u64_e32 v[116:117], 2, v[116:117]
	global_wb scope:SCOPE_SYS
	s_wait_storecnt 0x0
	s_wait_loadcnt_dscnt 0x0
	flat_store_b64 v[40:41], v[116:117] scope:SCOPE_SYS
	s_branch .LBB12_1171
.LBB12_1244:                            ;   in Loop: Header=BB12_47 Depth=1
	s_clause 0x1
	scratch_load_b64 v[6:7], off, s33 offset:352
	scratch_load_b64 v[4:5], off, s33 offset:344
	v_mov_b32_e32 v74, 0
	s_wait_loadcnt 0x1
	v_mul_u64_e32 v[0:1], s[16:17], v[6:7]
	s_wait_loadcnt 0x0
	s_delay_alu instid0(VALU_DEP_1) | instskip(NEXT) | instid1(VALU_DEP_1)
	v_sub_nc_u64_e32 v[4:5], v[4:5], v[0:1]
	v_min_i64 v[4:5], v[6:7], v[4:5]
	s_delay_alu instid0(VALU_DEP_1) | instskip(SKIP_1) | instid1(VALU_DEP_2)
	v_max_i32_e32 v30, 0, v4
	v_cmp_lt_i32_e32 vcc_lo, 0, v4
	v_add_nc_u32_e32 v2, 31, v30
	s_and_b32 s13, s63, vcc_lo
	s_delay_alu instid0(VALU_DEP_1) | instskip(NEXT) | instid1(VALU_DEP_1)
	v_lshrrev_b32_e32 v2, 1, v2
	v_and_b32_e32 v5, 0x3ffffff0, v2
	s_delay_alu instid0(VALU_DEP_1)
	v_dual_mov_b32 v2, 0 :: v_dual_max_i32 v28, s45, v5
	s_wait_xcnt 0x0
	s_and_saveexec_b32 s18, s13
	s_cbranch_execz .LBB12_2873
; %bb.1245:                             ;   in Loop: Header=BB12_47 Depth=1
	scratch_load_b64 v[4:5], off, s33 offset:320 ; 8-byte Folded Reload
	v_mov_b32_e32 v74, 0
	s_mov_b32 s75, 1
	s_mov_b32 s74, -1
	s_mov_b32 s27, 0
	s_wait_loadcnt 0x0
	v_add_nc_u64_e32 v[0:1], v[0:1], v[4:5]
	s_delay_alu instid0(VALU_DEP_1)
	v_lshlrev_b64_e32 v[124:125], 1, v[0:1]
	scratch_store_b64 off, v[124:125], s33 offset:388 ; 8-byte Folded Spill
	s_branch .LBB12_1247
.LBB12_1246:                            ;   in Loop: Header=BB12_1247 Depth=2
	s_wait_xcnt 0x0
	s_or_b32 exec_lo, exec_lo, s13
	v_dual_add_nc_u32 v74, v28, v74 :: v_dual_mov_b32 v2, s75
	s_xor_b32 s13, s74, -1
	s_mov_b32 s74, 0
	s_mov_b32 s75, 2
	s_delay_alu instid0(VALU_DEP_1) | instskip(SKIP_1) | instid1(SALU_CYCLE_1)
	v_cmp_ge_i32_e32 vcc_lo, v74, v30
	s_or_b32 s13, s13, vcc_lo
	s_and_b32 s13, exec_lo, s13
	s_delay_alu instid0(SALU_CYCLE_1) | instskip(NEXT) | instid1(SALU_CYCLE_1)
	s_or_b32 s27, s13, s27
	s_and_not1_b32 exec_lo, exec_lo, s27
	s_cbranch_execz .LBB12_2872
.LBB12_1247:                            ;   Parent Loop BB12_47 Depth=1
                                        ; =>  This Loop Header: Depth=2
                                        ;       Child Loop BB12_1255 Depth 3
                                        ;       Child Loop BB12_1283 Depth 3
	;; [unrolled: 1-line block ×5, first 2 shown]
                                        ;         Child Loop BB12_1726 Depth 4
                                        ;         Child Loop BB12_1761 Depth 4
                                        ;         Child Loop BB12_1765 Depth 4
                                        ;         Child Loop BB12_1799 Depth 4
                                        ;       Child Loop BB12_1837 Depth 3
                                        ;       Child Loop BB12_1845 Depth 3
	;; [unrolled: 1-line block ×3, first 2 shown]
                                        ;         Child Loop BB12_2051 Depth 4
                                        ;         Child Loop BB12_2058 Depth 4
	;; [unrolled: 1-line block ×4, first 2 shown]
                                        ;       Child Loop BB12_2077 Depth 3
                                        ;       Child Loop BB12_2089 Depth 3
	;; [unrolled: 1-line block ×3, first 2 shown]
                                        ;         Child Loop BB12_2488 Depth 4
                                        ;         Child Loop BB12_2525 Depth 4
                                        ;       Child Loop BB12_2602 Depth 3
                                        ;       Child Loop BB12_2805 Depth 3
                                        ;         Child Loop BB12_2806 Depth 4
                                        ;         Child Loop BB12_2815 Depth 4
                                        ;       Child Loop BB12_2834 Depth 3
                                        ;       Child Loop BB12_2857 Depth 3
	s_wait_xcnt 0x0
	s_and_saveexec_b32 s13, s0
	s_cbranch_execz .LBB12_1249
; %bb.1248:                             ;   in Loop: Header=BB12_1247 Depth=2
	s_trap 2
	ds_load_b64 v[0:1], v0
	s_wait_dscnt 0x0
	ds_load_2addr_b64 v[4:7], v0 offset1:1
	v_cmp_ne_u64_e32 vcc_lo, 0, v[0:1]
	v_ashrrev_i32_e32 v75, 31, v74
	v_add_nc_u64_e32 v[10:11], v[0:1], v[124:125]
	s_delay_alu instid0(VALU_DEP_2) | instskip(NEXT) | instid1(VALU_DEP_1)
	v_lshlrev_b64_e32 v[8:9], 1, v[74:75]
	v_add_nc_u64_e32 v[10:11], v[10:11], v[8:9]
	s_wait_dscnt 0x0
	v_add_nc_u64_e32 v[4:5], v[4:5], v[124:125]
	v_add_nc_u64_e32 v[6:7], v[6:7], v[124:125]
	s_delay_alu instid0(VALU_DEP_2) | instskip(NEXT) | instid1(VALU_DEP_2)
	v_add_nc_u64_e32 v[0:1], v[4:5], v[8:9]
	v_add_nc_u64_e32 v[4:5], v[6:7], v[8:9]
	v_dual_cndmask_b32 v7, 0, v11 :: v_dual_cndmask_b32 v6, 0, v10
	ds_store_b64 v0, v[0:1]
	ds_store_b64 v0, v[4:5]
	;; [unrolled: 1-line block ×3, first 2 shown]
.LBB12_1249:                            ;   in Loop: Header=BB12_1247 Depth=2
	s_or_b32 exec_lo, exec_lo, s13
	v_sub_nc_u32_e32 v0, v30, v74
	v_and_b32_e32 v1, 12, v126
	s_mov_b32 s14, exec_lo
	s_delay_alu instid0(VALU_DEP_2) | instskip(NEXT) | instid1(VALU_DEP_2)
	v_min_i32_e32 v28, v28, v0
	v_cmpx_ne_u32_e32 0, v1
	s_cbranch_execz .LBB12_1275
; %bb.1250:                             ;   in Loop: Header=BB12_1247 Depth=2
	v_and_b32_e32 v2, 8, v126
	v_add_nc_u64_e32 v[0:1], 2, v[116:117]
	s_mov_b32 s15, exec_lo
	s_wait_dscnt 0x1
	s_delay_alu instid0(VALU_DEP_2) | instskip(NEXT) | instid1(VALU_DEP_1)
	v_add_nc_u64_e32 v[4:5], v[58:59], v[2:3]
	v_cmpx_lt_u64_e64 v[4:5], v[0:1]
	s_cbranch_execz .LBB12_1262
; %bb.1251:                             ;   in Loop: Header=BB12_1247 Depth=2
	v_and_b32_e32 v4, 64, v126
	s_mov_b32 s40, 0
	s_mov_b32 s78, 0
                                        ; implicit-def: $sgpr41
                                        ; implicit-def: $sgpr76
                                        ; implicit-def: $sgpr77
	s_delay_alu instid0(VALU_DEP_1)
	v_cmp_eq_u32_e32 vcc_lo, 0, v4
	s_branch .LBB12_1255
.LBB12_1252:                            ;   in Loop: Header=BB12_1255 Depth=3
	s_wait_loadcnt_dscnt 0x0
	v_add_nc_u64_e32 v[6:7], v[58:59], v[2:3]
	s_or_b32 s89, s89, exec_lo
	s_delay_alu instid0(VALU_DEP_1)
	v_cmp_ge_u64_e64 s13, v[6:7], v[0:1]
	s_or_not1_b32 s88, s13, exec_lo
.LBB12_1253:                            ;   in Loop: Header=BB12_1255 Depth=3
	s_or_b32 exec_lo, exec_lo, s91
	s_delay_alu instid0(SALU_CYCLE_1)
	s_and_not1_b32 s13, s77, exec_lo
	s_and_b32 s77, s89, exec_lo
	s_and_not1_b32 s76, s76, exec_lo
	s_and_b32 s88, s88, exec_lo
	s_or_b32 s77, s13, s77
	s_or_b32 s76, s76, s88
.LBB12_1254:                            ;   in Loop: Header=BB12_1255 Depth=3
	s_or_b32 exec_lo, exec_lo, s79
	s_delay_alu instid0(SALU_CYCLE_1) | instskip(NEXT) | instid1(SALU_CYCLE_1)
	s_and_b32 s13, exec_lo, s76
	s_or_b32 s40, s13, s40
	s_and_not1_b32 s13, s41, exec_lo
	s_and_b32 s41, s77, exec_lo
	s_delay_alu instid0(SALU_CYCLE_1)
	s_or_b32 s41, s13, s41
	s_and_not1_b32 exec_lo, exec_lo, s40
	s_cbranch_execz .LBB12_1259
.LBB12_1255:                            ;   Parent Loop BB12_47 Depth=1
                                        ;     Parent Loop BB12_1247 Depth=2
                                        ; =>    This Inner Loop Header: Depth=3
	s_sleep 1
	s_wait_loadcnt_dscnt 0x0
	flat_load_b64 v[58:59], v[40:41] scope:SCOPE_SYS
	s_or_b32 s77, s77, exec_lo
	s_or_b32 s76, s76, exec_lo
                                        ; implicit-def: $vgpr4
	s_wait_xcnt 0x0
	s_and_saveexec_b32 s79, vcc_lo
	s_cbranch_execz .LBB12_1254
; %bb.1256:                             ;   in Loop: Header=BB12_1255 Depth=3
	s_cmp_lt_i32 s78, 0x270f
	s_mov_b32 s88, -1
	s_cselect_b32 s90, -1, 0
	s_cmp_gt_i32 s78, 0x270e
	s_cbranch_scc0 .LBB12_1258
; %bb.1257:                             ;   in Loop: Header=BB12_1255 Depth=3
	s_trap 2
	ds_load_b64 v[4:5], v0
	s_and_not1_b32 s78, s90, exec_lo
	s_mov_b32 s89, 0
	s_wait_storecnt 0x0
	s_wait_loadcnt_dscnt 0x0
	flat_load_b32 v4, v[4:5] scope:SCOPE_SYS
	s_wait_loadcnt_dscnt 0x0
	global_inv scope:SCOPE_SYS
	v_cmp_eq_u32_e64 s13, 0, v4
	s_and_b32 s13, s13, exec_lo
	s_delay_alu instid0(SALU_CYCLE_1)
	s_or_b32 s90, s78, s13
	s_mov_b32 s78, 0
	s_wait_xcnt 0x0
	s_and_saveexec_b32 s91, s90
	s_cbranch_execz .LBB12_1253
	s_branch .LBB12_1252
.LBB12_1258:                            ;   in Loop: Header=BB12_1255 Depth=3
	s_add_co_i32 s78, s78, 1
	s_mov_b32 s89, -1
                                        ; implicit-def: $vgpr4
	s_and_saveexec_b32 s91, s90
	s_cbranch_execz .LBB12_1253
	s_branch .LBB12_1252
.LBB12_1259:                            ;   in Loop: Header=BB12_1247 Depth=2
	s_or_b32 exec_lo, exec_lo, s40
	s_xor_b32 s13, s41, -1
	s_delay_alu instid0(SALU_CYCLE_1) | instskip(NEXT) | instid1(SALU_CYCLE_1)
	s_and_saveexec_b32 s40, s13
	s_xor_b32 s13, exec_lo, s40
	s_cbranch_execz .LBB12_1261
; %bb.1260:                             ;   in Loop: Header=BB12_1247 Depth=2
	v_or_b32_e32 v126, 64, v126
	s_wait_storecnt 0x0
	s_wait_loadcnt_dscnt 0x0
	ds_store_b32 v0, v4
	s_trap 2
.LBB12_1261:                            ;   in Loop: Header=BB12_1247 Depth=2
	s_or_b32 exec_lo, exec_lo, s13
.LBB12_1262:                            ;   in Loop: Header=BB12_1247 Depth=2
	s_delay_alu instid0(SALU_CYCLE_1) | instskip(SKIP_2) | instid1(VALU_DEP_1)
	s_or_b32 exec_lo, exec_lo, s15
	v_and_b32_e32 v4, 0x108, v126
	;;#ASMSTART
	s_wakeup
	;;#ASMEND
	v_cmp_ne_u32_e32 vcc_lo, 0x108, v4
	v_and_b32_e32 v4, 7, v116
	s_and_saveexec_b32 s13, vcc_lo
	s_delay_alu instid0(SALU_CYCLE_1)
	s_xor_b32 s13, exec_lo, s13
; %bb.1263:                             ;   in Loop: Header=BB12_1247 Depth=2
	v_mov_b32_e32 v5, v3
; %bb.1264:                             ;   in Loop: Header=BB12_1247 Depth=2
	s_and_not1_saveexec_b32 s13, s13
	s_cbranch_execz .LBB12_1266
; %bb.1265:                             ;   in Loop: Header=BB12_1247 Depth=2
	scratch_load_b128 v[6:9], off, s33 offset:272 ; 16-byte Folded Reload
	v_dual_ashrrev_i32 v29, 31, v28 :: v_dual_mov_b32 v5, v3
	s_wait_loadcnt 0x0
	s_delay_alu instid0(VALU_DEP_1)
	v_lshlrev_b64_e32 v[8:9], 1, v[28:29]
	v_mad_nc_u64_u32 v[6:7], v4, 24, v[6:7]
	flat_store_b64 v[6:7], v[8:9] offset:8
.LBB12_1266:                            ;   in Loop: Header=BB12_1247 Depth=2
	s_wait_xcnt 0x0
	s_or_b32 exec_lo, exec_lo, s13
	v_and_b32_e32 v6, 0x100, v126
	s_mov_b32 s13, -1
	s_mov_b32 s15, exec_lo
                                        ; implicit-def: $vgpr8_vgpr9
	s_delay_alu instid0(VALU_DEP_1)
	v_cmpx_ne_u32_e32 0, v6
	s_cbranch_execz .LBB12_1270
; %bb.1267:                             ;   in Loop: Header=BB12_1247 Depth=2
	scratch_load_b128 v[6:9], off, s33 offset:272 ; 16-byte Folded Reload
	s_mov_b32 s40, exec_lo
                                        ; implicit-def: $vgpr8_vgpr9
	s_wait_loadcnt 0x0
	v_mad_nc_u64_u32 v[10:11], v4, 24, v[6:7]
	s_delay_alu instid0(VALU_DEP_1)
	v_mad_u32 v11, v5, 24, v11
	flat_load_b32 v6, v[10:11]
	s_wait_loadcnt_dscnt 0x0
	v_cmp_ne_u32_e32 vcc_lo, 1, v6
	s_wait_xcnt 0x0
	v_cmpx_eq_u32_e32 1, v6
	s_cbranch_execz .LBB12_1269
; %bb.1268:                             ;   in Loop: Header=BB12_1247 Depth=2
	flat_load_b32 v6, v[10:11] offset:4 scope:SCOPE_SYS
	s_wait_loadcnt_dscnt 0x0
	v_ashrrev_i32_e32 v7, 31, v6
	s_delay_alu instid0(VALU_DEP_1)
	v_lshrrev_b64 v[8:9], 1, v[6:7]
.LBB12_1269:                            ;   in Loop: Header=BB12_1247 Depth=2
	s_wait_xcnt 0x0
	s_or_b32 exec_lo, exec_lo, s40
	s_delay_alu instid0(SALU_CYCLE_1)
	s_or_not1_b32 s13, vcc_lo, exec_lo
.LBB12_1270:                            ;   in Loop: Header=BB12_1247 Depth=2
	s_or_b32 exec_lo, exec_lo, s15
	s_and_saveexec_b32 s15, s13
	s_cbranch_execz .LBB12_1272
; %bb.1271:                             ;   in Loop: Header=BB12_1247 Depth=2
	scratch_load_b64 v[6:7], off, s33 offset:296 ; 8-byte Folded Reload
	s_wait_loadcnt 0x0
	v_mul_u64_e32 v[8:9], v[4:5], v[6:7]
.LBB12_1272:                            ;   in Loop: Header=BB12_1247 Depth=2
	s_wait_xcnt 0x0
	s_or_b32 exec_lo, exec_lo, s15
	scratch_load_b64 v[4:5], off, s33 offset:264 ; 8-byte Folded Reload
	v_cmp_eq_u32_e32 vcc_lo, 0, v2
	v_mov_b32_e32 v2, 0x90
	v_and_b32_e32 v6, 0x2000, v126
	s_mov_b32 s13, exec_lo
	s_delay_alu instid0(VALU_DEP_2) | instskip(NEXT) | instid1(VALU_DEP_1)
	v_cndmask_b32_e32 v2, 0xd0, v2, vcc_lo
	v_add_nc_u32_e32 v2, v0, v2
	s_wait_loadcnt 0x0
	v_lshl_add_u64 v[4:5], v[8:9], 1, v[4:5]
	ds_store_b64 v2, v[4:5] offset:584
	s_wait_xcnt 0x0
	v_cmpx_ne_u32_e32 0, v6
	s_cbranch_execz .LBB12_1274
; %bb.1273:                             ;   in Loop: Header=BB12_1247 Depth=2
	ds_load_b64 v[4:5], v0 offset:872
	s_wait_dscnt 0x0
	v_add_nc_u64_e32 v[4:5], 1, v[4:5]
	ds_store_b64 v0, v[4:5] offset:872
.LBB12_1274:                            ;   in Loop: Header=BB12_1247 Depth=2
	s_or_b32 exec_lo, exec_lo, s13
	v_mov_b64_e32 v[116:117], v[0:1]
.LBB12_1275:                            ;   in Loop: Header=BB12_1247 Depth=2
	s_or_b32 exec_lo, exec_lo, s14
	s_and_saveexec_b32 s13, s2
	s_cbranch_execz .LBB12_1294
; %bb.1276:                             ;   in Loop: Header=BB12_1247 Depth=2
	s_and_saveexec_b32 s14, s3
	s_delay_alu instid0(SALU_CYCLE_1)
	s_xor_b32 s14, exec_lo, s14
	s_cbranch_execz .LBB12_1291
; %bb.1277:                             ;   in Loop: Header=BB12_1247 Depth=2
	s_and_saveexec_b32 s15, s6
	s_cbranch_execz .LBB12_1290
; %bb.1278:                             ;   in Loop: Header=BB12_1247 Depth=2
	s_mov_b32 s41, exec_lo
	s_mov_b32 s40, exec_lo
	v_mbcnt_lo_u32_b32 v0, s41, 0
	global_wb scope:SCOPE_DEV
	s_wait_storecnt_dscnt 0x0
	global_inv scope:SCOPE_DEV
	v_cmpx_eq_u32_e32 0, v0
	s_cbranch_execz .LBB12_1280
; %bb.1279:                             ;   in Loop: Header=BB12_1247 Depth=2
	s_bcnt1_i32_b32 s41, s41
	s_delay_alu instid0(SALU_CYCLE_1)
	v_mov_b32_e32 v2, s41
	s_wait_loadcnt 0x0
	ds_add_u64 v0, v[2:3]
	s_trap 2
.LBB12_1280:                            ;   in Loop: Header=BB12_1247 Depth=2
	s_or_b32 exec_lo, exec_lo, s40
	s_trap 2
	ds_load_b64 v[0:1], v0
	s_wait_dscnt 0x0
	v_add_nc_u64_e32 v[56:57], v[56:57], v[60:61]
	s_mov_b32 s40, exec_lo
	s_delay_alu instid0(VALU_DEP_1)
	v_cmpx_lt_u64_e64 v[0:1], v[56:57]
	s_cbranch_execz .LBB12_1289
; %bb.1281:                             ;   in Loop: Header=BB12_1247 Depth=2
	s_mov_b32 s41, 0
	s_mov_b32 s78, 0
                                        ; implicit-def: $sgpr76
                                        ; implicit-def: $sgpr77
	s_branch .LBB12_1283
.LBB12_1282:                            ;   in Loop: Header=BB12_1283 Depth=3
	s_or_b32 exec_lo, exec_lo, s88
	s_delay_alu instid0(SALU_CYCLE_1) | instskip(NEXT) | instid1(SALU_CYCLE_1)
	s_and_b32 s79, exec_lo, s89
	s_or_b32 s41, s79, s41
	s_and_not1_b32 s76, s76, exec_lo
	s_and_b32 s79, s77, exec_lo
	s_delay_alu instid0(SALU_CYCLE_1)
	s_or_b32 s76, s76, s79
	s_and_not1_b32 exec_lo, exec_lo, s41
	s_cbranch_execz .LBB12_1287
.LBB12_1283:                            ;   Parent Loop BB12_47 Depth=1
                                        ;     Parent Loop BB12_1247 Depth=2
                                        ; =>    This Inner Loop Header: Depth=3
	s_add_co_i32 s78, s78, 1
	s_delay_alu instid0(SALU_CYCLE_1) | instskip(SKIP_1) | instid1(SALU_CYCLE_1)
	s_cmp_lg_u32 s78, 0x2710
	s_cselect_b32 s79, -1, 0
	s_and_b32 vcc_lo, exec_lo, s79
	s_cbranch_vccz .LBB12_1285
; %bb.1284:                             ;   in Loop: Header=BB12_1283 Depth=3
	s_mov_b32 s89, -1
	s_or_b32 s77, s77, exec_lo
	s_and_saveexec_b32 s88, s79
	s_cbranch_execz .LBB12_1282
	s_branch .LBB12_1286
.LBB12_1285:                            ;   in Loop: Header=BB12_1283 Depth=3
	s_trap 2
	ds_load_b64 v[0:1], v0
	s_and_not1_b32 s79, s79, exec_lo
	s_mov_b32 s78, 0
	s_wait_loadcnt_dscnt 0x0
	flat_load_b32 v0, v[0:1] scope:SCOPE_SYS
	s_wait_loadcnt_dscnt 0x0
	global_inv scope:SCOPE_SYS
	v_cmp_eq_u32_e32 vcc_lo, 0, v0
	s_and_b32 s88, vcc_lo, exec_lo
	s_delay_alu instid0(SALU_CYCLE_1)
	s_or_b32 s79, s79, s88
	s_mov_b32 s89, -1
	s_or_b32 s77, s77, exec_lo
	s_wait_xcnt 0x0
	s_and_saveexec_b32 s88, s79
	s_cbranch_execz .LBB12_1282
.LBB12_1286:                            ;   in Loop: Header=BB12_1283 Depth=3
	s_sleep 1
	s_trap 2
	ds_load_b64 v[0:1], v0
	s_wait_dscnt 0x0
	s_and_not1_b32 s77, s77, exec_lo
	v_cmp_ge_u64_e32 vcc_lo, v[0:1], v[56:57]
	s_or_not1_b32 s89, vcc_lo, exec_lo
	s_branch .LBB12_1282
.LBB12_1287:                            ;   in Loop: Header=BB12_1247 Depth=2
	s_or_b32 exec_lo, exec_lo, s41
	s_and_saveexec_b32 s41, s76
	s_delay_alu instid0(SALU_CYCLE_1)
	s_xor_b32 s41, exec_lo, s41
	s_cbranch_execz .LBB12_1289
; %bb.1288:                             ;   in Loop: Header=BB12_1247 Depth=2
	v_mov_b32_e32 v0, 1
	ds_store_b32 v0, v0
	s_trap 2
.LBB12_1289:                            ;   in Loop: Header=BB12_1247 Depth=2
	s_or_b32 exec_lo, exec_lo, s40
	;;#ASMSTART
	s_wakeup
	;;#ASMEND
.LBB12_1290:                            ;   in Loop: Header=BB12_1247 Depth=2
	s_or_b32 exec_lo, exec_lo, s15
.LBB12_1291:                            ;   in Loop: Header=BB12_1247 Depth=2
	s_and_not1_saveexec_b32 s14, s14
	s_cbranch_execz .LBB12_1293
; %bb.1292:                             ;   in Loop: Header=BB12_1247 Depth=2
	global_wb scope:SCOPE_DEV
	s_wait_storecnt 0x0
	s_wait_loadcnt_dscnt 0x0
	global_inv scope:SCOPE_DEV
	s_barrier_signal -1
	s_barrier_wait -1
.LBB12_1293:                            ;   in Loop: Header=BB12_1247 Depth=2
	s_or_b32 exec_lo, exec_lo, s14
.LBB12_1294:                            ;   in Loop: Header=BB12_1247 Depth=2
	s_delay_alu instid0(SALU_CYCLE_1) | instskip(SKIP_4) | instid1(VALU_DEP_1)
	s_or_b32 exec_lo, exec_lo, s13
	s_trap 2
	ds_load_b32 v0, v0
	v_and_b32_e32 v1, 0x4000, v126
	s_xor_b32 s13, s1, -1
	v_cmp_ne_u32_e32 vcc_lo, 0, v1
	s_and_b32 s14, s13, vcc_lo
	s_delay_alu instid0(SALU_CYCLE_1)
	s_and_saveexec_b32 s13, s14
	s_cbranch_execz .LBB12_1313
; %bb.1295:                             ;   in Loop: Header=BB12_1247 Depth=2
	s_and_saveexec_b32 s14, s3
	s_delay_alu instid0(SALU_CYCLE_1)
	s_xor_b32 s14, exec_lo, s14
	s_cbranch_execz .LBB12_1310
; %bb.1296:                             ;   in Loop: Header=BB12_1247 Depth=2
	s_and_saveexec_b32 s15, s6
	s_cbranch_execz .LBB12_1309
; %bb.1297:                             ;   in Loop: Header=BB12_1247 Depth=2
	s_mov_b32 s41, exec_lo
	s_mov_b32 s40, exec_lo
	v_mbcnt_lo_u32_b32 v1, s41, 0
	global_wb scope:SCOPE_DEV
	s_wait_storecnt 0x0
	s_wait_loadcnt_dscnt 0x0
	global_inv scope:SCOPE_DEV
	v_cmpx_eq_u32_e32 0, v1
	s_cbranch_execz .LBB12_1299
; %bb.1298:                             ;   in Loop: Header=BB12_1247 Depth=2
	s_bcnt1_i32_b32 s41, s41
	s_delay_alu instid0(SALU_CYCLE_1)
	v_mov_b32_e32 v2, s41
	s_wait_loadcnt 0x0
	ds_add_u64 v0, v[2:3]
	s_trap 2
.LBB12_1299:                            ;   in Loop: Header=BB12_1247 Depth=2
	s_or_b32 exec_lo, exec_lo, s40
	s_trap 2
	ds_load_b64 v[4:5], v0
	s_wait_dscnt 0x0
	v_add_nc_u64_e32 v[56:57], v[56:57], v[60:61]
	s_mov_b32 s40, exec_lo
	s_delay_alu instid0(VALU_DEP_1)
	v_cmpx_lt_u64_e64 v[4:5], v[56:57]
	s_cbranch_execz .LBB12_1308
; %bb.1300:                             ;   in Loop: Header=BB12_1247 Depth=2
	s_mov_b32 s41, 0
	s_mov_b32 s78, 0
                                        ; implicit-def: $sgpr76
                                        ; implicit-def: $sgpr77
	s_branch .LBB12_1302
.LBB12_1301:                            ;   in Loop: Header=BB12_1302 Depth=3
	s_or_b32 exec_lo, exec_lo, s88
	s_delay_alu instid0(SALU_CYCLE_1) | instskip(NEXT) | instid1(SALU_CYCLE_1)
	s_and_b32 s79, exec_lo, s89
	s_or_b32 s41, s79, s41
	s_and_not1_b32 s76, s76, exec_lo
	s_and_b32 s79, s77, exec_lo
	s_delay_alu instid0(SALU_CYCLE_1)
	s_or_b32 s76, s76, s79
	s_and_not1_b32 exec_lo, exec_lo, s41
	s_cbranch_execz .LBB12_1306
.LBB12_1302:                            ;   Parent Loop BB12_47 Depth=1
                                        ;     Parent Loop BB12_1247 Depth=2
                                        ; =>    This Inner Loop Header: Depth=3
	s_add_co_i32 s78, s78, 1
	s_delay_alu instid0(SALU_CYCLE_1) | instskip(SKIP_1) | instid1(SALU_CYCLE_1)
	s_cmp_lg_u32 s78, 0x2710
	s_cselect_b32 s79, -1, 0
	s_and_b32 vcc_lo, exec_lo, s79
	s_cbranch_vccz .LBB12_1304
; %bb.1303:                             ;   in Loop: Header=BB12_1302 Depth=3
	s_mov_b32 s89, -1
	s_or_b32 s77, s77, exec_lo
	s_and_saveexec_b32 s88, s79
	s_cbranch_execz .LBB12_1301
	s_branch .LBB12_1305
.LBB12_1304:                            ;   in Loop: Header=BB12_1302 Depth=3
	s_trap 2
	ds_load_b64 v[4:5], v0
	s_and_not1_b32 s79, s79, exec_lo
	s_mov_b32 s78, 0
	s_wait_loadcnt_dscnt 0x0
	flat_load_b32 v1, v[4:5] scope:SCOPE_SYS
	s_wait_loadcnt_dscnt 0x0
	global_inv scope:SCOPE_SYS
	v_cmp_eq_u32_e32 vcc_lo, 0, v1
	s_and_b32 s88, vcc_lo, exec_lo
	s_delay_alu instid0(SALU_CYCLE_1)
	s_or_b32 s79, s79, s88
	s_mov_b32 s89, -1
	s_or_b32 s77, s77, exec_lo
	s_wait_xcnt 0x0
	s_and_saveexec_b32 s88, s79
	s_cbranch_execz .LBB12_1301
.LBB12_1305:                            ;   in Loop: Header=BB12_1302 Depth=3
	s_sleep 1
	s_trap 2
	ds_load_b64 v[4:5], v0
	s_wait_dscnt 0x0
	s_and_not1_b32 s77, s77, exec_lo
	v_cmp_ge_u64_e32 vcc_lo, v[4:5], v[56:57]
	s_or_not1_b32 s89, vcc_lo, exec_lo
	s_branch .LBB12_1301
.LBB12_1306:                            ;   in Loop: Header=BB12_1247 Depth=2
	s_or_b32 exec_lo, exec_lo, s41
	s_and_saveexec_b32 s41, s76
	s_delay_alu instid0(SALU_CYCLE_1)
	s_xor_b32 s41, exec_lo, s41
	s_cbranch_execz .LBB12_1308
; %bb.1307:                             ;   in Loop: Header=BB12_1247 Depth=2
	v_mov_b32_e32 v1, 1
	ds_store_b32 v0, v1
	s_trap 2
.LBB12_1308:                            ;   in Loop: Header=BB12_1247 Depth=2
	s_or_b32 exec_lo, exec_lo, s40
	;;#ASMSTART
	s_wakeup
	;;#ASMEND
.LBB12_1309:                            ;   in Loop: Header=BB12_1247 Depth=2
	s_or_b32 exec_lo, exec_lo, s15
.LBB12_1310:                            ;   in Loop: Header=BB12_1247 Depth=2
	s_and_not1_saveexec_b32 s14, s14
	s_cbranch_execz .LBB12_1312
; %bb.1311:                             ;   in Loop: Header=BB12_1247 Depth=2
	global_wb scope:SCOPE_DEV
	s_wait_storecnt 0x0
	s_wait_loadcnt_dscnt 0x0
	global_inv scope:SCOPE_DEV
	s_barrier_signal -1
	s_barrier_wait -1
.LBB12_1312:                            ;   in Loop: Header=BB12_1247 Depth=2
	s_or_b32 exec_lo, exec_lo, s14
.LBB12_1313:                            ;   in Loop: Header=BB12_1247 Depth=2
	s_delay_alu instid0(SALU_CYCLE_1)
	s_or_b32 exec_lo, exec_lo, s13
	s_trap 2
	s_wait_dscnt 0x0
	ds_load_b64 v[72:73], v0
	s_wait_dscnt 0x0
	v_cmp_eq_u64_e32 vcc_lo, 0, v[72:73]
	s_cbranch_vccnz .LBB12_1587
; %bb.1314:                             ;   in Loop: Header=BB12_1247 Depth=2
	s_trap 2
	ds_load_b64 v[44:45], v0
	s_wait_dscnt 0x0
	v_cmp_eq_u64_e32 vcc_lo, 0, v[44:45]
	s_cbranch_vccnz .LBB12_1587
; %bb.1315:                             ;   in Loop: Header=BB12_1247 Depth=2
	s_trap 2
	ds_load_b64 v[98:99], v0
	v_cmp_eq_u32_e32 vcc_lo, 0, v0
	s_mov_b32 s13, -1
	v_cndmask_b32_e32 v120, 0, v28, vcc_lo
	s_delay_alu instid0(VALU_DEP_1)
	v_lshlrev_b32_e32 v123, 1, v120
	s_wait_dscnt 0x0
	v_cmp_ne_u64_e32 vcc_lo, 0, v[98:99]
	s_cbranch_vccz .LBB12_2079
; %bb.1316:                             ;   in Loop: Header=BB12_1247 Depth=2
	s_and_saveexec_b32 s14, s12
	s_cbranch_execz .LBB12_1318
; %bb.1317:                             ;   in Loop: Header=BB12_1247 Depth=2
	ds_load_b32 v0, v0 offset:720
	s_wait_dscnt 0x0
	v_and_b32_e32 v0, 15, v0
	s_delay_alu instid0(VALU_DEP_1)
	v_cmp_eq_u32_e32 vcc_lo, 0, v0
	s_or_not1_b32 s13, vcc_lo, exec_lo
.LBB12_1318:                            ;   in Loop: Header=BB12_1247 Depth=2
	s_or_b32 exec_lo, exec_lo, s14
	s_and_saveexec_b32 s14, s12
	s_cbranch_execz .LBB12_1320
; %bb.1319:                             ;   in Loop: Header=BB12_1247 Depth=2
	ds_load_b32 v0, v0 offset:784
	s_wait_dscnt 0x0
	v_and_b32_e32 v0, 15, v0
	s_delay_alu instid0(VALU_DEP_1) | instskip(SKIP_3) | instid1(SALU_CYCLE_1)
	v_cmp_eq_u32_e32 vcc_lo, 0, v0
	s_and_b32 s15, s13, vcc_lo
	s_and_not1_b32 s13, s13, exec_lo
	s_and_b32 s15, s15, exec_lo
	s_or_b32 s13, s13, s15
.LBB12_1320:                            ;   in Loop: Header=BB12_1247 Depth=2
	s_or_b32 exec_lo, exec_lo, s14
	s_xor_b32 s13, s13, -1
	s_delay_alu instid0(SALU_CYCLE_1) | instskip(SKIP_1) | instid1(VALU_DEP_1)
	v_cndmask_b32_e64 v0, 0, 1, s13
	s_mov_b32 s13, -1
	v_cmp_ne_u32_e32 vcc_lo, 0, v0
	s_cbranch_vccz .LBB12_1588
; %bb.1321:                             ;   in Loop: Header=BB12_1247 Depth=2
	s_mov_b32 s76, -1
	v_mov_b32_e32 v15, 0
	s_cbranch_execnz .LBB12_1589
.LBB12_1322:                            ;   in Loop: Header=BB12_1247 Depth=2
	v_ashrrev_i32_e32 v0, 31, v123
	s_mov_b32 s14, 0
	s_mov_b32 s13, exec_lo
                                        ; implicit-def: $vgpr80_vgpr81
                                        ; implicit-def: $vgpr32_vgpr33
                                        ; implicit-def: $vgpr36_vgpr37
                                        ; implicit-def: $vgpr20_vgpr21
                                        ; implicit-def: $vgpr24_vgpr25
                                        ; implicit-def: $vgpr16_vgpr17
                                        ; implicit-def: $vgpr12_vgpr13
                                        ; implicit-def: $vgpr8_vgpr9
	s_delay_alu instid0(VALU_DEP_1) | instskip(NEXT) | instid1(VALU_DEP_1)
	v_lshrrev_b32_e32 v0, 21, v0
	v_add_nc_u32_e32 v0, v123, v0
	s_delay_alu instid0(VALU_DEP_1)
	v_ashrrev_i32_e32 v29, 11, v0
	scratch_load_b32 v0, off, s33 offset:312 ; 4-byte Folded Reload
	s_wait_loadcnt 0x0
	v_sub_nc_u32_e32 v31, v29, v0
	scratch_load_b64 v[0:1], off, s33 offset:328 ; 8-byte Folded Reload
	s_wait_loadcnt 0x0
	v_add_nc_u64_e32 v[4:5], v[44:45], v[0:1]
	v_add_nc_u64_e32 v[110:111], v[98:99], v[0:1]
	s_wait_xcnt 0x0
	v_cmpx_lt_i32_e32 0, v31
	s_cbranch_execz .LBB12_1591
; %bb.1323:                             ;   in Loop: Header=BB12_1247 Depth=2
	s_clause 0x2
	scratch_store_b32 off, v29, s33 offset:384
	scratch_store_b64 off, v[98:99], s33 offset:376
	scratch_store_b64 off, v[44:45], s33 offset:360
	s_trap 2
	scratch_load_b64 v[6:7], off, s33 offset:328 ; 8-byte Folded Reload
	ds_load_b64 v[0:1], v0
	s_mov_b32 s40, 0
                                        ; implicit-def: $sgpr15
                                        ; implicit-def: $vgpr10_vgpr11
                                        ; implicit-def: $vgpr14_vgpr15
                                        ; implicit-def: $vgpr18_vgpr19
                                        ; implicit-def: $vgpr26_vgpr27
                                        ; implicit-def: $vgpr22_vgpr23
                                        ; implicit-def: $vgpr38_vgpr39
                                        ; implicit-def: $vgpr34_vgpr35
                                        ; implicit-def: $vgpr82_vgpr83
	s_wait_loadcnt 0x0
	v_add_nc_u64_e32 v[62:63], v[72:73], v[6:7]
	s_wait_dscnt 0x0
	v_add_nc_u64_e32 v[124:125], v[0:1], v[6:7]
	s_branch .LBB12_1325
.LBB12_1324:                            ;   in Loop: Header=BB12_1325 Depth=3
	s_or_b32 exec_lo, exec_lo, s41
	s_delay_alu instid0(VALU_DEP_1) | instskip(SKIP_3) | instid1(SALU_CYCLE_1)
	v_cmp_gt_i32_e32 vcc_lo, 1, v31
	s_or_b32 s14, vcc_lo, s14
	s_and_not1_b32 s15, s15, exec_lo
	s_and_b32 s41, s40, exec_lo
	s_or_b32 s15, s15, s41
	s_and_not1_b32 exec_lo, exec_lo, s14
	s_cbranch_execz .LBB12_1590
.LBB12_1325:                            ;   Parent Loop BB12_47 Depth=1
                                        ;     Parent Loop BB12_1247 Depth=2
                                        ; =>    This Inner Loop Header: Depth=3
	s_clause 0x3
	global_load_b128 v[100:103], v[62:63], off th:TH_LOAD_NT
	global_load_b128 v[84:87], v[62:63], off offset:512 th:TH_LOAD_NT
	global_load_b128 v[64:67], v[62:63], off offset:1024 th:TH_LOAD_NT
	;; [unrolled: 1-line block ×3, first 2 shown]
	s_clause 0x3
	global_load_b128 v[112:115], v[124:125], off th:TH_LOAD_NT
	global_load_b128 v[96:99], v[124:125], off offset:512 th:TH_LOAD_NT
	global_load_b128 v[68:71], v[124:125], off offset:1024 th:TH_LOAD_NT
	;; [unrolled: 1-line block ×3, first 2 shown]
	s_wait_xcnt 0x0
	s_and_saveexec_b32 s41, s40
	s_cbranch_execz .LBB12_1455
; %bb.1326:                             ;   in Loop: Header=BB12_1325 Depth=3
	v_lshlrev_b32_e32 v0, 16, v80
	v_lshlrev_b32_e32 v1, 16, v32
	s_mov_b32 s40, exec_lo
                                        ; implicit-def: $vgpr2
	s_delay_alu instid0(VALU_DEP_1) | instskip(NEXT) | instid1(VALU_DEP_1)
	v_mul_f32_e32 v0, v0, v1
	v_and_b32_e32 v1, 0x7f800000, v0
	s_delay_alu instid0(VALU_DEP_1)
	v_cmpx_ne_u32_e32 0x7f800000, v1
	s_xor_b32 s40, exec_lo, s40
; %bb.1327:                             ;   in Loop: Header=BB12_1325 Depth=3
	v_bfe_u32 v1, v0, 16, 1
	s_delay_alu instid0(VALU_DEP_1)
	v_add3_u32 v2, v0, v1, 0x7fff
                                        ; implicit-def: $vgpr0
; %bb.1328:                             ;   in Loop: Header=BB12_1325 Depth=3
	s_and_not1_saveexec_b32 s40, s40
; %bb.1329:                             ;   in Loop: Header=BB12_1325 Depth=3
	v_and_b32_e32 v1, 0xffff, v0
	v_or_b32_e32 v2, 0x10000, v0
	s_delay_alu instid0(VALU_DEP_2) | instskip(NEXT) | instid1(VALU_DEP_2)
	v_cmp_eq_u32_e32 vcc_lo, 0, v1
	v_cndmask_b32_e32 v2, v2, v0, vcc_lo
; %bb.1330:                             ;   in Loop: Header=BB12_1325 Depth=3
	s_or_b32 exec_lo, exec_lo, s40
	v_and_b32_e32 v1, 0xffff0000, v80
	v_and_b32_e32 v0, 0xffff0000, v32
	s_mov_b32 s40, exec_lo
                                        ; implicit-def: $vgpr77
	s_delay_alu instid0(VALU_DEP_2) | instskip(NEXT) | instid1(VALU_DEP_1)
	v_mov_b32_e32 v6, v1
	v_pk_mul_f32 v[118:119], v[6:7], v[0:1]
	s_delay_alu instid0(VALU_DEP_1) | instskip(NEXT) | instid1(VALU_DEP_1)
	v_and_b32_e32 v0, 0x7f800000, v118
	v_cmpx_ne_u32_e32 0x7f800000, v0
	s_xor_b32 s40, exec_lo, s40
; %bb.1331:                             ;   in Loop: Header=BB12_1325 Depth=3
	v_bfe_u32 v0, v118, 16, 1
	s_delay_alu instid0(VALU_DEP_1)
	v_add3_u32 v77, v118, v0, 0x7fff
                                        ; implicit-def: $vgpr118_vgpr119
; %bb.1332:                             ;   in Loop: Header=BB12_1325 Depth=3
	s_and_not1_saveexec_b32 s40, s40
; %bb.1333:                             ;   in Loop: Header=BB12_1325 Depth=3
	v_and_b32_e32 v0, 0xffff, v118
	v_or_b32_e32 v1, 0x10000, v118
	s_delay_alu instid0(VALU_DEP_2) | instskip(NEXT) | instid1(VALU_DEP_2)
	v_cmp_eq_u32_e32 vcc_lo, 0, v0
	v_cndmask_b32_e32 v77, v1, v118, vcc_lo
; %bb.1334:                             ;   in Loop: Header=BB12_1325 Depth=3
	s_or_b32 exec_lo, exec_lo, s40
	v_lshlrev_b32_e32 v0, 16, v33
	v_lshlrev_b32_e32 v1, 16, v81
	s_mov_b32 s40, exec_lo
                                        ; implicit-def: $vgpr118
	s_delay_alu instid0(VALU_DEP_1) | instskip(NEXT) | instid1(VALU_DEP_1)
	v_mul_f32_e32 v0, v1, v0
	v_and_b32_e32 v1, 0x7f800000, v0
	s_delay_alu instid0(VALU_DEP_1)
	v_cmpx_ne_u32_e32 0x7f800000, v1
	s_xor_b32 s40, exec_lo, s40
; %bb.1335:                             ;   in Loop: Header=BB12_1325 Depth=3
	v_bfe_u32 v1, v0, 16, 1
	s_delay_alu instid0(VALU_DEP_1)
	v_add3_u32 v118, v0, v1, 0x7fff
                                        ; implicit-def: $vgpr0
; %bb.1336:                             ;   in Loop: Header=BB12_1325 Depth=3
	s_and_not1_saveexec_b32 s40, s40
; %bb.1337:                             ;   in Loop: Header=BB12_1325 Depth=3
	v_and_b32_e32 v1, 0xffff, v0
	v_or_b32_e32 v6, 0x10000, v0
	s_delay_alu instid0(VALU_DEP_2) | instskip(NEXT) | instid1(VALU_DEP_2)
	v_cmp_eq_u32_e32 vcc_lo, 0, v1
	v_cndmask_b32_e32 v118, v6, v0, vcc_lo
; %bb.1338:                             ;   in Loop: Header=BB12_1325 Depth=3
	s_or_b32 exec_lo, exec_lo, s40
	v_and_b32_e32 v1, 0xffff0000, v81
	v_and_b32_e32 v0, 0xffff0000, v33
	s_mov_b32 s40, exec_lo
                                        ; implicit-def: $vgpr119
	s_delay_alu instid0(VALU_DEP_2) | instskip(NEXT) | instid1(VALU_DEP_1)
	v_mov_b32_e32 v6, v1
	v_pk_mul_f32 v[80:81], v[6:7], v[0:1]
	s_delay_alu instid0(VALU_DEP_1) | instskip(NEXT) | instid1(VALU_DEP_1)
	v_and_b32_e32 v0, 0x7f800000, v80
	v_cmpx_ne_u32_e32 0x7f800000, v0
	s_xor_b32 s40, exec_lo, s40
; %bb.1339:                             ;   in Loop: Header=BB12_1325 Depth=3
	v_bfe_u32 v0, v80, 16, 1
	s_delay_alu instid0(VALU_DEP_1)
	v_add3_u32 v119, v80, v0, 0x7fff
                                        ; implicit-def: $vgpr80_vgpr81
; %bb.1340:                             ;   in Loop: Header=BB12_1325 Depth=3
	s_and_not1_saveexec_b32 s40, s40
; %bb.1341:                             ;   in Loop: Header=BB12_1325 Depth=3
	v_and_b32_e32 v0, 0xffff, v80
	v_or_b32_e32 v1, 0x10000, v80
	s_delay_alu instid0(VALU_DEP_2) | instskip(NEXT) | instid1(VALU_DEP_2)
	v_cmp_eq_u32_e32 vcc_lo, 0, v0
	v_cndmask_b32_e32 v119, v1, v80, vcc_lo
; %bb.1342:                             ;   in Loop: Header=BB12_1325 Depth=3
	s_or_b32 exec_lo, exec_lo, s40
	v_lshlrev_b32_e32 v0, 16, v82
	v_lshlrev_b32_e32 v1, 16, v34
	s_mov_b32 s40, exec_lo
                                        ; implicit-def: $vgpr42
	s_delay_alu instid0(VALU_DEP_1) | instskip(NEXT) | instid1(VALU_DEP_1)
	v_mul_f32_e32 v0, v0, v1
	v_and_b32_e32 v1, 0x7f800000, v0
	s_delay_alu instid0(VALU_DEP_1)
	v_cmpx_ne_u32_e32 0x7f800000, v1
	s_xor_b32 s40, exec_lo, s40
; %bb.1343:                             ;   in Loop: Header=BB12_1325 Depth=3
	v_bfe_u32 v1, v0, 16, 1
	s_delay_alu instid0(VALU_DEP_1)
	v_add3_u32 v42, v0, v1, 0x7fff
                                        ; implicit-def: $vgpr0
; %bb.1344:                             ;   in Loop: Header=BB12_1325 Depth=3
	s_and_not1_saveexec_b32 s40, s40
; %bb.1345:                             ;   in Loop: Header=BB12_1325 Depth=3
	v_and_b32_e32 v1, 0xffff, v0
	v_or_b32_e32 v6, 0x10000, v0
	s_delay_alu instid0(VALU_DEP_2) | instskip(NEXT) | instid1(VALU_DEP_2)
	v_cmp_eq_u32_e32 vcc_lo, 0, v1
	v_cndmask_b32_e32 v42, v6, v0, vcc_lo
; %bb.1346:                             ;   in Loop: Header=BB12_1325 Depth=3
	s_or_b32 exec_lo, exec_lo, s40
	v_and_b32_e32 v1, 0xffff0000, v82
	v_and_b32_e32 v0, 0xffff0000, v34
	s_mov_b32 s40, exec_lo
                                        ; implicit-def: $vgpr82
	s_delay_alu instid0(VALU_DEP_2) | instskip(NEXT) | instid1(VALU_DEP_1)
	v_mov_b32_e32 v6, v1
	v_pk_mul_f32 v[80:81], v[6:7], v[0:1]
	s_delay_alu instid0(VALU_DEP_1) | instskip(NEXT) | instid1(VALU_DEP_1)
	v_and_b32_e32 v0, 0x7f800000, v80
	v_cmpx_ne_u32_e32 0x7f800000, v0
	s_xor_b32 s40, exec_lo, s40
; %bb.1347:                             ;   in Loop: Header=BB12_1325 Depth=3
	v_bfe_u32 v0, v80, 16, 1
	s_delay_alu instid0(VALU_DEP_1)
	v_add3_u32 v82, v80, v0, 0x7fff
                                        ; implicit-def: $vgpr80_vgpr81
; %bb.1348:                             ;   in Loop: Header=BB12_1325 Depth=3
	s_and_not1_saveexec_b32 s40, s40
; %bb.1349:                             ;   in Loop: Header=BB12_1325 Depth=3
	v_and_b32_e32 v0, 0xffff, v80
	v_or_b32_e32 v1, 0x10000, v80
	s_delay_alu instid0(VALU_DEP_2) | instskip(NEXT) | instid1(VALU_DEP_2)
	v_cmp_eq_u32_e32 vcc_lo, 0, v0
	v_cndmask_b32_e32 v82, v1, v80, vcc_lo
; %bb.1350:                             ;   in Loop: Header=BB12_1325 Depth=3
	s_or_b32 exec_lo, exec_lo, s40
	v_lshlrev_b32_e32 v0, 16, v35
	v_lshlrev_b32_e32 v1, 16, v83
	s_mov_b32 s40, exec_lo
                                        ; implicit-def: $vgpr43
	s_delay_alu instid0(VALU_DEP_1) | instskip(NEXT) | instid1(VALU_DEP_1)
	v_mul_f32_e32 v0, v1, v0
	v_and_b32_e32 v1, 0x7f800000, v0
	s_delay_alu instid0(VALU_DEP_1)
	v_cmpx_ne_u32_e32 0x7f800000, v1
	s_xor_b32 s40, exec_lo, s40
; %bb.1351:                             ;   in Loop: Header=BB12_1325 Depth=3
	v_bfe_u32 v1, v0, 16, 1
	s_delay_alu instid0(VALU_DEP_1)
	v_add3_u32 v43, v0, v1, 0x7fff
                                        ; implicit-def: $vgpr0
; %bb.1352:                             ;   in Loop: Header=BB12_1325 Depth=3
	s_and_not1_saveexec_b32 s40, s40
; %bb.1353:                             ;   in Loop: Header=BB12_1325 Depth=3
	v_and_b32_e32 v1, 0xffff, v0
	v_or_b32_e32 v6, 0x10000, v0
	s_delay_alu instid0(VALU_DEP_2) | instskip(NEXT) | instid1(VALU_DEP_2)
	v_cmp_eq_u32_e32 vcc_lo, 0, v1
	v_cndmask_b32_e32 v43, v6, v0, vcc_lo
; %bb.1354:                             ;   in Loop: Header=BB12_1325 Depth=3
	s_or_b32 exec_lo, exec_lo, s40
	v_and_b32_e32 v1, 0xffff0000, v83
	v_and_b32_e32 v0, 0xffff0000, v35
	s_mov_b32 s40, exec_lo
                                        ; implicit-def: $vgpr83
	s_delay_alu instid0(VALU_DEP_2) | instskip(NEXT) | instid1(VALU_DEP_1)
	v_mov_b32_e32 v6, v1
	v_pk_mul_f32 v[80:81], v[6:7], v[0:1]
	s_delay_alu instid0(VALU_DEP_1) | instskip(NEXT) | instid1(VALU_DEP_1)
	v_and_b32_e32 v0, 0x7f800000, v80
	v_cmpx_ne_u32_e32 0x7f800000, v0
	s_xor_b32 s40, exec_lo, s40
; %bb.1355:                             ;   in Loop: Header=BB12_1325 Depth=3
	v_bfe_u32 v0, v80, 16, 1
	s_delay_alu instid0(VALU_DEP_1)
	v_add3_u32 v83, v80, v0, 0x7fff
                                        ; implicit-def: $vgpr80_vgpr81
; %bb.1356:                             ;   in Loop: Header=BB12_1325 Depth=3
	s_and_not1_saveexec_b32 s40, s40
; %bb.1357:                             ;   in Loop: Header=BB12_1325 Depth=3
	v_and_b32_e32 v0, 0xffff, v80
	v_or_b32_e32 v1, 0x10000, v80
	s_delay_alu instid0(VALU_DEP_2) | instskip(NEXT) | instid1(VALU_DEP_2)
	v_cmp_eq_u32_e32 vcc_lo, 0, v0
	v_cndmask_b32_e32 v83, v1, v80, vcc_lo
; %bb.1358:                             ;   in Loop: Header=BB12_1325 Depth=3
	s_or_b32 exec_lo, exec_lo, s40
	v_lshlrev_b32_e32 v0, 16, v36
	v_lshlrev_b32_e32 v1, 16, v20
	s_mov_b32 s40, exec_lo
                                        ; implicit-def: $vgpr122
	s_delay_alu instid0(VALU_DEP_1) | instskip(NEXT) | instid1(VALU_DEP_1)
	v_mul_f32_e32 v0, v0, v1
	v_and_b32_e32 v1, 0x7f800000, v0
	s_delay_alu instid0(VALU_DEP_1)
	v_cmpx_ne_u32_e32 0x7f800000, v1
	s_xor_b32 s40, exec_lo, s40
; %bb.1359:                             ;   in Loop: Header=BB12_1325 Depth=3
	v_bfe_u32 v1, v0, 16, 1
	s_delay_alu instid0(VALU_DEP_1)
	v_add3_u32 v122, v0, v1, 0x7fff
                                        ; implicit-def: $vgpr0
; %bb.1360:                             ;   in Loop: Header=BB12_1325 Depth=3
	s_and_not1_saveexec_b32 s40, s40
; %bb.1361:                             ;   in Loop: Header=BB12_1325 Depth=3
	v_and_b32_e32 v1, 0xffff, v0
	v_or_b32_e32 v6, 0x10000, v0
	s_delay_alu instid0(VALU_DEP_2) | instskip(NEXT) | instid1(VALU_DEP_2)
	v_cmp_eq_u32_e32 vcc_lo, 0, v1
	v_cndmask_b32_e32 v122, v6, v0, vcc_lo
; %bb.1362:                             ;   in Loop: Header=BB12_1325 Depth=3
	s_or_b32 exec_lo, exec_lo, s40
	v_and_b32_e32 v1, 0xffff0000, v36
	v_and_b32_e32 v0, 0xffff0000, v20
	s_mov_b32 s40, exec_lo
                                        ; implicit-def: $vgpr94
	s_delay_alu instid0(VALU_DEP_2) | instskip(NEXT) | instid1(VALU_DEP_1)
	v_mov_b32_e32 v6, v1
	v_pk_mul_f32 v[80:81], v[6:7], v[0:1]
	s_delay_alu instid0(VALU_DEP_1) | instskip(NEXT) | instid1(VALU_DEP_1)
	v_and_b32_e32 v0, 0x7f800000, v80
	v_cmpx_ne_u32_e32 0x7f800000, v0
	s_xor_b32 s40, exec_lo, s40
; %bb.1363:                             ;   in Loop: Header=BB12_1325 Depth=3
	v_bfe_u32 v0, v80, 16, 1
	s_delay_alu instid0(VALU_DEP_1)
	v_add3_u32 v94, v80, v0, 0x7fff
                                        ; implicit-def: $vgpr80_vgpr81
; %bb.1364:                             ;   in Loop: Header=BB12_1325 Depth=3
	s_and_not1_saveexec_b32 s40, s40
; %bb.1365:                             ;   in Loop: Header=BB12_1325 Depth=3
	v_and_b32_e32 v0, 0xffff, v80
	v_or_b32_e32 v1, 0x10000, v80
	s_delay_alu instid0(VALU_DEP_2) | instskip(NEXT) | instid1(VALU_DEP_2)
	v_cmp_eq_u32_e32 vcc_lo, 0, v0
	v_cndmask_b32_e32 v94, v1, v80, vcc_lo
; %bb.1366:                             ;   in Loop: Header=BB12_1325 Depth=3
	s_or_b32 exec_lo, exec_lo, s40
	v_lshlrev_b32_e32 v0, 16, v21
	v_lshlrev_b32_e32 v1, 16, v37
	s_mov_b32 s40, exec_lo
                                        ; implicit-def: $vgpr80
	s_delay_alu instid0(VALU_DEP_1) | instskip(NEXT) | instid1(VALU_DEP_1)
	v_mul_f32_e32 v0, v1, v0
	v_and_b32_e32 v1, 0x7f800000, v0
	s_delay_alu instid0(VALU_DEP_1)
	v_cmpx_ne_u32_e32 0x7f800000, v1
	s_xor_b32 s40, exec_lo, s40
; %bb.1367:                             ;   in Loop: Header=BB12_1325 Depth=3
	v_bfe_u32 v1, v0, 16, 1
	s_delay_alu instid0(VALU_DEP_1)
	v_add3_u32 v80, v0, v1, 0x7fff
                                        ; implicit-def: $vgpr0
; %bb.1368:                             ;   in Loop: Header=BB12_1325 Depth=3
	s_and_not1_saveexec_b32 s40, s40
; %bb.1369:                             ;   in Loop: Header=BB12_1325 Depth=3
	v_and_b32_e32 v1, 0xffff, v0
	v_or_b32_e32 v6, 0x10000, v0
	s_delay_alu instid0(VALU_DEP_2) | instskip(NEXT) | instid1(VALU_DEP_2)
	v_cmp_eq_u32_e32 vcc_lo, 0, v1
	v_cndmask_b32_e32 v80, v6, v0, vcc_lo
; %bb.1370:                             ;   in Loop: Header=BB12_1325 Depth=3
	s_or_b32 exec_lo, exec_lo, s40
	v_and_b32_e32 v1, 0xffff0000, v37
	v_and_b32_e32 v0, 0xffff0000, v21
	s_mov_b32 s40, exec_lo
                                        ; implicit-def: $vgpr81
	s_delay_alu instid0(VALU_DEP_2) | instskip(NEXT) | instid1(VALU_DEP_1)
	v_mov_b32_e32 v6, v1
	v_pk_mul_f32 v[36:37], v[6:7], v[0:1]
	s_delay_alu instid0(VALU_DEP_1) | instskip(NEXT) | instid1(VALU_DEP_1)
	v_and_b32_e32 v0, 0x7f800000, v36
	v_cmpx_ne_u32_e32 0x7f800000, v0
	s_xor_b32 s40, exec_lo, s40
; %bb.1371:                             ;   in Loop: Header=BB12_1325 Depth=3
	v_bfe_u32 v0, v36, 16, 1
	s_delay_alu instid0(VALU_DEP_1)
	v_add3_u32 v81, v36, v0, 0x7fff
                                        ; implicit-def: $vgpr36_vgpr37
; %bb.1372:                             ;   in Loop: Header=BB12_1325 Depth=3
	s_and_not1_saveexec_b32 s40, s40
; %bb.1373:                             ;   in Loop: Header=BB12_1325 Depth=3
	v_and_b32_e32 v0, 0xffff, v36
	v_or_b32_e32 v1, 0x10000, v36
	s_delay_alu instid0(VALU_DEP_2) | instskip(NEXT) | instid1(VALU_DEP_2)
	v_cmp_eq_u32_e32 vcc_lo, 0, v0
	v_cndmask_b32_e32 v81, v1, v36, vcc_lo
; %bb.1374:                             ;   in Loop: Header=BB12_1325 Depth=3
	s_or_b32 exec_lo, exec_lo, s40
	v_lshlrev_b32_e32 v0, 16, v38
	v_lshlrev_b32_e32 v1, 16, v22
	s_mov_b32 s40, exec_lo
                                        ; implicit-def: $vgpr95
	s_delay_alu instid0(VALU_DEP_1) | instskip(NEXT) | instid1(VALU_DEP_1)
	v_mul_f32_e32 v0, v0, v1
	v_and_b32_e32 v1, 0x7f800000, v0
	s_delay_alu instid0(VALU_DEP_1)
	v_cmpx_ne_u32_e32 0x7f800000, v1
	s_xor_b32 s40, exec_lo, s40
; %bb.1375:                             ;   in Loop: Header=BB12_1325 Depth=3
	v_bfe_u32 v1, v0, 16, 1
	s_delay_alu instid0(VALU_DEP_1)
	v_add3_u32 v95, v0, v1, 0x7fff
                                        ; implicit-def: $vgpr0
; %bb.1376:                             ;   in Loop: Header=BB12_1325 Depth=3
	s_and_not1_saveexec_b32 s40, s40
; %bb.1377:                             ;   in Loop: Header=BB12_1325 Depth=3
	v_and_b32_e32 v1, 0xffff, v0
	v_or_b32_e32 v6, 0x10000, v0
	s_delay_alu instid0(VALU_DEP_2) | instskip(NEXT) | instid1(VALU_DEP_2)
	v_cmp_eq_u32_e32 vcc_lo, 0, v1
	v_cndmask_b32_e32 v95, v6, v0, vcc_lo
; %bb.1378:                             ;   in Loop: Header=BB12_1325 Depth=3
	s_or_b32 exec_lo, exec_lo, s40
	v_and_b32_e32 v1, 0xffff0000, v38
	v_and_b32_e32 v0, 0xffff0000, v22
	s_mov_b32 s40, exec_lo
                                        ; implicit-def: $vgpr38
	s_delay_alu instid0(VALU_DEP_2) | instskip(NEXT) | instid1(VALU_DEP_1)
	v_mov_b32_e32 v6, v1
	v_pk_mul_f32 v[36:37], v[6:7], v[0:1]
	s_delay_alu instid0(VALU_DEP_1) | instskip(NEXT) | instid1(VALU_DEP_1)
	v_and_b32_e32 v0, 0x7f800000, v36
	v_cmpx_ne_u32_e32 0x7f800000, v0
	s_xor_b32 s40, exec_lo, s40
; %bb.1379:                             ;   in Loop: Header=BB12_1325 Depth=3
	v_bfe_u32 v0, v36, 16, 1
	s_delay_alu instid0(VALU_DEP_1)
	v_add3_u32 v38, v36, v0, 0x7fff
                                        ; implicit-def: $vgpr36_vgpr37
; %bb.1380:                             ;   in Loop: Header=BB12_1325 Depth=3
	s_and_not1_saveexec_b32 s40, s40
; %bb.1381:                             ;   in Loop: Header=BB12_1325 Depth=3
	v_and_b32_e32 v0, 0xffff, v36
	v_or_b32_e32 v1, 0x10000, v36
	s_delay_alu instid0(VALU_DEP_2) | instskip(NEXT) | instid1(VALU_DEP_2)
	v_cmp_eq_u32_e32 vcc_lo, 0, v0
	v_cndmask_b32_e32 v38, v1, v36, vcc_lo
; %bb.1382:                             ;   in Loop: Header=BB12_1325 Depth=3
	s_or_b32 exec_lo, exec_lo, s40
	v_lshlrev_b32_e32 v0, 16, v23
	v_lshlrev_b32_e32 v1, 16, v39
	s_mov_b32 s40, exec_lo
                                        ; implicit-def: $vgpr108
	s_delay_alu instid0(VALU_DEP_1) | instskip(NEXT) | instid1(VALU_DEP_1)
	v_mul_f32_e32 v0, v1, v0
	v_and_b32_e32 v1, 0x7f800000, v0
	s_delay_alu instid0(VALU_DEP_1)
	v_cmpx_ne_u32_e32 0x7f800000, v1
	s_xor_b32 s40, exec_lo, s40
; %bb.1383:                             ;   in Loop: Header=BB12_1325 Depth=3
	v_bfe_u32 v1, v0, 16, 1
	s_delay_alu instid0(VALU_DEP_1)
	v_add3_u32 v108, v0, v1, 0x7fff
                                        ; implicit-def: $vgpr0
; %bb.1384:                             ;   in Loop: Header=BB12_1325 Depth=3
	s_and_not1_saveexec_b32 s40, s40
; %bb.1385:                             ;   in Loop: Header=BB12_1325 Depth=3
	v_and_b32_e32 v1, 0xffff, v0
	v_or_b32_e32 v6, 0x10000, v0
	s_delay_alu instid0(VALU_DEP_2) | instskip(NEXT) | instid1(VALU_DEP_2)
	v_cmp_eq_u32_e32 vcc_lo, 0, v1
	v_cndmask_b32_e32 v108, v6, v0, vcc_lo
; %bb.1386:                             ;   in Loop: Header=BB12_1325 Depth=3
	s_or_b32 exec_lo, exec_lo, s40
	v_and_b32_e32 v1, 0xffff0000, v39
	v_and_b32_e32 v0, 0xffff0000, v23
	s_mov_b32 s40, exec_lo
                                        ; implicit-def: $vgpr39
	s_delay_alu instid0(VALU_DEP_2) | instskip(NEXT) | instid1(VALU_DEP_1)
	v_mov_b32_e32 v6, v1
	v_pk_mul_f32 v[36:37], v[6:7], v[0:1]
	s_delay_alu instid0(VALU_DEP_1) | instskip(NEXT) | instid1(VALU_DEP_1)
	v_and_b32_e32 v0, 0x7f800000, v36
	v_cmpx_ne_u32_e32 0x7f800000, v0
	s_xor_b32 s40, exec_lo, s40
; %bb.1387:                             ;   in Loop: Header=BB12_1325 Depth=3
	v_bfe_u32 v0, v36, 16, 1
	s_delay_alu instid0(VALU_DEP_1)
	v_add3_u32 v39, v36, v0, 0x7fff
                                        ; implicit-def: $vgpr36_vgpr37
; %bb.1388:                             ;   in Loop: Header=BB12_1325 Depth=3
	s_and_not1_saveexec_b32 s40, s40
; %bb.1389:                             ;   in Loop: Header=BB12_1325 Depth=3
	v_and_b32_e32 v0, 0xffff, v36
	v_or_b32_e32 v1, 0x10000, v36
	s_delay_alu instid0(VALU_DEP_2) | instskip(NEXT) | instid1(VALU_DEP_2)
	v_cmp_eq_u32_e32 vcc_lo, 0, v0
	v_cndmask_b32_e32 v39, v1, v36, vcc_lo
; %bb.1390:                             ;   in Loop: Header=BB12_1325 Depth=3
	s_or_b32 exec_lo, exec_lo, s40
	v_lshlrev_b32_e32 v0, 16, v24
	v_lshlrev_b32_e32 v1, 16, v16
	s_mov_b32 s40, exec_lo
                                        ; implicit-def: $vgpr109
	s_delay_alu instid0(VALU_DEP_1) | instskip(NEXT) | instid1(VALU_DEP_1)
	v_mul_f32_e32 v0, v0, v1
	v_and_b32_e32 v1, 0x7f800000, v0
	s_delay_alu instid0(VALU_DEP_1)
	v_cmpx_ne_u32_e32 0x7f800000, v1
	s_xor_b32 s40, exec_lo, s40
; %bb.1391:                             ;   in Loop: Header=BB12_1325 Depth=3
	v_bfe_u32 v1, v0, 16, 1
	s_delay_alu instid0(VALU_DEP_1)
	v_add3_u32 v109, v0, v1, 0x7fff
                                        ; implicit-def: $vgpr0
; %bb.1392:                             ;   in Loop: Header=BB12_1325 Depth=3
	s_and_not1_saveexec_b32 s40, s40
; %bb.1393:                             ;   in Loop: Header=BB12_1325 Depth=3
	v_and_b32_e32 v1, 0xffff, v0
	v_or_b32_e32 v6, 0x10000, v0
	s_delay_alu instid0(VALU_DEP_2) | instskip(NEXT) | instid1(VALU_DEP_2)
	v_cmp_eq_u32_e32 vcc_lo, 0, v1
	v_cndmask_b32_e32 v109, v6, v0, vcc_lo
; %bb.1394:                             ;   in Loop: Header=BB12_1325 Depth=3
	s_or_b32 exec_lo, exec_lo, s40
	v_and_b32_e32 v1, 0xffff0000, v24
	v_and_b32_e32 v0, 0xffff0000, v16
	s_mov_b32 s40, exec_lo
                                        ; implicit-def: $vgpr46
	s_delay_alu instid0(VALU_DEP_2) | instskip(NEXT) | instid1(VALU_DEP_1)
	v_mov_b32_e32 v6, v1
	v_pk_mul_f32 v[36:37], v[6:7], v[0:1]
	s_delay_alu instid0(VALU_DEP_1) | instskip(NEXT) | instid1(VALU_DEP_1)
	v_and_b32_e32 v0, 0x7f800000, v36
	v_cmpx_ne_u32_e32 0x7f800000, v0
	s_xor_b32 s40, exec_lo, s40
; %bb.1395:                             ;   in Loop: Header=BB12_1325 Depth=3
	v_bfe_u32 v0, v36, 16, 1
	s_delay_alu instid0(VALU_DEP_1)
	v_add3_u32 v46, v36, v0, 0x7fff
                                        ; implicit-def: $vgpr36_vgpr37
; %bb.1396:                             ;   in Loop: Header=BB12_1325 Depth=3
	s_and_not1_saveexec_b32 s40, s40
; %bb.1397:                             ;   in Loop: Header=BB12_1325 Depth=3
	v_and_b32_e32 v0, 0xffff, v36
	v_or_b32_e32 v1, 0x10000, v36
	s_delay_alu instid0(VALU_DEP_2) | instskip(NEXT) | instid1(VALU_DEP_2)
	v_cmp_eq_u32_e32 vcc_lo, 0, v0
	v_cndmask_b32_e32 v46, v1, v36, vcc_lo
; %bb.1398:                             ;   in Loop: Header=BB12_1325 Depth=3
	s_or_b32 exec_lo, exec_lo, s40
	v_lshlrev_b32_e32 v0, 16, v17
	v_lshlrev_b32_e32 v1, 16, v25
	s_mov_b32 s40, exec_lo
                                        ; implicit-def: $vgpr36
	s_delay_alu instid0(VALU_DEP_1) | instskip(NEXT) | instid1(VALU_DEP_1)
	v_mul_f32_e32 v0, v1, v0
	v_and_b32_e32 v1, 0x7f800000, v0
	s_delay_alu instid0(VALU_DEP_1)
	v_cmpx_ne_u32_e32 0x7f800000, v1
	s_xor_b32 s40, exec_lo, s40
; %bb.1399:                             ;   in Loop: Header=BB12_1325 Depth=3
	v_bfe_u32 v1, v0, 16, 1
	s_delay_alu instid0(VALU_DEP_1)
	v_add3_u32 v36, v0, v1, 0x7fff
                                        ; implicit-def: $vgpr0
; %bb.1400:                             ;   in Loop: Header=BB12_1325 Depth=3
	s_and_not1_saveexec_b32 s40, s40
; %bb.1401:                             ;   in Loop: Header=BB12_1325 Depth=3
	v_and_b32_e32 v1, 0xffff, v0
	v_or_b32_e32 v6, 0x10000, v0
	s_delay_alu instid0(VALU_DEP_2) | instskip(NEXT) | instid1(VALU_DEP_2)
	v_cmp_eq_u32_e32 vcc_lo, 0, v1
	v_cndmask_b32_e32 v36, v6, v0, vcc_lo
; %bb.1402:                             ;   in Loop: Header=BB12_1325 Depth=3
	s_or_b32 exec_lo, exec_lo, s40
	v_and_b32_e32 v1, 0xffff0000, v25
	v_and_b32_e32 v0, 0xffff0000, v17
	s_mov_b32 s40, exec_lo
                                        ; implicit-def: $vgpr37
	s_delay_alu instid0(VALU_DEP_2) | instskip(NEXT) | instid1(VALU_DEP_1)
	v_mov_b32_e32 v6, v1
	v_pk_mul_f32 v[24:25], v[6:7], v[0:1]
	s_delay_alu instid0(VALU_DEP_1) | instskip(NEXT) | instid1(VALU_DEP_1)
	v_and_b32_e32 v0, 0x7f800000, v24
	v_cmpx_ne_u32_e32 0x7f800000, v0
	s_xor_b32 s40, exec_lo, s40
; %bb.1403:                             ;   in Loop: Header=BB12_1325 Depth=3
	v_bfe_u32 v0, v24, 16, 1
	s_delay_alu instid0(VALU_DEP_1)
	v_add3_u32 v37, v24, v0, 0x7fff
                                        ; implicit-def: $vgpr24_vgpr25
; %bb.1404:                             ;   in Loop: Header=BB12_1325 Depth=3
	s_and_not1_saveexec_b32 s40, s40
; %bb.1405:                             ;   in Loop: Header=BB12_1325 Depth=3
	v_and_b32_e32 v0, 0xffff, v24
	v_or_b32_e32 v1, 0x10000, v24
	s_delay_alu instid0(VALU_DEP_2) | instskip(NEXT) | instid1(VALU_DEP_2)
	v_cmp_eq_u32_e32 vcc_lo, 0, v0
	v_cndmask_b32_e32 v37, v1, v24, vcc_lo
; %bb.1406:                             ;   in Loop: Header=BB12_1325 Depth=3
	s_or_b32 exec_lo, exec_lo, s40
	v_lshlrev_b32_e32 v0, 16, v26
	v_lshlrev_b32_e32 v1, 16, v18
	s_mov_b32 s40, exec_lo
                                        ; implicit-def: $vgpr47
	s_delay_alu instid0(VALU_DEP_1) | instskip(NEXT) | instid1(VALU_DEP_1)
	v_mul_f32_e32 v0, v0, v1
	v_and_b32_e32 v1, 0x7f800000, v0
	s_delay_alu instid0(VALU_DEP_1)
	v_cmpx_ne_u32_e32 0x7f800000, v1
	s_xor_b32 s40, exec_lo, s40
; %bb.1407:                             ;   in Loop: Header=BB12_1325 Depth=3
	v_bfe_u32 v1, v0, 16, 1
	s_delay_alu instid0(VALU_DEP_1)
	v_add3_u32 v47, v0, v1, 0x7fff
                                        ; implicit-def: $vgpr0
; %bb.1408:                             ;   in Loop: Header=BB12_1325 Depth=3
	s_and_not1_saveexec_b32 s40, s40
; %bb.1409:                             ;   in Loop: Header=BB12_1325 Depth=3
	v_and_b32_e32 v1, 0xffff, v0
	v_or_b32_e32 v6, 0x10000, v0
	s_delay_alu instid0(VALU_DEP_2) | instskip(NEXT) | instid1(VALU_DEP_2)
	v_cmp_eq_u32_e32 vcc_lo, 0, v1
	v_cndmask_b32_e32 v47, v6, v0, vcc_lo
; %bb.1410:                             ;   in Loop: Header=BB12_1325 Depth=3
	s_or_b32 exec_lo, exec_lo, s40
	v_and_b32_e32 v1, 0xffff0000, v26
	v_and_b32_e32 v0, 0xffff0000, v18
	s_mov_b32 s40, exec_lo
	s_delay_alu instid0(VALU_DEP_2) | instskip(NEXT) | instid1(VALU_DEP_1)
	v_mov_b32_e32 v6, v1
	v_pk_mul_f32 v[24:25], v[6:7], v[0:1]
                                        ; implicit-def: $vgpr6
	s_delay_alu instid0(VALU_DEP_1) | instskip(NEXT) | instid1(VALU_DEP_1)
	v_and_b32_e32 v0, 0x7f800000, v24
	v_cmpx_ne_u32_e32 0x7f800000, v0
	s_xor_b32 s40, exec_lo, s40
; %bb.1411:                             ;   in Loop: Header=BB12_1325 Depth=3
	v_bfe_u32 v0, v24, 16, 1
	s_delay_alu instid0(VALU_DEP_1)
	v_add3_u32 v6, v24, v0, 0x7fff
                                        ; implicit-def: $vgpr24_vgpr25
; %bb.1412:                             ;   in Loop: Header=BB12_1325 Depth=3
	s_and_not1_saveexec_b32 s40, s40
; %bb.1413:                             ;   in Loop: Header=BB12_1325 Depth=3
	v_and_b32_e32 v0, 0xffff, v24
	v_or_b32_e32 v1, 0x10000, v24
	s_delay_alu instid0(VALU_DEP_2) | instskip(NEXT) | instid1(VALU_DEP_2)
	v_cmp_eq_u32_e32 vcc_lo, 0, v0
	v_cndmask_b32_e32 v6, v1, v24, vcc_lo
; %bb.1414:                             ;   in Loop: Header=BB12_1325 Depth=3
	s_or_b32 exec_lo, exec_lo, s40
	v_lshlrev_b32_e32 v0, 16, v19
	v_lshlrev_b32_e32 v1, 16, v27
	s_mov_b32 s40, exec_lo
                                        ; implicit-def: $vgpr7
	s_delay_alu instid0(VALU_DEP_1) | instskip(NEXT) | instid1(VALU_DEP_1)
	v_mul_f32_e32 v0, v1, v0
	v_and_b32_e32 v1, 0x7f800000, v0
	s_delay_alu instid0(VALU_DEP_1)
	v_cmpx_ne_u32_e32 0x7f800000, v1
	s_xor_b32 s40, exec_lo, s40
; %bb.1415:                             ;   in Loop: Header=BB12_1325 Depth=3
	v_bfe_u32 v1, v0, 16, 1
	s_delay_alu instid0(VALU_DEP_1)
	v_add3_u32 v7, v0, v1, 0x7fff
                                        ; implicit-def: $vgpr0
; %bb.1416:                             ;   in Loop: Header=BB12_1325 Depth=3
	s_and_not1_saveexec_b32 s40, s40
; %bb.1417:                             ;   in Loop: Header=BB12_1325 Depth=3
	v_and_b32_e32 v1, 0xffff, v0
	v_or_b32_e32 v7, 0x10000, v0
	s_delay_alu instid0(VALU_DEP_2) | instskip(NEXT) | instid1(VALU_DEP_2)
	v_cmp_eq_u32_e32 vcc_lo, 0, v1
	v_cndmask_b32_e32 v7, v7, v0, vcc_lo
; %bb.1418:                             ;   in Loop: Header=BB12_1325 Depth=3
	s_or_b32 exec_lo, exec_lo, s40
	v_and_b32_e32 v1, 0xffff0000, v27
	v_and_b32_e32 v0, 0xffff0000, v19
	s_mov_b32 s40, exec_lo
                                        ; implicit-def: $vgpr27
	s_delay_alu instid0(VALU_DEP_2) | instskip(NEXT) | instid1(VALU_DEP_1)
	v_mov_b32_e32 v24, v1
	v_pk_mul_f32 v[24:25], v[24:25], v[0:1]
	s_delay_alu instid0(VALU_DEP_1) | instskip(NEXT) | instid1(VALU_DEP_1)
	v_and_b32_e32 v0, 0x7f800000, v24
	v_cmpx_ne_u32_e32 0x7f800000, v0
	s_xor_b32 s40, exec_lo, s40
; %bb.1419:                             ;   in Loop: Header=BB12_1325 Depth=3
	v_bfe_u32 v0, v24, 16, 1
	s_delay_alu instid0(VALU_DEP_1)
	v_add3_u32 v27, v24, v0, 0x7fff
                                        ; implicit-def: $vgpr24_vgpr25
; %bb.1420:                             ;   in Loop: Header=BB12_1325 Depth=3
	s_and_not1_saveexec_b32 s40, s40
; %bb.1421:                             ;   in Loop: Header=BB12_1325 Depth=3
	v_and_b32_e32 v0, 0xffff, v24
	v_or_b32_e32 v1, 0x10000, v24
	s_delay_alu instid0(VALU_DEP_2) | instskip(NEXT) | instid1(VALU_DEP_2)
	v_cmp_eq_u32_e32 vcc_lo, 0, v0
	v_cndmask_b32_e32 v27, v1, v24, vcc_lo
; %bb.1422:                             ;   in Loop: Header=BB12_1325 Depth=3
	s_or_b32 exec_lo, exec_lo, s40
	v_lshlrev_b32_e32 v0, 16, v12
	v_lshlrev_b32_e32 v1, 16, v8
	s_mov_b32 s40, exec_lo
                                        ; implicit-def: $vgpr75
	s_delay_alu instid0(VALU_DEP_1) | instskip(NEXT) | instid1(VALU_DEP_1)
	v_mul_f32_e32 v0, v0, v1
	v_and_b32_e32 v1, 0x7f800000, v0
	s_delay_alu instid0(VALU_DEP_1)
	v_cmpx_ne_u32_e32 0x7f800000, v1
	s_xor_b32 s40, exec_lo, s40
; %bb.1423:                             ;   in Loop: Header=BB12_1325 Depth=3
	v_bfe_u32 v1, v0, 16, 1
	s_delay_alu instid0(VALU_DEP_1)
	v_add3_u32 v75, v0, v1, 0x7fff
                                        ; implicit-def: $vgpr0
; %bb.1424:                             ;   in Loop: Header=BB12_1325 Depth=3
	s_and_not1_saveexec_b32 s40, s40
; %bb.1425:                             ;   in Loop: Header=BB12_1325 Depth=3
	v_and_b32_e32 v1, 0xffff, v0
	v_or_b32_e32 v24, 0x10000, v0
	s_delay_alu instid0(VALU_DEP_2) | instskip(NEXT) | instid1(VALU_DEP_2)
	v_cmp_eq_u32_e32 vcc_lo, 0, v1
	v_cndmask_b32_e32 v75, v24, v0, vcc_lo
; %bb.1426:                             ;   in Loop: Header=BB12_1325 Depth=3
	s_or_b32 exec_lo, exec_lo, s40
	v_and_b32_e32 v1, 0xffff0000, v12
	v_and_b32_e32 v0, 0xffff0000, v8
	s_mov_b32 s40, exec_lo
                                        ; implicit-def: $vgpr44
	s_delay_alu instid0(VALU_DEP_2) | instskip(NEXT) | instid1(VALU_DEP_1)
	v_mov_b32_e32 v12, v1
	v_pk_mul_f32 v[24:25], v[12:13], v[0:1]
	s_delay_alu instid0(VALU_DEP_1) | instskip(NEXT) | instid1(VALU_DEP_1)
	v_and_b32_e32 v0, 0x7f800000, v24
	v_cmpx_ne_u32_e32 0x7f800000, v0
	s_xor_b32 s40, exec_lo, s40
; %bb.1427:                             ;   in Loop: Header=BB12_1325 Depth=3
	v_bfe_u32 v0, v24, 16, 1
	s_delay_alu instid0(VALU_DEP_1)
	v_add3_u32 v44, v24, v0, 0x7fff
                                        ; implicit-def: $vgpr24_vgpr25
; %bb.1428:                             ;   in Loop: Header=BB12_1325 Depth=3
	s_and_not1_saveexec_b32 s40, s40
; %bb.1429:                             ;   in Loop: Header=BB12_1325 Depth=3
	v_and_b32_e32 v0, 0xffff, v24
	v_or_b32_e32 v1, 0x10000, v24
	s_delay_alu instid0(VALU_DEP_2) | instskip(NEXT) | instid1(VALU_DEP_2)
	v_cmp_eq_u32_e32 vcc_lo, 0, v0
	v_cndmask_b32_e32 v44, v1, v24, vcc_lo
; %bb.1430:                             ;   in Loop: Header=BB12_1325 Depth=3
	s_or_b32 exec_lo, exec_lo, s40
	v_lshlrev_b32_e32 v0, 16, v9
	v_lshlrev_b32_e32 v1, 16, v13
	s_mov_b32 s40, exec_lo
                                        ; implicit-def: $vgpr45
	s_delay_alu instid0(VALU_DEP_1) | instskip(NEXT) | instid1(VALU_DEP_1)
	v_mul_f32_e32 v0, v1, v0
	v_and_b32_e32 v1, 0x7f800000, v0
	s_delay_alu instid0(VALU_DEP_1)
	v_cmpx_ne_u32_e32 0x7f800000, v1
	s_xor_b32 s40, exec_lo, s40
; %bb.1431:                             ;   in Loop: Header=BB12_1325 Depth=3
	v_bfe_u32 v1, v0, 16, 1
	s_delay_alu instid0(VALU_DEP_1)
	v_add3_u32 v45, v0, v1, 0x7fff
                                        ; implicit-def: $vgpr0
; %bb.1432:                             ;   in Loop: Header=BB12_1325 Depth=3
	s_and_not1_saveexec_b32 s40, s40
; %bb.1433:                             ;   in Loop: Header=BB12_1325 Depth=3
	v_and_b32_e32 v1, 0xffff, v0
	v_or_b32_e32 v12, 0x10000, v0
	s_delay_alu instid0(VALU_DEP_2) | instskip(NEXT) | instid1(VALU_DEP_2)
	v_cmp_eq_u32_e32 vcc_lo, 0, v1
	v_cndmask_b32_e32 v45, v12, v0, vcc_lo
; %bb.1434:                             ;   in Loop: Header=BB12_1325 Depth=3
	s_or_b32 exec_lo, exec_lo, s40
	v_and_b32_e32 v1, 0xffff0000, v13
	v_and_b32_e32 v0, 0xffff0000, v9
	s_mov_b32 s40, exec_lo
                                        ; implicit-def: $vgpr29
	s_delay_alu instid0(VALU_DEP_2) | instskip(NEXT) | instid1(VALU_DEP_1)
	v_mov_b32_e32 v12, v1
	v_pk_mul_f32 v[12:13], v[12:13], v[0:1]
	s_delay_alu instid0(VALU_DEP_1) | instskip(NEXT) | instid1(VALU_DEP_1)
	v_and_b32_e32 v0, 0x7f800000, v12
	v_cmpx_ne_u32_e32 0x7f800000, v0
	s_xor_b32 s40, exec_lo, s40
; %bb.1435:                             ;   in Loop: Header=BB12_1325 Depth=3
	v_bfe_u32 v0, v12, 16, 1
	s_delay_alu instid0(VALU_DEP_1)
	v_add3_u32 v29, v12, v0, 0x7fff
                                        ; implicit-def: $vgpr12_vgpr13
; %bb.1436:                             ;   in Loop: Header=BB12_1325 Depth=3
	s_and_not1_saveexec_b32 s40, s40
; %bb.1437:                             ;   in Loop: Header=BB12_1325 Depth=3
	v_and_b32_e32 v0, 0xffff, v12
	v_or_b32_e32 v1, 0x10000, v12
	s_delay_alu instid0(VALU_DEP_2) | instskip(NEXT) | instid1(VALU_DEP_2)
	v_cmp_eq_u32_e32 vcc_lo, 0, v0
	v_cndmask_b32_e32 v29, v1, v12, vcc_lo
; %bb.1438:                             ;   in Loop: Header=BB12_1325 Depth=3
	s_or_b32 exec_lo, exec_lo, s40
	v_lshlrev_b32_e32 v0, 16, v14
	v_lshlrev_b32_e32 v1, 16, v10
	s_delay_alu instid0(VALU_DEP_1) | instskip(NEXT) | instid1(VALU_DEP_1)
	v_mul_f32_e32 v1, v0, v1
	v_and_b32_e32 v0, 0x7f800000, v1
	s_delay_alu instid0(VALU_DEP_1) | instskip(SKIP_1) | instid1(SALU_CYCLE_1)
	v_cmp_ne_u32_e32 vcc_lo, 0x7f800000, v0
                                        ; implicit-def: $vgpr0
	s_and_saveexec_b32 s40, vcc_lo
	s_xor_b32 s40, exec_lo, s40
; %bb.1439:                             ;   in Loop: Header=BB12_1325 Depth=3
	v_bfe_u32 v0, v1, 16, 1
	s_delay_alu instid0(VALU_DEP_1)
	v_add3_u32 v0, v1, v0, 0x7fff
                                        ; implicit-def: $vgpr1
; %bb.1440:                             ;   in Loop: Header=BB12_1325 Depth=3
	s_and_not1_saveexec_b32 s40, s40
; %bb.1441:                             ;   in Loop: Header=BB12_1325 Depth=3
	v_and_b32_e32 v0, 0xffff, v1
	v_or_b32_e32 v12, 0x10000, v1
	s_delay_alu instid0(VALU_DEP_2) | instskip(NEXT) | instid1(VALU_DEP_2)
	v_cmp_eq_u32_e32 vcc_lo, 0, v0
	v_cndmask_b32_e32 v0, v12, v1, vcc_lo
; %bb.1442:                             ;   in Loop: Header=BB12_1325 Depth=3
	s_or_b32 exec_lo, exec_lo, s40
	v_and_b32_e32 v13, 0xffff0000, v14
	v_and_b32_e32 v12, 0xffff0000, v10
	s_delay_alu instid0(VALU_DEP_2) | instskip(NEXT) | instid1(VALU_DEP_1)
	v_mov_b32_e32 v14, v13
	v_pk_mul_f32 v[12:13], v[14:15], v[12:13]
	s_delay_alu instid0(VALU_DEP_1) | instskip(NEXT) | instid1(VALU_DEP_1)
	v_and_b32_e32 v1, 0x7f800000, v12
	v_cmp_ne_u32_e32 vcc_lo, 0x7f800000, v1
                                        ; implicit-def: $vgpr1
	s_and_saveexec_b32 s40, vcc_lo
	s_delay_alu instid0(SALU_CYCLE_1)
	s_xor_b32 s40, exec_lo, s40
; %bb.1443:                             ;   in Loop: Header=BB12_1325 Depth=3
	v_bfe_u32 v1, v12, 16, 1
	s_delay_alu instid0(VALU_DEP_1)
	v_add3_u32 v1, v12, v1, 0x7fff
                                        ; implicit-def: $vgpr12_vgpr13
; %bb.1444:                             ;   in Loop: Header=BB12_1325 Depth=3
	s_and_not1_saveexec_b32 s40, s40
; %bb.1445:                             ;   in Loop: Header=BB12_1325 Depth=3
	v_and_b32_e32 v1, 0xffff, v12
	v_or_b32_e32 v13, 0x10000, v12
	s_delay_alu instid0(VALU_DEP_2) | instskip(NEXT) | instid1(VALU_DEP_2)
	v_cmp_eq_u32_e32 vcc_lo, 0, v1
	v_cndmask_b32_e32 v1, v13, v12, vcc_lo
; %bb.1446:                             ;   in Loop: Header=BB12_1325 Depth=3
	s_or_b32 exec_lo, exec_lo, s40
	v_lshlrev_b32_e32 v12, 16, v11
	v_lshlrev_b32_e32 v13, 16, v15
	s_mov_b32 s40, exec_lo
                                        ; implicit-def: $vgpr14
	s_delay_alu instid0(VALU_DEP_1) | instskip(NEXT) | instid1(VALU_DEP_1)
	v_mul_f32_e32 v12, v13, v12
	v_and_b32_e32 v13, 0x7f800000, v12
	s_delay_alu instid0(VALU_DEP_1)
	v_cmpx_ne_u32_e32 0x7f800000, v13
	s_xor_b32 s40, exec_lo, s40
; %bb.1447:                             ;   in Loop: Header=BB12_1325 Depth=3
	v_bfe_u32 v13, v12, 16, 1
	s_delay_alu instid0(VALU_DEP_1)
	v_add3_u32 v14, v12, v13, 0x7fff
                                        ; implicit-def: $vgpr12
; %bb.1448:                             ;   in Loop: Header=BB12_1325 Depth=3
	s_and_not1_saveexec_b32 s40, s40
; %bb.1449:                             ;   in Loop: Header=BB12_1325 Depth=3
	v_and_b32_e32 v13, 0xffff, v12
	v_or_b32_e32 v14, 0x10000, v12
	s_delay_alu instid0(VALU_DEP_2) | instskip(NEXT) | instid1(VALU_DEP_2)
	v_cmp_eq_u32_e32 vcc_lo, 0, v13
	v_cndmask_b32_e32 v14, v14, v12, vcc_lo
; %bb.1450:                             ;   in Loop: Header=BB12_1325 Depth=3
	s_or_b32 exec_lo, exec_lo, s40
	v_and_b32_e32 v13, 0xffff0000, v15
	v_and_b32_e32 v12, 0xffff0000, v11
	s_mov_b32 s40, exec_lo
                                        ; implicit-def: $vgpr15
	s_delay_alu instid0(VALU_DEP_2) | instskip(NEXT) | instid1(VALU_DEP_1)
	v_mov_b32_e32 v24, v13
	v_pk_mul_f32 v[12:13], v[24:25], v[12:13]
	s_delay_alu instid0(VALU_DEP_1) | instskip(NEXT) | instid1(VALU_DEP_1)
	v_and_b32_e32 v13, 0x7f800000, v12
	v_cmpx_ne_u32_e32 0x7f800000, v13
	s_xor_b32 s40, exec_lo, s40
; %bb.1451:                             ;   in Loop: Header=BB12_1325 Depth=3
	v_bfe_u32 v13, v12, 16, 1
	s_delay_alu instid0(VALU_DEP_1)
	v_add3_u32 v15, v12, v13, 0x7fff
                                        ; implicit-def: $vgpr12_vgpr13
; %bb.1452:                             ;   in Loop: Header=BB12_1325 Depth=3
	s_and_not1_saveexec_b32 s40, s40
; %bb.1453:                             ;   in Loop: Header=BB12_1325 Depth=3
	v_and_b32_e32 v13, 0xffff, v12
	v_or_b32_e32 v15, 0x10000, v12
	s_delay_alu instid0(VALU_DEP_2) | instskip(NEXT) | instid1(VALU_DEP_2)
	v_cmp_eq_u32_e32 vcc_lo, 0, v13
	v_cndmask_b32_e32 v15, v15, v12, vcc_lo
; %bb.1454:                             ;   in Loop: Header=BB12_1325 Depth=3
	s_or_b32 exec_lo, exec_lo, s40
	v_dual_lshrrev_b32 v12, 16, v36 :: v_dual_lshrrev_b32 v13, 16, v109
	v_dual_lshrrev_b32 v26, 16, v47 :: v_dual_lshrrev_b32 v36, 16, v80
	v_lshrrev_b32_e32 v7, 16, v7
	s_delay_alu instid0(VALU_DEP_3) | instskip(SKIP_1) | instid1(VALU_DEP_4)
	v_and_or_b32 v25, 0xffff0000, v37, v12
	v_lshrrev_b32_e32 v12, 16, v122
	v_and_or_b32 v26, 0xffff0000, v6, v26
	v_dual_lshrrev_b32 v6, 16, v95 :: v_dual_lshrrev_b32 v2, 16, v2
	v_and_or_b32 v27, 0xffff0000, v27, v7
	v_lshrrev_b32_e32 v7, 16, v108
	v_and_or_b32 v24, 0xffff0000, v46, v13
	v_and_or_b32 v37, 0xffff0000, v81, v36
	;; [unrolled: 1-line block ×3, first 2 shown]
	v_lshrrev_b32_e32 v12, 16, v118
	v_lshrrev_b32_e32 v13, 16, v42
	v_and_or_b32 v38, 0xffff0000, v38, v6
	v_lshrrev_b32_e32 v6, 16, v45
	v_and_or_b32 v80, 0xffff0000, v77, v2
	;; [unrolled: 2-line block ×3, first 2 shown]
	v_dual_lshrrev_b32 v7, 16, v75 :: v_dual_lshrrev_b32 v0, 16, v0
	v_lshrrev_b32_e32 v118, 16, v14
	v_and_or_b32 v81, 0xffff0000, v119, v12
	v_and_or_b32 v82, 0xffff0000, v82, v13
	;; [unrolled: 1-line block ×7, first 2 shown]
	s_clause 0x3
	global_store_b128 v[4:5], v[80:83], off th:TH_STORE_NT
	global_store_b128 v[4:5], v[36:39], off offset:512 th:TH_STORE_NT
	global_store_b128 v[4:5], v[24:27], off offset:1024 th:TH_STORE_NT
	;; [unrolled: 1-line block ×3, first 2 shown]
	s_clause 0x3
	global_store_b128 v[110:111], v[80:83], off th:TH_STORE_NT
	global_store_b128 v[110:111], v[36:39], off offset:512 th:TH_STORE_NT
	global_store_b128 v[110:111], v[24:27], off offset:1024 th:TH_STORE_NT
	;; [unrolled: 1-line block ×3, first 2 shown]
	s_wait_xcnt 0x4
	v_add_nc_u64_e32 v[4:5], v[4:5], v[106:107]
	s_wait_xcnt 0x0
	v_add_nc_u64_e32 v[110:111], v[110:111], v[106:107]
.LBB12_1455:                            ;   in Loop: Header=BB12_1325 Depth=3
	s_or_b32 exec_lo, exec_lo, s41
	v_sub_nc_u32_e32 v31, v31, v60
	v_add_nc_u64_e32 v[62:63], v[62:63], v[106:107]
	v_add_nc_u64_e32 v[124:125], v[124:125], v[106:107]
	s_delay_alu instid0(VALU_DEP_3)
	v_cmp_lt_i32_e64 s40, 0, v31
	s_and_saveexec_b32 s41, s40
	s_cbranch_execz .LBB12_1457
; %bb.1456:                             ;   in Loop: Header=BB12_1325 Depth=3
	s_clause 0x3
	global_load_b128 v[80:83], v[62:63], off th:TH_LOAD_NT
	global_load_b128 v[36:39], v[62:63], off offset:512 th:TH_LOAD_NT
	global_load_b128 v[24:27], v[62:63], off offset:1024 th:TH_LOAD_NT
	;; [unrolled: 1-line block ×3, first 2 shown]
	s_clause 0x3
	global_load_b128 v[32:35], v[124:125], off th:TH_LOAD_NT
	global_load_b128 v[20:23], v[124:125], off offset:512 th:TH_LOAD_NT
	global_load_b128 v[16:19], v[124:125], off offset:1024 th:TH_LOAD_NT
	;; [unrolled: 1-line block ×3, first 2 shown]
	s_wait_xcnt 0x4
	v_add_nc_u64_e32 v[62:63], 0x800, v[62:63]
	s_wait_xcnt 0x0
	v_add_nc_u64_e32 v[124:125], 0x800, v[124:125]
.LBB12_1457:                            ;   in Loop: Header=BB12_1325 Depth=3
	s_or_b32 exec_lo, exec_lo, s41
	s_wait_loadcnt 0x7
	v_lshlrev_b32_e32 v0, 16, v100
	s_wait_loadcnt 0x3
	v_lshlrev_b32_e32 v1, 16, v112
	s_mov_b32 s41, exec_lo
                                        ; implicit-def: $vgpr2
	s_delay_alu instid0(VALU_DEP_1) | instskip(NEXT) | instid1(VALU_DEP_1)
	v_mul_f32_e32 v0, v1, v0
	v_and_b32_e32 v1, 0x7f800000, v0
	s_delay_alu instid0(VALU_DEP_1)
	v_cmpx_ne_u32_e32 0x7f800000, v1
	s_xor_b32 s41, exec_lo, s41
; %bb.1458:                             ;   in Loop: Header=BB12_1325 Depth=3
	v_bfe_u32 v1, v0, 16, 1
	s_delay_alu instid0(VALU_DEP_1)
	v_add3_u32 v2, v0, v1, 0x7fff
                                        ; implicit-def: $vgpr0
; %bb.1459:                             ;   in Loop: Header=BB12_1325 Depth=3
	s_and_not1_saveexec_b32 s41, s41
; %bb.1460:                             ;   in Loop: Header=BB12_1325 Depth=3
	v_and_b32_e32 v1, 0xffff, v0
	v_or_b32_e32 v2, 0x10000, v0
	s_delay_alu instid0(VALU_DEP_2) | instskip(NEXT) | instid1(VALU_DEP_2)
	v_cmp_eq_u32_e32 vcc_lo, 0, v1
	v_cndmask_b32_e32 v2, v2, v0, vcc_lo
; %bb.1461:                             ;   in Loop: Header=BB12_1325 Depth=3
	s_or_b32 exec_lo, exec_lo, s41
	v_and_b32_e32 v1, 0xffff0000, v112
	v_and_b32_e32 v0, 0xffff0000, v100
	s_mov_b32 s41, exec_lo
                                        ; implicit-def: $vgpr112
	s_delay_alu instid0(VALU_DEP_2) | instskip(NEXT) | instid1(VALU_DEP_1)
	v_mov_b32_e32 v6, v1
	v_pk_mul_f32 v[118:119], v[6:7], v[0:1]
	s_delay_alu instid0(VALU_DEP_1) | instskip(NEXT) | instid1(VALU_DEP_1)
	v_and_b32_e32 v0, 0x7f800000, v118
	v_cmpx_ne_u32_e32 0x7f800000, v0
	s_xor_b32 s41, exec_lo, s41
; %bb.1462:                             ;   in Loop: Header=BB12_1325 Depth=3
	v_bfe_u32 v0, v118, 16, 1
	s_delay_alu instid0(VALU_DEP_1)
	v_add3_u32 v112, v118, v0, 0x7fff
                                        ; implicit-def: $vgpr118_vgpr119
; %bb.1463:                             ;   in Loop: Header=BB12_1325 Depth=3
	s_and_not1_saveexec_b32 s41, s41
; %bb.1464:                             ;   in Loop: Header=BB12_1325 Depth=3
	v_and_b32_e32 v0, 0xffff, v118
	v_or_b32_e32 v1, 0x10000, v118
	s_delay_alu instid0(VALU_DEP_2) | instskip(NEXT) | instid1(VALU_DEP_2)
	v_cmp_eq_u32_e32 vcc_lo, 0, v0
	v_cndmask_b32_e32 v112, v1, v118, vcc_lo
; %bb.1465:                             ;   in Loop: Header=BB12_1325 Depth=3
	s_or_b32 exec_lo, exec_lo, s41
	v_lshlrev_b32_e32 v0, 16, v101
	v_lshlrev_b32_e32 v1, 16, v113
	s_mov_b32 s41, exec_lo
                                        ; implicit-def: $vgpr118
	s_delay_alu instid0(VALU_DEP_1) | instskip(NEXT) | instid1(VALU_DEP_1)
	v_mul_f32_e32 v0, v1, v0
	v_and_b32_e32 v1, 0x7f800000, v0
	s_delay_alu instid0(VALU_DEP_1)
	v_cmpx_ne_u32_e32 0x7f800000, v1
	s_xor_b32 s41, exec_lo, s41
; %bb.1466:                             ;   in Loop: Header=BB12_1325 Depth=3
	v_bfe_u32 v1, v0, 16, 1
	s_delay_alu instid0(VALU_DEP_1)
	v_add3_u32 v118, v0, v1, 0x7fff
                                        ; implicit-def: $vgpr0
; %bb.1467:                             ;   in Loop: Header=BB12_1325 Depth=3
	s_and_not1_saveexec_b32 s41, s41
; %bb.1468:                             ;   in Loop: Header=BB12_1325 Depth=3
	v_and_b32_e32 v1, 0xffff, v0
	v_or_b32_e32 v6, 0x10000, v0
	s_delay_alu instid0(VALU_DEP_2) | instskip(NEXT) | instid1(VALU_DEP_2)
	v_cmp_eq_u32_e32 vcc_lo, 0, v1
	v_cndmask_b32_e32 v118, v6, v0, vcc_lo
; %bb.1469:                             ;   in Loop: Header=BB12_1325 Depth=3
	s_or_b32 exec_lo, exec_lo, s41
	v_and_b32_e32 v1, 0xffff0000, v113
	v_and_b32_e32 v0, 0xffff0000, v101
	s_mov_b32 s41, exec_lo
                                        ; implicit-def: $vgpr113
	s_delay_alu instid0(VALU_DEP_2) | instskip(NEXT) | instid1(VALU_DEP_1)
	v_mov_b32_e32 v6, v1
	v_pk_mul_f32 v[100:101], v[6:7], v[0:1]
	s_delay_alu instid0(VALU_DEP_1) | instskip(NEXT) | instid1(VALU_DEP_1)
	v_and_b32_e32 v0, 0x7f800000, v100
	v_cmpx_ne_u32_e32 0x7f800000, v0
	s_xor_b32 s41, exec_lo, s41
; %bb.1470:                             ;   in Loop: Header=BB12_1325 Depth=3
	v_bfe_u32 v0, v100, 16, 1
	s_delay_alu instid0(VALU_DEP_1)
	v_add3_u32 v113, v100, v0, 0x7fff
                                        ; implicit-def: $vgpr100_vgpr101
; %bb.1471:                             ;   in Loop: Header=BB12_1325 Depth=3
	s_and_not1_saveexec_b32 s41, s41
; %bb.1472:                             ;   in Loop: Header=BB12_1325 Depth=3
	v_and_b32_e32 v0, 0xffff, v100
	v_or_b32_e32 v1, 0x10000, v100
	s_delay_alu instid0(VALU_DEP_2) | instskip(NEXT) | instid1(VALU_DEP_2)
	v_cmp_eq_u32_e32 vcc_lo, 0, v0
	v_cndmask_b32_e32 v113, v1, v100, vcc_lo
; %bb.1473:                             ;   in Loop: Header=BB12_1325 Depth=3
	s_or_b32 exec_lo, exec_lo, s41
	v_lshlrev_b32_e32 v0, 16, v102
	v_lshlrev_b32_e32 v1, 16, v114
	s_mov_b32 s41, exec_lo
                                        ; implicit-def: $vgpr119
	s_delay_alu instid0(VALU_DEP_1) | instskip(NEXT) | instid1(VALU_DEP_1)
	v_mul_f32_e32 v0, v1, v0
	v_and_b32_e32 v1, 0x7f800000, v0
	s_delay_alu instid0(VALU_DEP_1)
	v_cmpx_ne_u32_e32 0x7f800000, v1
	s_xor_b32 s41, exec_lo, s41
; %bb.1474:                             ;   in Loop: Header=BB12_1325 Depth=3
	v_bfe_u32 v1, v0, 16, 1
	s_delay_alu instid0(VALU_DEP_1)
	v_add3_u32 v119, v0, v1, 0x7fff
                                        ; implicit-def: $vgpr0
; %bb.1475:                             ;   in Loop: Header=BB12_1325 Depth=3
	s_and_not1_saveexec_b32 s41, s41
; %bb.1476:                             ;   in Loop: Header=BB12_1325 Depth=3
	v_and_b32_e32 v1, 0xffff, v0
	v_or_b32_e32 v6, 0x10000, v0
	s_delay_alu instid0(VALU_DEP_2) | instskip(NEXT) | instid1(VALU_DEP_2)
	v_cmp_eq_u32_e32 vcc_lo, 0, v1
	v_cndmask_b32_e32 v119, v6, v0, vcc_lo
; %bb.1477:                             ;   in Loop: Header=BB12_1325 Depth=3
	s_or_b32 exec_lo, exec_lo, s41
	v_and_b32_e32 v1, 0xffff0000, v114
	v_and_b32_e32 v0, 0xffff0000, v102
	s_mov_b32 s41, exec_lo
                                        ; implicit-def: $vgpr102
	s_delay_alu instid0(VALU_DEP_2) | instskip(NEXT) | instid1(VALU_DEP_1)
	v_mov_b32_e32 v6, v1
	v_pk_mul_f32 v[100:101], v[6:7], v[0:1]
	s_delay_alu instid0(VALU_DEP_1) | instskip(NEXT) | instid1(VALU_DEP_1)
	v_and_b32_e32 v0, 0x7f800000, v100
	v_cmpx_ne_u32_e32 0x7f800000, v0
	s_xor_b32 s41, exec_lo, s41
; %bb.1478:                             ;   in Loop: Header=BB12_1325 Depth=3
	v_bfe_u32 v0, v100, 16, 1
	s_delay_alu instid0(VALU_DEP_1)
	v_add3_u32 v102, v100, v0, 0x7fff
                                        ; implicit-def: $vgpr100_vgpr101
; %bb.1479:                             ;   in Loop: Header=BB12_1325 Depth=3
	s_and_not1_saveexec_b32 s41, s41
; %bb.1480:                             ;   in Loop: Header=BB12_1325 Depth=3
	v_and_b32_e32 v0, 0xffff, v100
	v_or_b32_e32 v1, 0x10000, v100
	s_delay_alu instid0(VALU_DEP_2) | instskip(NEXT) | instid1(VALU_DEP_2)
	v_cmp_eq_u32_e32 vcc_lo, 0, v0
	v_cndmask_b32_e32 v102, v1, v100, vcc_lo
; %bb.1481:                             ;   in Loop: Header=BB12_1325 Depth=3
	s_or_b32 exec_lo, exec_lo, s41
	v_lshlrev_b32_e32 v0, 16, v103
	v_lshlrev_b32_e32 v1, 16, v115
	s_mov_b32 s41, exec_lo
                                        ; implicit-def: $vgpr114
	s_delay_alu instid0(VALU_DEP_1) | instskip(NEXT) | instid1(VALU_DEP_1)
	v_mul_f32_e32 v0, v1, v0
	v_and_b32_e32 v1, 0x7f800000, v0
	s_delay_alu instid0(VALU_DEP_1)
	v_cmpx_ne_u32_e32 0x7f800000, v1
	s_xor_b32 s41, exec_lo, s41
; %bb.1482:                             ;   in Loop: Header=BB12_1325 Depth=3
	v_bfe_u32 v1, v0, 16, 1
	s_delay_alu instid0(VALU_DEP_1)
	v_add3_u32 v114, v0, v1, 0x7fff
                                        ; implicit-def: $vgpr0
; %bb.1483:                             ;   in Loop: Header=BB12_1325 Depth=3
	s_and_not1_saveexec_b32 s41, s41
; %bb.1484:                             ;   in Loop: Header=BB12_1325 Depth=3
	v_and_b32_e32 v1, 0xffff, v0
	v_or_b32_e32 v6, 0x10000, v0
	s_delay_alu instid0(VALU_DEP_2) | instskip(NEXT) | instid1(VALU_DEP_2)
	v_cmp_eq_u32_e32 vcc_lo, 0, v1
	v_cndmask_b32_e32 v114, v6, v0, vcc_lo
; %bb.1485:                             ;   in Loop: Header=BB12_1325 Depth=3
	s_or_b32 exec_lo, exec_lo, s41
	v_and_b32_e32 v1, 0xffff0000, v115
	v_and_b32_e32 v0, 0xffff0000, v103
	s_mov_b32 s41, exec_lo
                                        ; implicit-def: $vgpr103
	s_delay_alu instid0(VALU_DEP_2) | instskip(NEXT) | instid1(VALU_DEP_1)
	v_mov_b32_e32 v6, v1
	v_pk_mul_f32 v[100:101], v[6:7], v[0:1]
	s_delay_alu instid0(VALU_DEP_1) | instskip(NEXT) | instid1(VALU_DEP_1)
	v_and_b32_e32 v0, 0x7f800000, v100
	v_cmpx_ne_u32_e32 0x7f800000, v0
	s_xor_b32 s41, exec_lo, s41
; %bb.1486:                             ;   in Loop: Header=BB12_1325 Depth=3
	v_bfe_u32 v0, v100, 16, 1
	s_delay_alu instid0(VALU_DEP_1)
	v_add3_u32 v103, v100, v0, 0x7fff
                                        ; implicit-def: $vgpr100_vgpr101
; %bb.1487:                             ;   in Loop: Header=BB12_1325 Depth=3
	s_and_not1_saveexec_b32 s41, s41
; %bb.1488:                             ;   in Loop: Header=BB12_1325 Depth=3
	v_and_b32_e32 v0, 0xffff, v100
	v_or_b32_e32 v1, 0x10000, v100
	s_delay_alu instid0(VALU_DEP_2) | instskip(NEXT) | instid1(VALU_DEP_2)
	v_cmp_eq_u32_e32 vcc_lo, 0, v0
	v_cndmask_b32_e32 v103, v1, v100, vcc_lo
; %bb.1489:                             ;   in Loop: Header=BB12_1325 Depth=3
	s_or_b32 exec_lo, exec_lo, s41
	v_lshlrev_b32_e32 v0, 16, v84
	s_wait_loadcnt 0x2
	v_lshlrev_b32_e32 v1, 16, v96
	s_mov_b32 s41, exec_lo
                                        ; implicit-def: $vgpr115
	s_delay_alu instid0(VALU_DEP_1) | instskip(NEXT) | instid1(VALU_DEP_1)
	v_mul_f32_e32 v0, v1, v0
	v_and_b32_e32 v1, 0x7f800000, v0
	s_delay_alu instid0(VALU_DEP_1)
	v_cmpx_ne_u32_e32 0x7f800000, v1
	s_xor_b32 s41, exec_lo, s41
; %bb.1490:                             ;   in Loop: Header=BB12_1325 Depth=3
	v_bfe_u32 v1, v0, 16, 1
	s_delay_alu instid0(VALU_DEP_1)
	v_add3_u32 v115, v0, v1, 0x7fff
                                        ; implicit-def: $vgpr0
; %bb.1491:                             ;   in Loop: Header=BB12_1325 Depth=3
	s_and_not1_saveexec_b32 s41, s41
; %bb.1492:                             ;   in Loop: Header=BB12_1325 Depth=3
	v_and_b32_e32 v1, 0xffff, v0
	v_or_b32_e32 v6, 0x10000, v0
	s_delay_alu instid0(VALU_DEP_2) | instskip(NEXT) | instid1(VALU_DEP_2)
	v_cmp_eq_u32_e32 vcc_lo, 0, v1
	v_cndmask_b32_e32 v115, v6, v0, vcc_lo
; %bb.1493:                             ;   in Loop: Header=BB12_1325 Depth=3
	s_or_b32 exec_lo, exec_lo, s41
	v_and_b32_e32 v1, 0xffff0000, v96
	v_and_b32_e32 v0, 0xffff0000, v84
	s_mov_b32 s41, exec_lo
                                        ; implicit-def: $vgpr96
	s_delay_alu instid0(VALU_DEP_2) | instskip(NEXT) | instid1(VALU_DEP_1)
	v_mov_b32_e32 v6, v1
	v_pk_mul_f32 v[100:101], v[6:7], v[0:1]
	s_delay_alu instid0(VALU_DEP_1) | instskip(NEXT) | instid1(VALU_DEP_1)
	v_and_b32_e32 v0, 0x7f800000, v100
	v_cmpx_ne_u32_e32 0x7f800000, v0
	s_xor_b32 s41, exec_lo, s41
; %bb.1494:                             ;   in Loop: Header=BB12_1325 Depth=3
	v_bfe_u32 v0, v100, 16, 1
	s_delay_alu instid0(VALU_DEP_1)
	v_add3_u32 v96, v100, v0, 0x7fff
                                        ; implicit-def: $vgpr100_vgpr101
; %bb.1495:                             ;   in Loop: Header=BB12_1325 Depth=3
	s_and_not1_saveexec_b32 s41, s41
; %bb.1496:                             ;   in Loop: Header=BB12_1325 Depth=3
	v_and_b32_e32 v0, 0xffff, v100
	v_or_b32_e32 v1, 0x10000, v100
	s_delay_alu instid0(VALU_DEP_2) | instskip(NEXT) | instid1(VALU_DEP_2)
	v_cmp_eq_u32_e32 vcc_lo, 0, v0
	v_cndmask_b32_e32 v96, v1, v100, vcc_lo
; %bb.1497:                             ;   in Loop: Header=BB12_1325 Depth=3
	s_or_b32 exec_lo, exec_lo, s41
	v_lshlrev_b32_e32 v0, 16, v85
	v_lshlrev_b32_e32 v1, 16, v97
	s_mov_b32 s41, exec_lo
                                        ; implicit-def: $vgpr100
	s_delay_alu instid0(VALU_DEP_1) | instskip(NEXT) | instid1(VALU_DEP_1)
	v_mul_f32_e32 v0, v1, v0
	v_and_b32_e32 v1, 0x7f800000, v0
	s_delay_alu instid0(VALU_DEP_1)
	v_cmpx_ne_u32_e32 0x7f800000, v1
	s_xor_b32 s41, exec_lo, s41
; %bb.1498:                             ;   in Loop: Header=BB12_1325 Depth=3
	v_bfe_u32 v1, v0, 16, 1
	s_delay_alu instid0(VALU_DEP_1)
	v_add3_u32 v100, v0, v1, 0x7fff
                                        ; implicit-def: $vgpr0
; %bb.1499:                             ;   in Loop: Header=BB12_1325 Depth=3
	s_and_not1_saveexec_b32 s41, s41
; %bb.1500:                             ;   in Loop: Header=BB12_1325 Depth=3
	v_and_b32_e32 v1, 0xffff, v0
	v_or_b32_e32 v6, 0x10000, v0
	s_delay_alu instid0(VALU_DEP_2) | instskip(NEXT) | instid1(VALU_DEP_2)
	v_cmp_eq_u32_e32 vcc_lo, 0, v1
	v_cndmask_b32_e32 v100, v6, v0, vcc_lo
; %bb.1501:                             ;   in Loop: Header=BB12_1325 Depth=3
	s_or_b32 exec_lo, exec_lo, s41
	v_and_b32_e32 v1, 0xffff0000, v97
	v_and_b32_e32 v0, 0xffff0000, v85
	s_mov_b32 s41, exec_lo
                                        ; implicit-def: $vgpr97
	s_delay_alu instid0(VALU_DEP_2) | instskip(NEXT) | instid1(VALU_DEP_1)
	v_mov_b32_e32 v6, v1
	v_pk_mul_f32 v[84:85], v[6:7], v[0:1]
	s_delay_alu instid0(VALU_DEP_1) | instskip(NEXT) | instid1(VALU_DEP_1)
	v_and_b32_e32 v0, 0x7f800000, v84
	v_cmpx_ne_u32_e32 0x7f800000, v0
	s_xor_b32 s41, exec_lo, s41
; %bb.1502:                             ;   in Loop: Header=BB12_1325 Depth=3
	v_bfe_u32 v0, v84, 16, 1
	s_delay_alu instid0(VALU_DEP_1)
	v_add3_u32 v97, v84, v0, 0x7fff
                                        ; implicit-def: $vgpr84_vgpr85
; %bb.1503:                             ;   in Loop: Header=BB12_1325 Depth=3
	s_and_not1_saveexec_b32 s41, s41
; %bb.1504:                             ;   in Loop: Header=BB12_1325 Depth=3
	v_and_b32_e32 v0, 0xffff, v84
	v_or_b32_e32 v1, 0x10000, v84
	s_delay_alu instid0(VALU_DEP_2) | instskip(NEXT) | instid1(VALU_DEP_2)
	v_cmp_eq_u32_e32 vcc_lo, 0, v0
	v_cndmask_b32_e32 v97, v1, v84, vcc_lo
; %bb.1505:                             ;   in Loop: Header=BB12_1325 Depth=3
	s_or_b32 exec_lo, exec_lo, s41
	v_lshlrev_b32_e32 v0, 16, v86
	v_lshlrev_b32_e32 v1, 16, v98
	s_mov_b32 s41, exec_lo
                                        ; implicit-def: $vgpr101
	s_delay_alu instid0(VALU_DEP_1) | instskip(NEXT) | instid1(VALU_DEP_1)
	v_mul_f32_e32 v0, v1, v0
	v_and_b32_e32 v1, 0x7f800000, v0
	s_delay_alu instid0(VALU_DEP_1)
	v_cmpx_ne_u32_e32 0x7f800000, v1
	s_xor_b32 s41, exec_lo, s41
; %bb.1506:                             ;   in Loop: Header=BB12_1325 Depth=3
	v_bfe_u32 v1, v0, 16, 1
	s_delay_alu instid0(VALU_DEP_1)
	v_add3_u32 v101, v0, v1, 0x7fff
                                        ; implicit-def: $vgpr0
; %bb.1507:                             ;   in Loop: Header=BB12_1325 Depth=3
	s_and_not1_saveexec_b32 s41, s41
; %bb.1508:                             ;   in Loop: Header=BB12_1325 Depth=3
	v_and_b32_e32 v1, 0xffff, v0
	v_or_b32_e32 v6, 0x10000, v0
	s_delay_alu instid0(VALU_DEP_2) | instskip(NEXT) | instid1(VALU_DEP_2)
	v_cmp_eq_u32_e32 vcc_lo, 0, v1
	v_cndmask_b32_e32 v101, v6, v0, vcc_lo
; %bb.1509:                             ;   in Loop: Header=BB12_1325 Depth=3
	s_or_b32 exec_lo, exec_lo, s41
	v_and_b32_e32 v1, 0xffff0000, v98
	v_and_b32_e32 v0, 0xffff0000, v86
	s_mov_b32 s41, exec_lo
                                        ; implicit-def: $vgpr86
	s_delay_alu instid0(VALU_DEP_2) | instskip(NEXT) | instid1(VALU_DEP_1)
	v_mov_b32_e32 v6, v1
	v_pk_mul_f32 v[84:85], v[6:7], v[0:1]
	s_delay_alu instid0(VALU_DEP_1) | instskip(NEXT) | instid1(VALU_DEP_1)
	v_and_b32_e32 v0, 0x7f800000, v84
	v_cmpx_ne_u32_e32 0x7f800000, v0
	s_xor_b32 s41, exec_lo, s41
; %bb.1510:                             ;   in Loop: Header=BB12_1325 Depth=3
	v_bfe_u32 v0, v84, 16, 1
	s_delay_alu instid0(VALU_DEP_1)
	v_add3_u32 v86, v84, v0, 0x7fff
                                        ; implicit-def: $vgpr84_vgpr85
; %bb.1511:                             ;   in Loop: Header=BB12_1325 Depth=3
	s_and_not1_saveexec_b32 s41, s41
; %bb.1512:                             ;   in Loop: Header=BB12_1325 Depth=3
	v_and_b32_e32 v0, 0xffff, v84
	v_or_b32_e32 v1, 0x10000, v84
	s_delay_alu instid0(VALU_DEP_2) | instskip(NEXT) | instid1(VALU_DEP_2)
	v_cmp_eq_u32_e32 vcc_lo, 0, v0
	v_cndmask_b32_e32 v86, v1, v84, vcc_lo
; %bb.1513:                             ;   in Loop: Header=BB12_1325 Depth=3
	s_or_b32 exec_lo, exec_lo, s41
	v_lshlrev_b32_e32 v0, 16, v87
	v_lshlrev_b32_e32 v1, 16, v99
	s_mov_b32 s41, exec_lo
                                        ; implicit-def: $vgpr98
	s_delay_alu instid0(VALU_DEP_1) | instskip(NEXT) | instid1(VALU_DEP_1)
	v_mul_f32_e32 v0, v1, v0
	v_and_b32_e32 v1, 0x7f800000, v0
	s_delay_alu instid0(VALU_DEP_1)
	v_cmpx_ne_u32_e32 0x7f800000, v1
	s_xor_b32 s41, exec_lo, s41
; %bb.1514:                             ;   in Loop: Header=BB12_1325 Depth=3
	v_bfe_u32 v1, v0, 16, 1
	s_delay_alu instid0(VALU_DEP_1)
	v_add3_u32 v98, v0, v1, 0x7fff
                                        ; implicit-def: $vgpr0
; %bb.1515:                             ;   in Loop: Header=BB12_1325 Depth=3
	s_and_not1_saveexec_b32 s41, s41
; %bb.1516:                             ;   in Loop: Header=BB12_1325 Depth=3
	v_and_b32_e32 v1, 0xffff, v0
	v_or_b32_e32 v6, 0x10000, v0
	s_delay_alu instid0(VALU_DEP_2) | instskip(NEXT) | instid1(VALU_DEP_2)
	v_cmp_eq_u32_e32 vcc_lo, 0, v1
	v_cndmask_b32_e32 v98, v6, v0, vcc_lo
; %bb.1517:                             ;   in Loop: Header=BB12_1325 Depth=3
	s_or_b32 exec_lo, exec_lo, s41
	v_and_b32_e32 v1, 0xffff0000, v99
	v_and_b32_e32 v0, 0xffff0000, v87
	s_mov_b32 s41, exec_lo
                                        ; implicit-def: $vgpr87
	s_delay_alu instid0(VALU_DEP_2) | instskip(NEXT) | instid1(VALU_DEP_1)
	v_mov_b32_e32 v6, v1
	v_pk_mul_f32 v[84:85], v[6:7], v[0:1]
	s_delay_alu instid0(VALU_DEP_1) | instskip(NEXT) | instid1(VALU_DEP_1)
	v_and_b32_e32 v0, 0x7f800000, v84
	v_cmpx_ne_u32_e32 0x7f800000, v0
	s_xor_b32 s41, exec_lo, s41
; %bb.1518:                             ;   in Loop: Header=BB12_1325 Depth=3
	v_bfe_u32 v0, v84, 16, 1
	s_delay_alu instid0(VALU_DEP_1)
	v_add3_u32 v87, v84, v0, 0x7fff
                                        ; implicit-def: $vgpr84_vgpr85
; %bb.1519:                             ;   in Loop: Header=BB12_1325 Depth=3
	s_and_not1_saveexec_b32 s41, s41
; %bb.1520:                             ;   in Loop: Header=BB12_1325 Depth=3
	v_and_b32_e32 v0, 0xffff, v84
	v_or_b32_e32 v1, 0x10000, v84
	s_delay_alu instid0(VALU_DEP_2) | instskip(NEXT) | instid1(VALU_DEP_2)
	v_cmp_eq_u32_e32 vcc_lo, 0, v0
	v_cndmask_b32_e32 v87, v1, v84, vcc_lo
; %bb.1521:                             ;   in Loop: Header=BB12_1325 Depth=3
	s_or_b32 exec_lo, exec_lo, s41
	v_lshlrev_b32_e32 v0, 16, v64
	s_wait_loadcnt 0x1
	v_lshlrev_b32_e32 v1, 16, v68
	s_mov_b32 s41, exec_lo
                                        ; implicit-def: $vgpr99
	s_delay_alu instid0(VALU_DEP_1) | instskip(NEXT) | instid1(VALU_DEP_1)
	v_mul_f32_e32 v0, v1, v0
	v_and_b32_e32 v1, 0x7f800000, v0
	s_delay_alu instid0(VALU_DEP_1)
	v_cmpx_ne_u32_e32 0x7f800000, v1
	s_xor_b32 s41, exec_lo, s41
; %bb.1522:                             ;   in Loop: Header=BB12_1325 Depth=3
	v_bfe_u32 v1, v0, 16, 1
	s_delay_alu instid0(VALU_DEP_1)
	v_add3_u32 v99, v0, v1, 0x7fff
                                        ; implicit-def: $vgpr0
; %bb.1523:                             ;   in Loop: Header=BB12_1325 Depth=3
	s_and_not1_saveexec_b32 s41, s41
; %bb.1524:                             ;   in Loop: Header=BB12_1325 Depth=3
	v_and_b32_e32 v1, 0xffff, v0
	v_or_b32_e32 v6, 0x10000, v0
	s_delay_alu instid0(VALU_DEP_2) | instskip(NEXT) | instid1(VALU_DEP_2)
	v_cmp_eq_u32_e32 vcc_lo, 0, v1
	v_cndmask_b32_e32 v99, v6, v0, vcc_lo
; %bb.1525:                             ;   in Loop: Header=BB12_1325 Depth=3
	s_or_b32 exec_lo, exec_lo, s41
	v_and_b32_e32 v1, 0xffff0000, v68
	v_and_b32_e32 v0, 0xffff0000, v64
	s_mov_b32 s41, exec_lo
                                        ; implicit-def: $vgpr68
	s_delay_alu instid0(VALU_DEP_2) | instskip(NEXT) | instid1(VALU_DEP_1)
	v_mov_b32_e32 v6, v1
	v_pk_mul_f32 v[84:85], v[6:7], v[0:1]
	s_delay_alu instid0(VALU_DEP_1) | instskip(NEXT) | instid1(VALU_DEP_1)
	v_and_b32_e32 v0, 0x7f800000, v84
	v_cmpx_ne_u32_e32 0x7f800000, v0
	s_xor_b32 s41, exec_lo, s41
; %bb.1526:                             ;   in Loop: Header=BB12_1325 Depth=3
	v_bfe_u32 v0, v84, 16, 1
	s_delay_alu instid0(VALU_DEP_1)
	v_add3_u32 v68, v84, v0, 0x7fff
                                        ; implicit-def: $vgpr84_vgpr85
; %bb.1527:                             ;   in Loop: Header=BB12_1325 Depth=3
	s_and_not1_saveexec_b32 s41, s41
; %bb.1528:                             ;   in Loop: Header=BB12_1325 Depth=3
	v_and_b32_e32 v0, 0xffff, v84
	v_or_b32_e32 v1, 0x10000, v84
	s_delay_alu instid0(VALU_DEP_2) | instskip(NEXT) | instid1(VALU_DEP_2)
	v_cmp_eq_u32_e32 vcc_lo, 0, v0
	v_cndmask_b32_e32 v68, v1, v84, vcc_lo
; %bb.1529:                             ;   in Loop: Header=BB12_1325 Depth=3
	s_or_b32 exec_lo, exec_lo, s41
	v_lshlrev_b32_e32 v0, 16, v65
	v_lshlrev_b32_e32 v1, 16, v69
	s_mov_b32 s41, exec_lo
                                        ; implicit-def: $vgpr84
	s_delay_alu instid0(VALU_DEP_1) | instskip(NEXT) | instid1(VALU_DEP_1)
	v_mul_f32_e32 v0, v1, v0
	v_and_b32_e32 v1, 0x7f800000, v0
	s_delay_alu instid0(VALU_DEP_1)
	v_cmpx_ne_u32_e32 0x7f800000, v1
	s_xor_b32 s41, exec_lo, s41
; %bb.1530:                             ;   in Loop: Header=BB12_1325 Depth=3
	v_bfe_u32 v1, v0, 16, 1
	s_delay_alu instid0(VALU_DEP_1)
	v_add3_u32 v84, v0, v1, 0x7fff
                                        ; implicit-def: $vgpr0
; %bb.1531:                             ;   in Loop: Header=BB12_1325 Depth=3
	s_and_not1_saveexec_b32 s41, s41
; %bb.1532:                             ;   in Loop: Header=BB12_1325 Depth=3
	v_and_b32_e32 v1, 0xffff, v0
	v_or_b32_e32 v6, 0x10000, v0
	s_delay_alu instid0(VALU_DEP_2) | instskip(NEXT) | instid1(VALU_DEP_2)
	v_cmp_eq_u32_e32 vcc_lo, 0, v1
	v_cndmask_b32_e32 v84, v6, v0, vcc_lo
; %bb.1533:                             ;   in Loop: Header=BB12_1325 Depth=3
	s_or_b32 exec_lo, exec_lo, s41
	v_and_b32_e32 v1, 0xffff0000, v69
	v_and_b32_e32 v0, 0xffff0000, v65
	s_mov_b32 s41, exec_lo
                                        ; implicit-def: $vgpr69
	s_delay_alu instid0(VALU_DEP_2) | instskip(NEXT) | instid1(VALU_DEP_1)
	v_mov_b32_e32 v6, v1
	v_pk_mul_f32 v[64:65], v[6:7], v[0:1]
	s_delay_alu instid0(VALU_DEP_1) | instskip(NEXT) | instid1(VALU_DEP_1)
	v_and_b32_e32 v0, 0x7f800000, v64
	v_cmpx_ne_u32_e32 0x7f800000, v0
	s_xor_b32 s41, exec_lo, s41
; %bb.1534:                             ;   in Loop: Header=BB12_1325 Depth=3
	v_bfe_u32 v0, v64, 16, 1
	s_delay_alu instid0(VALU_DEP_1)
	v_add3_u32 v69, v64, v0, 0x7fff
                                        ; implicit-def: $vgpr64_vgpr65
; %bb.1535:                             ;   in Loop: Header=BB12_1325 Depth=3
	s_and_not1_saveexec_b32 s41, s41
; %bb.1536:                             ;   in Loop: Header=BB12_1325 Depth=3
	v_and_b32_e32 v0, 0xffff, v64
	v_or_b32_e32 v1, 0x10000, v64
	s_delay_alu instid0(VALU_DEP_2) | instskip(NEXT) | instid1(VALU_DEP_2)
	v_cmp_eq_u32_e32 vcc_lo, 0, v0
	v_cndmask_b32_e32 v69, v1, v64, vcc_lo
; %bb.1537:                             ;   in Loop: Header=BB12_1325 Depth=3
	s_or_b32 exec_lo, exec_lo, s41
	v_lshlrev_b32_e32 v0, 16, v66
	v_lshlrev_b32_e32 v1, 16, v70
	s_mov_b32 s41, exec_lo
                                        ; implicit-def: $vgpr6
	s_delay_alu instid0(VALU_DEP_1) | instskip(NEXT) | instid1(VALU_DEP_1)
	v_mul_f32_e32 v0, v1, v0
	v_and_b32_e32 v1, 0x7f800000, v0
	s_delay_alu instid0(VALU_DEP_1)
	v_cmpx_ne_u32_e32 0x7f800000, v1
	s_xor_b32 s41, exec_lo, s41
; %bb.1538:                             ;   in Loop: Header=BB12_1325 Depth=3
	v_bfe_u32 v1, v0, 16, 1
	s_delay_alu instid0(VALU_DEP_1)
	v_add3_u32 v6, v0, v1, 0x7fff
                                        ; implicit-def: $vgpr0
; %bb.1539:                             ;   in Loop: Header=BB12_1325 Depth=3
	s_and_not1_saveexec_b32 s41, s41
; %bb.1540:                             ;   in Loop: Header=BB12_1325 Depth=3
	v_and_b32_e32 v1, 0xffff, v0
	v_or_b32_e32 v6, 0x10000, v0
	s_delay_alu instid0(VALU_DEP_2) | instskip(NEXT) | instid1(VALU_DEP_2)
	v_cmp_eq_u32_e32 vcc_lo, 0, v1
	v_cndmask_b32_e32 v6, v6, v0, vcc_lo
; %bb.1541:                             ;   in Loop: Header=BB12_1325 Depth=3
	s_or_b32 exec_lo, exec_lo, s41
	v_and_b32_e32 v1, 0xffff0000, v70
	v_and_b32_e32 v0, 0xffff0000, v66
	s_mov_b32 s41, exec_lo
                                        ; implicit-def: $vgpr7
	s_delay_alu instid0(VALU_DEP_2) | instskip(NEXT) | instid1(VALU_DEP_1)
	v_mov_b32_e32 v64, v1
	v_pk_mul_f32 v[64:65], v[64:65], v[0:1]
	s_delay_alu instid0(VALU_DEP_1) | instskip(NEXT) | instid1(VALU_DEP_1)
	v_and_b32_e32 v0, 0x7f800000, v64
	v_cmpx_ne_u32_e32 0x7f800000, v0
	s_xor_b32 s41, exec_lo, s41
; %bb.1542:                             ;   in Loop: Header=BB12_1325 Depth=3
	v_bfe_u32 v0, v64, 16, 1
	s_delay_alu instid0(VALU_DEP_1)
	v_add3_u32 v7, v64, v0, 0x7fff
                                        ; implicit-def: $vgpr64_vgpr65
; %bb.1543:                             ;   in Loop: Header=BB12_1325 Depth=3
	s_and_not1_saveexec_b32 s41, s41
; %bb.1544:                             ;   in Loop: Header=BB12_1325 Depth=3
	v_and_b32_e32 v0, 0xffff, v64
	v_or_b32_e32 v1, 0x10000, v64
	s_delay_alu instid0(VALU_DEP_2) | instskip(NEXT) | instid1(VALU_DEP_2)
	v_cmp_eq_u32_e32 vcc_lo, 0, v0
	v_cndmask_b32_e32 v7, v1, v64, vcc_lo
; %bb.1545:                             ;   in Loop: Header=BB12_1325 Depth=3
	s_or_b32 exec_lo, exec_lo, s41
	v_lshlrev_b32_e32 v0, 16, v67
	v_lshlrev_b32_e32 v1, 16, v71
	s_mov_b32 s41, exec_lo
                                        ; implicit-def: $vgpr66
	s_delay_alu instid0(VALU_DEP_1) | instskip(NEXT) | instid1(VALU_DEP_1)
	v_mul_f32_e32 v0, v1, v0
	v_and_b32_e32 v1, 0x7f800000, v0
	s_delay_alu instid0(VALU_DEP_1)
	v_cmpx_ne_u32_e32 0x7f800000, v1
	s_xor_b32 s41, exec_lo, s41
; %bb.1546:                             ;   in Loop: Header=BB12_1325 Depth=3
	v_bfe_u32 v1, v0, 16, 1
	s_delay_alu instid0(VALU_DEP_1)
	v_add3_u32 v66, v0, v1, 0x7fff
                                        ; implicit-def: $vgpr0
; %bb.1547:                             ;   in Loop: Header=BB12_1325 Depth=3
	s_and_not1_saveexec_b32 s41, s41
; %bb.1548:                             ;   in Loop: Header=BB12_1325 Depth=3
	v_and_b32_e32 v1, 0xffff, v0
	v_or_b32_e32 v29, 0x10000, v0
	s_delay_alu instid0(VALU_DEP_2) | instskip(NEXT) | instid1(VALU_DEP_2)
	v_cmp_eq_u32_e32 vcc_lo, 0, v1
	v_cndmask_b32_e32 v66, v29, v0, vcc_lo
; %bb.1549:                             ;   in Loop: Header=BB12_1325 Depth=3
	s_or_b32 exec_lo, exec_lo, s41
	v_and_b32_e32 v1, 0xffff0000, v71
	v_and_b32_e32 v0, 0xffff0000, v67
	s_mov_b32 s41, exec_lo
                                        ; implicit-def: $vgpr67
	s_delay_alu instid0(VALU_DEP_2) | instskip(NEXT) | instid1(VALU_DEP_1)
	v_mov_b32_e32 v64, v1
	v_pk_mul_f32 v[64:65], v[64:65], v[0:1]
	s_delay_alu instid0(VALU_DEP_1) | instskip(NEXT) | instid1(VALU_DEP_1)
	v_and_b32_e32 v0, 0x7f800000, v64
	v_cmpx_ne_u32_e32 0x7f800000, v0
	s_xor_b32 s41, exec_lo, s41
; %bb.1550:                             ;   in Loop: Header=BB12_1325 Depth=3
	v_bfe_u32 v0, v64, 16, 1
	s_delay_alu instid0(VALU_DEP_1)
	v_add3_u32 v67, v64, v0, 0x7fff
                                        ; implicit-def: $vgpr64_vgpr65
; %bb.1551:                             ;   in Loop: Header=BB12_1325 Depth=3
	s_and_not1_saveexec_b32 s41, s41
; %bb.1552:                             ;   in Loop: Header=BB12_1325 Depth=3
	v_and_b32_e32 v0, 0xffff, v64
	v_or_b32_e32 v1, 0x10000, v64
	s_delay_alu instid0(VALU_DEP_2) | instskip(NEXT) | instid1(VALU_DEP_2)
	v_cmp_eq_u32_e32 vcc_lo, 0, v0
	v_cndmask_b32_e32 v67, v1, v64, vcc_lo
; %bb.1553:                             ;   in Loop: Header=BB12_1325 Depth=3
	s_or_b32 exec_lo, exec_lo, s41
	v_lshlrev_b32_e32 v0, 16, v48
	s_wait_loadcnt 0x0
	v_lshlrev_b32_e32 v1, 16, v52
	s_mov_b32 s41, exec_lo
                                        ; implicit-def: $vgpr70
	s_delay_alu instid0(VALU_DEP_1) | instskip(NEXT) | instid1(VALU_DEP_1)
	v_mul_f32_e32 v0, v1, v0
	v_and_b32_e32 v1, 0x7f800000, v0
	s_delay_alu instid0(VALU_DEP_1)
	v_cmpx_ne_u32_e32 0x7f800000, v1
	s_xor_b32 s41, exec_lo, s41
; %bb.1554:                             ;   in Loop: Header=BB12_1325 Depth=3
	v_bfe_u32 v1, v0, 16, 1
	s_delay_alu instid0(VALU_DEP_1)
	v_add3_u32 v70, v0, v1, 0x7fff
                                        ; implicit-def: $vgpr0
; %bb.1555:                             ;   in Loop: Header=BB12_1325 Depth=3
	s_and_not1_saveexec_b32 s41, s41
; %bb.1556:                             ;   in Loop: Header=BB12_1325 Depth=3
	v_and_b32_e32 v1, 0xffff, v0
	v_or_b32_e32 v29, 0x10000, v0
	s_delay_alu instid0(VALU_DEP_2) | instskip(NEXT) | instid1(VALU_DEP_2)
	v_cmp_eq_u32_e32 vcc_lo, 0, v1
	v_cndmask_b32_e32 v70, v29, v0, vcc_lo
; %bb.1557:                             ;   in Loop: Header=BB12_1325 Depth=3
	s_or_b32 exec_lo, exec_lo, s41
	v_and_b32_e32 v1, 0xffff0000, v52
	v_and_b32_e32 v0, 0xffff0000, v48
	s_mov_b32 s41, exec_lo
                                        ; implicit-def: $vgpr52
	s_delay_alu instid0(VALU_DEP_2) | instskip(NEXT) | instid1(VALU_DEP_1)
	v_mov_b32_e32 v48, v1
	v_pk_mul_f32 v[64:65], v[48:49], v[0:1]
	s_delay_alu instid0(VALU_DEP_1) | instskip(NEXT) | instid1(VALU_DEP_1)
	v_and_b32_e32 v0, 0x7f800000, v64
	v_cmpx_ne_u32_e32 0x7f800000, v0
	s_xor_b32 s41, exec_lo, s41
; %bb.1558:                             ;   in Loop: Header=BB12_1325 Depth=3
	v_bfe_u32 v0, v64, 16, 1
	s_delay_alu instid0(VALU_DEP_1)
	v_add3_u32 v52, v64, v0, 0x7fff
                                        ; implicit-def: $vgpr64_vgpr65
; %bb.1559:                             ;   in Loop: Header=BB12_1325 Depth=3
	s_and_not1_saveexec_b32 s41, s41
; %bb.1560:                             ;   in Loop: Header=BB12_1325 Depth=3
	v_and_b32_e32 v0, 0xffff, v64
	v_or_b32_e32 v1, 0x10000, v64
	s_delay_alu instid0(VALU_DEP_2) | instskip(NEXT) | instid1(VALU_DEP_2)
	v_cmp_eq_u32_e32 vcc_lo, 0, v0
	v_cndmask_b32_e32 v52, v1, v64, vcc_lo
; %bb.1561:                             ;   in Loop: Header=BB12_1325 Depth=3
	s_or_b32 exec_lo, exec_lo, s41
	v_lshlrev_b32_e32 v0, 16, v49
	v_lshlrev_b32_e32 v1, 16, v53
	s_mov_b32 s41, exec_lo
                                        ; implicit-def: $vgpr64
	s_delay_alu instid0(VALU_DEP_1) | instskip(NEXT) | instid1(VALU_DEP_1)
	v_mul_f32_e32 v0, v1, v0
	v_and_b32_e32 v1, 0x7f800000, v0
	s_delay_alu instid0(VALU_DEP_1)
	v_cmpx_ne_u32_e32 0x7f800000, v1
	s_xor_b32 s41, exec_lo, s41
; %bb.1562:                             ;   in Loop: Header=BB12_1325 Depth=3
	v_bfe_u32 v1, v0, 16, 1
	s_delay_alu instid0(VALU_DEP_1)
	v_add3_u32 v64, v0, v1, 0x7fff
                                        ; implicit-def: $vgpr0
; %bb.1563:                             ;   in Loop: Header=BB12_1325 Depth=3
	s_and_not1_saveexec_b32 s41, s41
; %bb.1564:                             ;   in Loop: Header=BB12_1325 Depth=3
	v_and_b32_e32 v1, 0xffff, v0
	v_or_b32_e32 v29, 0x10000, v0
	s_delay_alu instid0(VALU_DEP_2) | instskip(NEXT) | instid1(VALU_DEP_2)
	v_cmp_eq_u32_e32 vcc_lo, 0, v1
	v_cndmask_b32_e32 v64, v29, v0, vcc_lo
; %bb.1565:                             ;   in Loop: Header=BB12_1325 Depth=3
	s_or_b32 exec_lo, exec_lo, s41
	v_and_b32_e32 v1, 0xffff0000, v53
	v_and_b32_e32 v0, 0xffff0000, v49
	s_mov_b32 s41, exec_lo
                                        ; implicit-def: $vgpr29
	s_delay_alu instid0(VALU_DEP_2) | instskip(NEXT) | instid1(VALU_DEP_1)
	v_mov_b32_e32 v48, v1
	v_pk_mul_f32 v[48:49], v[48:49], v[0:1]
	s_delay_alu instid0(VALU_DEP_1) | instskip(NEXT) | instid1(VALU_DEP_1)
	v_and_b32_e32 v0, 0x7f800000, v48
	v_cmpx_ne_u32_e32 0x7f800000, v0
	s_xor_b32 s41, exec_lo, s41
; %bb.1566:                             ;   in Loop: Header=BB12_1325 Depth=3
	v_bfe_u32 v0, v48, 16, 1
	s_delay_alu instid0(VALU_DEP_1)
	v_add3_u32 v29, v48, v0, 0x7fff
                                        ; implicit-def: $vgpr48_vgpr49
; %bb.1567:                             ;   in Loop: Header=BB12_1325 Depth=3
	s_and_not1_saveexec_b32 s41, s41
; %bb.1568:                             ;   in Loop: Header=BB12_1325 Depth=3
	v_and_b32_e32 v0, 0xffff, v48
	v_or_b32_e32 v1, 0x10000, v48
	s_delay_alu instid0(VALU_DEP_2) | instskip(NEXT) | instid1(VALU_DEP_2)
	v_cmp_eq_u32_e32 vcc_lo, 0, v0
	v_cndmask_b32_e32 v29, v1, v48, vcc_lo
; %bb.1569:                             ;   in Loop: Header=BB12_1325 Depth=3
	s_or_b32 exec_lo, exec_lo, s41
	v_lshlrev_b32_e32 v0, 16, v50
	v_lshlrev_b32_e32 v1, 16, v54
	s_delay_alu instid0(VALU_DEP_1) | instskip(NEXT) | instid1(VALU_DEP_1)
	v_mul_f32_e32 v1, v1, v0
	v_and_b32_e32 v0, 0x7f800000, v1
	s_delay_alu instid0(VALU_DEP_1) | instskip(SKIP_1) | instid1(SALU_CYCLE_1)
	v_cmp_ne_u32_e32 vcc_lo, 0x7f800000, v0
                                        ; implicit-def: $vgpr0
	s_and_saveexec_b32 s41, vcc_lo
	s_xor_b32 s41, exec_lo, s41
; %bb.1570:                             ;   in Loop: Header=BB12_1325 Depth=3
	v_bfe_u32 v0, v1, 16, 1
	s_delay_alu instid0(VALU_DEP_1)
	v_add3_u32 v0, v1, v0, 0x7fff
                                        ; implicit-def: $vgpr1
; %bb.1571:                             ;   in Loop: Header=BB12_1325 Depth=3
	s_and_not1_saveexec_b32 s41, s41
; %bb.1572:                             ;   in Loop: Header=BB12_1325 Depth=3
	v_and_b32_e32 v0, 0xffff, v1
	v_or_b32_e32 v48, 0x10000, v1
	s_delay_alu instid0(VALU_DEP_2) | instskip(NEXT) | instid1(VALU_DEP_2)
	v_cmp_eq_u32_e32 vcc_lo, 0, v0
	v_cndmask_b32_e32 v0, v48, v1, vcc_lo
; %bb.1573:                             ;   in Loop: Header=BB12_1325 Depth=3
	s_or_b32 exec_lo, exec_lo, s41
	v_and_b32_e32 v49, 0xffff0000, v54
	v_and_b32_e32 v48, 0xffff0000, v50
	s_delay_alu instid0(VALU_DEP_2) | instskip(NEXT) | instid1(VALU_DEP_1)
	v_mov_b32_e32 v50, v49
	v_pk_mul_f32 v[48:49], v[50:51], v[48:49]
	s_delay_alu instid0(VALU_DEP_1) | instskip(NEXT) | instid1(VALU_DEP_1)
	v_and_b32_e32 v1, 0x7f800000, v48
	v_cmp_ne_u32_e32 vcc_lo, 0x7f800000, v1
                                        ; implicit-def: $vgpr1
	s_and_saveexec_b32 s41, vcc_lo
	s_delay_alu instid0(SALU_CYCLE_1)
	s_xor_b32 s41, exec_lo, s41
; %bb.1574:                             ;   in Loop: Header=BB12_1325 Depth=3
	v_bfe_u32 v1, v48, 16, 1
	s_delay_alu instid0(VALU_DEP_1)
	v_add3_u32 v1, v48, v1, 0x7fff
                                        ; implicit-def: $vgpr48_vgpr49
; %bb.1575:                             ;   in Loop: Header=BB12_1325 Depth=3
	s_and_not1_saveexec_b32 s41, s41
; %bb.1576:                             ;   in Loop: Header=BB12_1325 Depth=3
	v_and_b32_e32 v1, 0xffff, v48
	v_or_b32_e32 v49, 0x10000, v48
	s_delay_alu instid0(VALU_DEP_2) | instskip(NEXT) | instid1(VALU_DEP_2)
	v_cmp_eq_u32_e32 vcc_lo, 0, v1
	v_cndmask_b32_e32 v1, v49, v48, vcc_lo
; %bb.1577:                             ;   in Loop: Header=BB12_1325 Depth=3
	s_or_b32 exec_lo, exec_lo, s41
	v_lshlrev_b32_e32 v48, 16, v51
	v_lshlrev_b32_e32 v49, 16, v55
	s_mov_b32 s41, exec_lo
                                        ; implicit-def: $vgpr50
	s_delay_alu instid0(VALU_DEP_1) | instskip(NEXT) | instid1(VALU_DEP_1)
	v_mul_f32_e32 v48, v49, v48
	v_and_b32_e32 v49, 0x7f800000, v48
	s_delay_alu instid0(VALU_DEP_1)
	v_cmpx_ne_u32_e32 0x7f800000, v49
	s_xor_b32 s41, exec_lo, s41
; %bb.1578:                             ;   in Loop: Header=BB12_1325 Depth=3
	v_bfe_u32 v49, v48, 16, 1
	s_delay_alu instid0(VALU_DEP_1)
	v_add3_u32 v50, v48, v49, 0x7fff
                                        ; implicit-def: $vgpr48
; %bb.1579:                             ;   in Loop: Header=BB12_1325 Depth=3
	s_and_not1_saveexec_b32 s41, s41
; %bb.1580:                             ;   in Loop: Header=BB12_1325 Depth=3
	v_and_b32_e32 v49, 0xffff, v48
	v_or_b32_e32 v50, 0x10000, v48
	s_delay_alu instid0(VALU_DEP_2) | instskip(NEXT) | instid1(VALU_DEP_2)
	v_cmp_eq_u32_e32 vcc_lo, 0, v49
	v_cndmask_b32_e32 v50, v50, v48, vcc_lo
; %bb.1581:                             ;   in Loop: Header=BB12_1325 Depth=3
	s_or_b32 exec_lo, exec_lo, s41
	v_and_b32_e32 v49, 0xffff0000, v55
	v_and_b32_e32 v48, 0xffff0000, v51
	s_mov_b32 s41, exec_lo
                                        ; implicit-def: $vgpr51
	s_delay_alu instid0(VALU_DEP_2) | instskip(NEXT) | instid1(VALU_DEP_1)
	v_mov_b32_e32 v54, v49
	v_pk_mul_f32 v[48:49], v[54:55], v[48:49]
	s_delay_alu instid0(VALU_DEP_1) | instskip(NEXT) | instid1(VALU_DEP_1)
	v_and_b32_e32 v49, 0x7f800000, v48
	v_cmpx_ne_u32_e32 0x7f800000, v49
	s_xor_b32 s41, exec_lo, s41
; %bb.1582:                             ;   in Loop: Header=BB12_1325 Depth=3
	v_bfe_u32 v49, v48, 16, 1
	s_delay_alu instid0(VALU_DEP_1)
	v_add3_u32 v51, v48, v49, 0x7fff
                                        ; implicit-def: $vgpr48_vgpr49
; %bb.1583:                             ;   in Loop: Header=BB12_1325 Depth=3
	s_and_not1_saveexec_b32 s41, s41
; %bb.1584:                             ;   in Loop: Header=BB12_1325 Depth=3
	v_and_b32_e32 v49, 0xffff, v48
	v_or_b32_e32 v51, 0x10000, v48
	s_delay_alu instid0(VALU_DEP_2) | instskip(NEXT) | instid1(VALU_DEP_2)
	v_cmp_eq_u32_e32 vcc_lo, 0, v49
	v_cndmask_b32_e32 v51, v51, v48, vcc_lo
; %bb.1585:                             ;   in Loop: Header=BB12_1325 Depth=3
	s_or_b32 exec_lo, exec_lo, s41
	v_dual_lshrrev_b32 v48, 16, v84 :: v_dual_lshrrev_b32 v49, 16, v99
	v_dual_lshrrev_b32 v6, 16, v6 :: v_dual_lshrrev_b32 v54, 16, v100
	v_lshrrev_b32_e32 v53, 16, v66
	s_delay_alu instid0(VALU_DEP_3) | instskip(SKIP_1) | instid1(VALU_DEP_4)
	v_and_or_b32 v43, 0xffff0000, v69, v48
	v_lshrrev_b32_e32 v48, 16, v115
	v_and_or_b32 v44, 0xffff0000, v7, v6
	v_dual_lshrrev_b32 v6, 16, v101 :: v_dual_lshrrev_b32 v7, 16, v98
	v_lshrrev_b32_e32 v2, 16, v2
	v_and_or_b32 v42, 0xffff0000, v68, v49
	v_and_or_b32 v66, 0xffff0000, v96, v48
	v_dual_lshrrev_b32 v48, 16, v118 :: v_dual_lshrrev_b32 v49, 16, v119
	v_and_or_b32 v68, 0xffff0000, v86, v6
	v_lshrrev_b32_e32 v6, 16, v64
	v_and_or_b32 v84, 0xffff0000, v112, v2
	v_dual_lshrrev_b32 v2, 16, v114 :: v_dual_lshrrev_b32 v0, 16, v0
	v_and_or_b32 v45, 0xffff0000, v67, v53
	v_and_or_b32 v69, 0xffff0000, v87, v7
	v_lshrrev_b32_e32 v7, 16, v70
	v_lshrrev_b32_e32 v53, 16, v50
	v_and_or_b32 v85, 0xffff0000, v113, v48
	v_and_or_b32 v86, 0xffff0000, v102, v49
	;; [unrolled: 1-line block ×8, first 2 shown]
	s_clause 0x3
	global_store_b128 v[4:5], v[84:87], off th:TH_STORE_NT
	global_store_b128 v[4:5], v[66:69], off offset:512 th:TH_STORE_NT
	global_store_b128 v[4:5], v[42:45], off offset:1024 th:TH_STORE_NT
	global_store_b128 v[4:5], v[48:51], off offset:1536 th:TH_STORE_NT
	s_wait_xcnt 0x0
	v_add_nc_u64_e32 v[4:5], 0x800, v[4:5]
	s_clause 0x3
	global_store_b128 v[110:111], v[84:87], off th:TH_STORE_NT
	global_store_b128 v[110:111], v[66:69], off offset:512 th:TH_STORE_NT
	global_store_b128 v[110:111], v[42:45], off offset:1024 th:TH_STORE_NT
	global_store_b128 v[110:111], v[48:51], off offset:1536 th:TH_STORE_NT
	s_wait_xcnt 0x0
	v_add_nc_u64_e32 v[110:111], 0x800, v[110:111]
	s_and_saveexec_b32 s41, s40
	s_cbranch_execz .LBB12_1324
; %bb.1586:                             ;   in Loop: Header=BB12_1325 Depth=3
	v_add_nc_u64_e32 v[4:5], v[4:5], v[88:89]
	s_delay_alu instid0(VALU_DEP_2)
	v_add_nc_u64_e32 v[110:111], v[110:111], v[88:89]
	v_add_nc_u64_e32 v[62:63], v[62:63], v[88:89]
	;; [unrolled: 1-line block ×3, first 2 shown]
	v_sub_nc_u32_e32 v31, v31, v60
	s_branch .LBB12_1324
.LBB12_1587:                            ;   in Loop: Header=BB12_1247 Depth=2
	s_mov_b32 s13, 0
	s_and_saveexec_b32 s14, s2
	s_cbranch_execnz .LBB12_2827
	s_branch .LBB12_2845
.LBB12_1588:                            ;   in Loop: Header=BB12_1247 Depth=2
	s_mov_b32 s76, 0
	v_mov_b32_e32 v15, 0
	s_and_not1_b32 vcc_lo, exec_lo, s13
	s_cbranch_vccz .LBB12_1322
.LBB12_1589:                            ;   in Loop: Header=BB12_1247 Depth=2
	s_clause 0x1
	scratch_load_b32 v16, off, s33 offset:316
	scratch_load_b32 v1, off, s33 offset:312
	v_mov_b32_e32 v14, v123
	s_wait_xcnt 0x0
	s_and_saveexec_b32 s15, s76
	s_cbranch_execnz .LBB12_1842
	s_branch .LBB12_2078
.LBB12_1590:                            ;   in Loop: Header=BB12_1247 Depth=2
	s_or_b32 exec_lo, exec_lo, s14
	s_clause 0x3
	scratch_load_b64 v[124:125], off, s33 offset:388
	scratch_load_b64 v[44:45], off, s33 offset:360
	;; [unrolled: 1-line block ×3, first 2 shown]
	scratch_load_b32 v29, off, s33 offset:384
	s_and_b32 s14, s15, exec_lo
.LBB12_1591:                            ;   in Loop: Header=BB12_1247 Depth=2
	s_wait_xcnt 0x0
	s_or_b32 exec_lo, exec_lo, s13
	s_and_saveexec_b32 s13, s14
	s_cbranch_execz .LBB12_1721
; %bb.1592:                             ;   in Loop: Header=BB12_1247 Depth=2
	v_lshlrev_b32_e32 v0, 16, v80
	v_lshlrev_b32_e32 v1, 16, v32
	s_mov_b32 s14, exec_lo
                                        ; implicit-def: $vgpr2
	s_delay_alu instid0(VALU_DEP_1) | instskip(NEXT) | instid1(VALU_DEP_1)
	v_mul_f32_e32 v0, v1, v0
	v_and_b32_e32 v1, 0x7f800000, v0
	s_delay_alu instid0(VALU_DEP_1)
	v_cmpx_ne_u32_e32 0x7f800000, v1
	s_xor_b32 s14, exec_lo, s14
; %bb.1593:                             ;   in Loop: Header=BB12_1247 Depth=2
	v_bfe_u32 v1, v0, 16, 1
	s_delay_alu instid0(VALU_DEP_1)
	v_add3_u32 v2, v0, v1, 0x7fff
                                        ; implicit-def: $vgpr0
; %bb.1594:                             ;   in Loop: Header=BB12_1247 Depth=2
	s_and_not1_saveexec_b32 s14, s14
; %bb.1595:                             ;   in Loop: Header=BB12_1247 Depth=2
	v_and_b32_e32 v1, 0xffff, v0
	v_or_b32_e32 v2, 0x10000, v0
	s_delay_alu instid0(VALU_DEP_2) | instskip(NEXT) | instid1(VALU_DEP_2)
	v_cmp_eq_u32_e32 vcc_lo, 0, v1
	v_cndmask_b32_e32 v2, v2, v0, vcc_lo
; %bb.1596:                             ;   in Loop: Header=BB12_1247 Depth=2
	s_or_b32 exec_lo, exec_lo, s14
	v_and_b32_e32 v1, 0xffff0000, v80
	v_and_b32_e32 v0, 0xffff0000, v32
	s_mov_b32 s14, exec_lo
                                        ; implicit-def: $vgpr50
	s_delay_alu instid0(VALU_DEP_2) | instskip(NEXT) | instid1(VALU_DEP_1)
	v_mov_b32_e32 v6, v1
	v_pk_mul_f32 v[48:49], v[6:7], v[0:1]
	s_delay_alu instid0(VALU_DEP_1) | instskip(NEXT) | instid1(VALU_DEP_1)
	v_and_b32_e32 v0, 0x7f800000, v48
	v_cmpx_ne_u32_e32 0x7f800000, v0
	s_xor_b32 s14, exec_lo, s14
; %bb.1597:                             ;   in Loop: Header=BB12_1247 Depth=2
	v_bfe_u32 v0, v48, 16, 1
	s_delay_alu instid0(VALU_DEP_1)
	v_add3_u32 v50, v48, v0, 0x7fff
                                        ; implicit-def: $vgpr48_vgpr49
; %bb.1598:                             ;   in Loop: Header=BB12_1247 Depth=2
	s_and_not1_saveexec_b32 s14, s14
; %bb.1599:                             ;   in Loop: Header=BB12_1247 Depth=2
	v_and_b32_e32 v0, 0xffff, v48
	v_or_b32_e32 v1, 0x10000, v48
	s_delay_alu instid0(VALU_DEP_2) | instskip(NEXT) | instid1(VALU_DEP_2)
	v_cmp_eq_u32_e32 vcc_lo, 0, v0
	v_cndmask_b32_e32 v50, v1, v48, vcc_lo
; %bb.1600:                             ;   in Loop: Header=BB12_1247 Depth=2
	s_or_b32 exec_lo, exec_lo, s14
	v_lshlrev_b32_e32 v0, 16, v33
	v_lshlrev_b32_e32 v1, 16, v81
	s_mov_b32 s14, exec_lo
                                        ; implicit-def: $vgpr48
	s_delay_alu instid0(VALU_DEP_1) | instskip(NEXT) | instid1(VALU_DEP_1)
	v_mul_f32_e32 v0, v1, v0
	v_and_b32_e32 v1, 0x7f800000, v0
	s_delay_alu instid0(VALU_DEP_1)
	v_cmpx_ne_u32_e32 0x7f800000, v1
	s_xor_b32 s14, exec_lo, s14
; %bb.1601:                             ;   in Loop: Header=BB12_1247 Depth=2
	v_bfe_u32 v1, v0, 16, 1
	s_delay_alu instid0(VALU_DEP_1)
	v_add3_u32 v48, v0, v1, 0x7fff
                                        ; implicit-def: $vgpr0
; %bb.1602:                             ;   in Loop: Header=BB12_1247 Depth=2
	s_and_not1_saveexec_b32 s14, s14
; %bb.1603:                             ;   in Loop: Header=BB12_1247 Depth=2
	v_and_b32_e32 v1, 0xffff, v0
	v_or_b32_e32 v6, 0x10000, v0
	s_delay_alu instid0(VALU_DEP_2) | instskip(NEXT) | instid1(VALU_DEP_2)
	v_cmp_eq_u32_e32 vcc_lo, 0, v1
	v_cndmask_b32_e32 v48, v6, v0, vcc_lo
; %bb.1604:                             ;   in Loop: Header=BB12_1247 Depth=2
	s_or_b32 exec_lo, exec_lo, s14
	v_and_b32_e32 v1, 0xffff0000, v81
	v_and_b32_e32 v0, 0xffff0000, v33
	s_mov_b32 s14, exec_lo
                                        ; implicit-def: $vgpr49
	s_delay_alu instid0(VALU_DEP_2) | instskip(NEXT) | instid1(VALU_DEP_1)
	v_mov_b32_e32 v6, v1
	v_pk_mul_f32 v[32:33], v[6:7], v[0:1]
	s_delay_alu instid0(VALU_DEP_1) | instskip(NEXT) | instid1(VALU_DEP_1)
	v_and_b32_e32 v0, 0x7f800000, v32
	v_cmpx_ne_u32_e32 0x7f800000, v0
	s_xor_b32 s14, exec_lo, s14
; %bb.1605:                             ;   in Loop: Header=BB12_1247 Depth=2
	v_bfe_u32 v0, v32, 16, 1
	s_delay_alu instid0(VALU_DEP_1)
	v_add3_u32 v49, v32, v0, 0x7fff
                                        ; implicit-def: $vgpr32_vgpr33
; %bb.1606:                             ;   in Loop: Header=BB12_1247 Depth=2
	s_and_not1_saveexec_b32 s14, s14
; %bb.1607:                             ;   in Loop: Header=BB12_1247 Depth=2
	v_and_b32_e32 v0, 0xffff, v32
	v_or_b32_e32 v1, 0x10000, v32
	s_delay_alu instid0(VALU_DEP_2) | instskip(NEXT) | instid1(VALU_DEP_2)
	v_cmp_eq_u32_e32 vcc_lo, 0, v0
	v_cndmask_b32_e32 v49, v1, v32, vcc_lo
; %bb.1608:                             ;   in Loop: Header=BB12_1247 Depth=2
	s_or_b32 exec_lo, exec_lo, s14
	v_lshlrev_b32_e32 v0, 16, v82
	v_lshlrev_b32_e32 v1, 16, v34
	s_mov_b32 s14, exec_lo
                                        ; implicit-def: $vgpr51
	s_delay_alu instid0(VALU_DEP_1) | instskip(NEXT) | instid1(VALU_DEP_1)
	v_mul_f32_e32 v0, v1, v0
	v_and_b32_e32 v1, 0x7f800000, v0
	s_delay_alu instid0(VALU_DEP_1)
	v_cmpx_ne_u32_e32 0x7f800000, v1
	s_xor_b32 s14, exec_lo, s14
; %bb.1609:                             ;   in Loop: Header=BB12_1247 Depth=2
	v_bfe_u32 v1, v0, 16, 1
	s_delay_alu instid0(VALU_DEP_1)
	v_add3_u32 v51, v0, v1, 0x7fff
                                        ; implicit-def: $vgpr0
; %bb.1610:                             ;   in Loop: Header=BB12_1247 Depth=2
	s_and_not1_saveexec_b32 s14, s14
; %bb.1611:                             ;   in Loop: Header=BB12_1247 Depth=2
	v_and_b32_e32 v1, 0xffff, v0
	v_or_b32_e32 v6, 0x10000, v0
	s_delay_alu instid0(VALU_DEP_2) | instskip(NEXT) | instid1(VALU_DEP_2)
	v_cmp_eq_u32_e32 vcc_lo, 0, v1
	v_cndmask_b32_e32 v51, v6, v0, vcc_lo
; %bb.1612:                             ;   in Loop: Header=BB12_1247 Depth=2
	s_or_b32 exec_lo, exec_lo, s14
	v_and_b32_e32 v1, 0xffff0000, v82
	v_and_b32_e32 v0, 0xffff0000, v34
	s_mov_b32 s14, exec_lo
                                        ; implicit-def: $vgpr34
	s_delay_alu instid0(VALU_DEP_2) | instskip(NEXT) | instid1(VALU_DEP_1)
	v_mov_b32_e32 v6, v1
	v_pk_mul_f32 v[32:33], v[6:7], v[0:1]
	s_delay_alu instid0(VALU_DEP_1) | instskip(NEXT) | instid1(VALU_DEP_1)
	v_and_b32_e32 v0, 0x7f800000, v32
	v_cmpx_ne_u32_e32 0x7f800000, v0
	s_xor_b32 s14, exec_lo, s14
; %bb.1613:                             ;   in Loop: Header=BB12_1247 Depth=2
	v_bfe_u32 v0, v32, 16, 1
	s_delay_alu instid0(VALU_DEP_1)
	v_add3_u32 v34, v32, v0, 0x7fff
                                        ; implicit-def: $vgpr32_vgpr33
; %bb.1614:                             ;   in Loop: Header=BB12_1247 Depth=2
	s_and_not1_saveexec_b32 s14, s14
; %bb.1615:                             ;   in Loop: Header=BB12_1247 Depth=2
	v_and_b32_e32 v0, 0xffff, v32
	v_or_b32_e32 v1, 0x10000, v32
	s_delay_alu instid0(VALU_DEP_2) | instskip(NEXT) | instid1(VALU_DEP_2)
	v_cmp_eq_u32_e32 vcc_lo, 0, v0
	v_cndmask_b32_e32 v34, v1, v32, vcc_lo
; %bb.1616:                             ;   in Loop: Header=BB12_1247 Depth=2
	s_or_b32 exec_lo, exec_lo, s14
	v_lshlrev_b32_e32 v0, 16, v35
	v_lshlrev_b32_e32 v1, 16, v83
	s_mov_b32 s14, exec_lo
                                        ; implicit-def: $vgpr52
	s_delay_alu instid0(VALU_DEP_1) | instskip(NEXT) | instid1(VALU_DEP_1)
	v_mul_f32_e32 v0, v1, v0
	v_and_b32_e32 v1, 0x7f800000, v0
	s_delay_alu instid0(VALU_DEP_1)
	v_cmpx_ne_u32_e32 0x7f800000, v1
	s_xor_b32 s14, exec_lo, s14
; %bb.1617:                             ;   in Loop: Header=BB12_1247 Depth=2
	v_bfe_u32 v1, v0, 16, 1
	s_delay_alu instid0(VALU_DEP_1)
	v_add3_u32 v52, v0, v1, 0x7fff
                                        ; implicit-def: $vgpr0
; %bb.1618:                             ;   in Loop: Header=BB12_1247 Depth=2
	s_and_not1_saveexec_b32 s14, s14
; %bb.1619:                             ;   in Loop: Header=BB12_1247 Depth=2
	v_and_b32_e32 v1, 0xffff, v0
	v_or_b32_e32 v6, 0x10000, v0
	s_delay_alu instid0(VALU_DEP_2) | instskip(NEXT) | instid1(VALU_DEP_2)
	v_cmp_eq_u32_e32 vcc_lo, 0, v1
	v_cndmask_b32_e32 v52, v6, v0, vcc_lo
; %bb.1620:                             ;   in Loop: Header=BB12_1247 Depth=2
	s_or_b32 exec_lo, exec_lo, s14
	v_and_b32_e32 v1, 0xffff0000, v83
	v_and_b32_e32 v0, 0xffff0000, v35
	s_mov_b32 s14, exec_lo
                                        ; implicit-def: $vgpr35
	s_delay_alu instid0(VALU_DEP_2) | instskip(NEXT) | instid1(VALU_DEP_1)
	v_mov_b32_e32 v6, v1
	v_pk_mul_f32 v[32:33], v[6:7], v[0:1]
	s_delay_alu instid0(VALU_DEP_1) | instskip(NEXT) | instid1(VALU_DEP_1)
	v_and_b32_e32 v0, 0x7f800000, v32
	v_cmpx_ne_u32_e32 0x7f800000, v0
	s_xor_b32 s14, exec_lo, s14
; %bb.1621:                             ;   in Loop: Header=BB12_1247 Depth=2
	v_bfe_u32 v0, v32, 16, 1
	s_delay_alu instid0(VALU_DEP_1)
	v_add3_u32 v35, v32, v0, 0x7fff
                                        ; implicit-def: $vgpr32_vgpr33
; %bb.1622:                             ;   in Loop: Header=BB12_1247 Depth=2
	s_and_not1_saveexec_b32 s14, s14
; %bb.1623:                             ;   in Loop: Header=BB12_1247 Depth=2
	v_and_b32_e32 v0, 0xffff, v32
	v_or_b32_e32 v1, 0x10000, v32
	s_delay_alu instid0(VALU_DEP_2) | instskip(NEXT) | instid1(VALU_DEP_2)
	v_cmp_eq_u32_e32 vcc_lo, 0, v0
	v_cndmask_b32_e32 v35, v1, v32, vcc_lo
; %bb.1624:                             ;   in Loop: Header=BB12_1247 Depth=2
	s_or_b32 exec_lo, exec_lo, s14
	v_lshlrev_b32_e32 v0, 16, v36
	v_lshlrev_b32_e32 v1, 16, v20
	s_mov_b32 s14, exec_lo
                                        ; implicit-def: $vgpr53
	s_delay_alu instid0(VALU_DEP_1) | instskip(NEXT) | instid1(VALU_DEP_1)
	v_mul_f32_e32 v0, v1, v0
	v_and_b32_e32 v1, 0x7f800000, v0
	s_delay_alu instid0(VALU_DEP_1)
	v_cmpx_ne_u32_e32 0x7f800000, v1
	s_xor_b32 s14, exec_lo, s14
; %bb.1625:                             ;   in Loop: Header=BB12_1247 Depth=2
	v_bfe_u32 v1, v0, 16, 1
	s_delay_alu instid0(VALU_DEP_1)
	v_add3_u32 v53, v0, v1, 0x7fff
                                        ; implicit-def: $vgpr0
; %bb.1626:                             ;   in Loop: Header=BB12_1247 Depth=2
	s_and_not1_saveexec_b32 s14, s14
; %bb.1627:                             ;   in Loop: Header=BB12_1247 Depth=2
	v_and_b32_e32 v1, 0xffff, v0
	v_or_b32_e32 v6, 0x10000, v0
	s_delay_alu instid0(VALU_DEP_2) | instskip(NEXT) | instid1(VALU_DEP_2)
	v_cmp_eq_u32_e32 vcc_lo, 0, v1
	v_cndmask_b32_e32 v53, v6, v0, vcc_lo
; %bb.1628:                             ;   in Loop: Header=BB12_1247 Depth=2
	s_or_b32 exec_lo, exec_lo, s14
	v_and_b32_e32 v1, 0xffff0000, v36
	v_and_b32_e32 v0, 0xffff0000, v20
	s_mov_b32 s14, exec_lo
                                        ; implicit-def: $vgpr36
	s_delay_alu instid0(VALU_DEP_2) | instskip(NEXT) | instid1(VALU_DEP_1)
	v_mov_b32_e32 v6, v1
	v_pk_mul_f32 v[32:33], v[6:7], v[0:1]
	s_delay_alu instid0(VALU_DEP_1) | instskip(NEXT) | instid1(VALU_DEP_1)
	v_and_b32_e32 v0, 0x7f800000, v32
	v_cmpx_ne_u32_e32 0x7f800000, v0
	s_xor_b32 s14, exec_lo, s14
; %bb.1629:                             ;   in Loop: Header=BB12_1247 Depth=2
	v_bfe_u32 v0, v32, 16, 1
	s_delay_alu instid0(VALU_DEP_1)
	v_add3_u32 v36, v32, v0, 0x7fff
                                        ; implicit-def: $vgpr32_vgpr33
; %bb.1630:                             ;   in Loop: Header=BB12_1247 Depth=2
	s_and_not1_saveexec_b32 s14, s14
; %bb.1631:                             ;   in Loop: Header=BB12_1247 Depth=2
	v_and_b32_e32 v0, 0xffff, v32
	v_or_b32_e32 v1, 0x10000, v32
	s_delay_alu instid0(VALU_DEP_2) | instskip(NEXT) | instid1(VALU_DEP_2)
	v_cmp_eq_u32_e32 vcc_lo, 0, v0
	v_cndmask_b32_e32 v36, v1, v32, vcc_lo
; %bb.1632:                             ;   in Loop: Header=BB12_1247 Depth=2
	s_or_b32 exec_lo, exec_lo, s14
	v_lshlrev_b32_e32 v0, 16, v21
	v_lshlrev_b32_e32 v1, 16, v37
	s_mov_b32 s14, exec_lo
                                        ; implicit-def: $vgpr32
	s_delay_alu instid0(VALU_DEP_1) | instskip(NEXT) | instid1(VALU_DEP_1)
	v_mul_f32_e32 v0, v1, v0
	v_and_b32_e32 v1, 0x7f800000, v0
	s_delay_alu instid0(VALU_DEP_1)
	v_cmpx_ne_u32_e32 0x7f800000, v1
	s_xor_b32 s14, exec_lo, s14
; %bb.1633:                             ;   in Loop: Header=BB12_1247 Depth=2
	v_bfe_u32 v1, v0, 16, 1
	s_delay_alu instid0(VALU_DEP_1)
	v_add3_u32 v32, v0, v1, 0x7fff
                                        ; implicit-def: $vgpr0
; %bb.1634:                             ;   in Loop: Header=BB12_1247 Depth=2
	s_and_not1_saveexec_b32 s14, s14
; %bb.1635:                             ;   in Loop: Header=BB12_1247 Depth=2
	v_and_b32_e32 v1, 0xffff, v0
	v_or_b32_e32 v6, 0x10000, v0
	s_delay_alu instid0(VALU_DEP_2) | instskip(NEXT) | instid1(VALU_DEP_2)
	v_cmp_eq_u32_e32 vcc_lo, 0, v1
	v_cndmask_b32_e32 v32, v6, v0, vcc_lo
; %bb.1636:                             ;   in Loop: Header=BB12_1247 Depth=2
	s_or_b32 exec_lo, exec_lo, s14
	v_and_b32_e32 v1, 0xffff0000, v37
	v_and_b32_e32 v0, 0xffff0000, v21
	s_mov_b32 s14, exec_lo
                                        ; implicit-def: $vgpr33
	s_delay_alu instid0(VALU_DEP_2) | instskip(NEXT) | instid1(VALU_DEP_1)
	v_mov_b32_e32 v6, v1
	v_pk_mul_f32 v[20:21], v[6:7], v[0:1]
	s_delay_alu instid0(VALU_DEP_1) | instskip(NEXT) | instid1(VALU_DEP_1)
	v_and_b32_e32 v0, 0x7f800000, v20
	v_cmpx_ne_u32_e32 0x7f800000, v0
	s_xor_b32 s14, exec_lo, s14
; %bb.1637:                             ;   in Loop: Header=BB12_1247 Depth=2
	v_bfe_u32 v0, v20, 16, 1
	s_delay_alu instid0(VALU_DEP_1)
	v_add3_u32 v33, v20, v0, 0x7fff
                                        ; implicit-def: $vgpr20_vgpr21
; %bb.1638:                             ;   in Loop: Header=BB12_1247 Depth=2
	s_and_not1_saveexec_b32 s14, s14
; %bb.1639:                             ;   in Loop: Header=BB12_1247 Depth=2
	v_and_b32_e32 v0, 0xffff, v20
	v_or_b32_e32 v1, 0x10000, v20
	s_delay_alu instid0(VALU_DEP_2) | instskip(NEXT) | instid1(VALU_DEP_2)
	v_cmp_eq_u32_e32 vcc_lo, 0, v0
	v_cndmask_b32_e32 v33, v1, v20, vcc_lo
; %bb.1640:                             ;   in Loop: Header=BB12_1247 Depth=2
	s_or_b32 exec_lo, exec_lo, s14
	v_lshlrev_b32_e32 v0, 16, v38
	v_lshlrev_b32_e32 v1, 16, v22
	s_mov_b32 s14, exec_lo
                                        ; implicit-def: $vgpr37
	s_delay_alu instid0(VALU_DEP_1) | instskip(NEXT) | instid1(VALU_DEP_1)
	v_mul_f32_e32 v0, v1, v0
	v_and_b32_e32 v1, 0x7f800000, v0
	s_delay_alu instid0(VALU_DEP_1)
	v_cmpx_ne_u32_e32 0x7f800000, v1
	s_xor_b32 s14, exec_lo, s14
; %bb.1641:                             ;   in Loop: Header=BB12_1247 Depth=2
	v_bfe_u32 v1, v0, 16, 1
	s_delay_alu instid0(VALU_DEP_1)
	v_add3_u32 v37, v0, v1, 0x7fff
                                        ; implicit-def: $vgpr0
; %bb.1642:                             ;   in Loop: Header=BB12_1247 Depth=2
	s_and_not1_saveexec_b32 s14, s14
; %bb.1643:                             ;   in Loop: Header=BB12_1247 Depth=2
	v_and_b32_e32 v1, 0xffff, v0
	v_or_b32_e32 v6, 0x10000, v0
	s_delay_alu instid0(VALU_DEP_2) | instskip(NEXT) | instid1(VALU_DEP_2)
	v_cmp_eq_u32_e32 vcc_lo, 0, v1
	v_cndmask_b32_e32 v37, v6, v0, vcc_lo
; %bb.1644:                             ;   in Loop: Header=BB12_1247 Depth=2
	s_or_b32 exec_lo, exec_lo, s14
	v_and_b32_e32 v1, 0xffff0000, v38
	v_and_b32_e32 v0, 0xffff0000, v22
	s_mov_b32 s14, exec_lo
                                        ; implicit-def: $vgpr22
	s_delay_alu instid0(VALU_DEP_2) | instskip(NEXT) | instid1(VALU_DEP_1)
	v_mov_b32_e32 v6, v1
	v_pk_mul_f32 v[20:21], v[6:7], v[0:1]
	s_delay_alu instid0(VALU_DEP_1) | instskip(NEXT) | instid1(VALU_DEP_1)
	v_and_b32_e32 v0, 0x7f800000, v20
	v_cmpx_ne_u32_e32 0x7f800000, v0
	s_xor_b32 s14, exec_lo, s14
; %bb.1645:                             ;   in Loop: Header=BB12_1247 Depth=2
	v_bfe_u32 v0, v20, 16, 1
	s_delay_alu instid0(VALU_DEP_1)
	v_add3_u32 v22, v20, v0, 0x7fff
                                        ; implicit-def: $vgpr20_vgpr21
; %bb.1646:                             ;   in Loop: Header=BB12_1247 Depth=2
	s_and_not1_saveexec_b32 s14, s14
; %bb.1647:                             ;   in Loop: Header=BB12_1247 Depth=2
	v_and_b32_e32 v0, 0xffff, v20
	v_or_b32_e32 v1, 0x10000, v20
	s_delay_alu instid0(VALU_DEP_2) | instskip(NEXT) | instid1(VALU_DEP_2)
	v_cmp_eq_u32_e32 vcc_lo, 0, v0
	v_cndmask_b32_e32 v22, v1, v20, vcc_lo
; %bb.1648:                             ;   in Loop: Header=BB12_1247 Depth=2
	s_or_b32 exec_lo, exec_lo, s14
	v_lshlrev_b32_e32 v0, 16, v23
	v_lshlrev_b32_e32 v1, 16, v39
	s_mov_b32 s14, exec_lo
                                        ; implicit-def: $vgpr38
	s_delay_alu instid0(VALU_DEP_1) | instskip(NEXT) | instid1(VALU_DEP_1)
	v_mul_f32_e32 v0, v1, v0
	v_and_b32_e32 v1, 0x7f800000, v0
	s_delay_alu instid0(VALU_DEP_1)
	v_cmpx_ne_u32_e32 0x7f800000, v1
	s_xor_b32 s14, exec_lo, s14
; %bb.1649:                             ;   in Loop: Header=BB12_1247 Depth=2
	v_bfe_u32 v1, v0, 16, 1
	s_delay_alu instid0(VALU_DEP_1)
	v_add3_u32 v38, v0, v1, 0x7fff
                                        ; implicit-def: $vgpr0
; %bb.1650:                             ;   in Loop: Header=BB12_1247 Depth=2
	s_and_not1_saveexec_b32 s14, s14
; %bb.1651:                             ;   in Loop: Header=BB12_1247 Depth=2
	v_and_b32_e32 v1, 0xffff, v0
	v_or_b32_e32 v6, 0x10000, v0
	s_delay_alu instid0(VALU_DEP_2) | instskip(NEXT) | instid1(VALU_DEP_2)
	v_cmp_eq_u32_e32 vcc_lo, 0, v1
	v_cndmask_b32_e32 v38, v6, v0, vcc_lo
; %bb.1652:                             ;   in Loop: Header=BB12_1247 Depth=2
	s_or_b32 exec_lo, exec_lo, s14
	v_and_b32_e32 v1, 0xffff0000, v39
	v_and_b32_e32 v0, 0xffff0000, v23
	s_mov_b32 s14, exec_lo
                                        ; implicit-def: $vgpr23
	s_delay_alu instid0(VALU_DEP_2) | instskip(NEXT) | instid1(VALU_DEP_1)
	v_mov_b32_e32 v6, v1
	v_pk_mul_f32 v[20:21], v[6:7], v[0:1]
	s_delay_alu instid0(VALU_DEP_1) | instskip(NEXT) | instid1(VALU_DEP_1)
	v_and_b32_e32 v0, 0x7f800000, v20
	v_cmpx_ne_u32_e32 0x7f800000, v0
	s_xor_b32 s14, exec_lo, s14
; %bb.1653:                             ;   in Loop: Header=BB12_1247 Depth=2
	v_bfe_u32 v0, v20, 16, 1
	s_delay_alu instid0(VALU_DEP_1)
	v_add3_u32 v23, v20, v0, 0x7fff
                                        ; implicit-def: $vgpr20_vgpr21
; %bb.1654:                             ;   in Loop: Header=BB12_1247 Depth=2
	s_and_not1_saveexec_b32 s14, s14
; %bb.1655:                             ;   in Loop: Header=BB12_1247 Depth=2
	v_and_b32_e32 v0, 0xffff, v20
	v_or_b32_e32 v1, 0x10000, v20
	s_delay_alu instid0(VALU_DEP_2) | instskip(NEXT) | instid1(VALU_DEP_2)
	v_cmp_eq_u32_e32 vcc_lo, 0, v0
	v_cndmask_b32_e32 v23, v1, v20, vcc_lo
; %bb.1656:                             ;   in Loop: Header=BB12_1247 Depth=2
	s_or_b32 exec_lo, exec_lo, s14
	v_lshlrev_b32_e32 v0, 16, v24
	v_lshlrev_b32_e32 v1, 16, v16
	s_mov_b32 s14, exec_lo
                                        ; implicit-def: $vgpr39
	s_delay_alu instid0(VALU_DEP_1) | instskip(NEXT) | instid1(VALU_DEP_1)
	v_mul_f32_e32 v0, v1, v0
	v_and_b32_e32 v1, 0x7f800000, v0
	s_delay_alu instid0(VALU_DEP_1)
	v_cmpx_ne_u32_e32 0x7f800000, v1
	s_xor_b32 s14, exec_lo, s14
; %bb.1657:                             ;   in Loop: Header=BB12_1247 Depth=2
	v_bfe_u32 v1, v0, 16, 1
	s_delay_alu instid0(VALU_DEP_1)
	v_add3_u32 v39, v0, v1, 0x7fff
                                        ; implicit-def: $vgpr0
; %bb.1658:                             ;   in Loop: Header=BB12_1247 Depth=2
	s_and_not1_saveexec_b32 s14, s14
; %bb.1659:                             ;   in Loop: Header=BB12_1247 Depth=2
	v_and_b32_e32 v1, 0xffff, v0
	v_or_b32_e32 v6, 0x10000, v0
	s_delay_alu instid0(VALU_DEP_2) | instskip(NEXT) | instid1(VALU_DEP_2)
	v_cmp_eq_u32_e32 vcc_lo, 0, v1
	v_cndmask_b32_e32 v39, v6, v0, vcc_lo
; %bb.1660:                             ;   in Loop: Header=BB12_1247 Depth=2
	s_or_b32 exec_lo, exec_lo, s14
	v_and_b32_e32 v1, 0xffff0000, v24
	v_and_b32_e32 v0, 0xffff0000, v16
	s_mov_b32 s14, exec_lo
                                        ; implicit-def: $vgpr24
	s_delay_alu instid0(VALU_DEP_2) | instskip(NEXT) | instid1(VALU_DEP_1)
	v_mov_b32_e32 v6, v1
	v_pk_mul_f32 v[20:21], v[6:7], v[0:1]
	s_delay_alu instid0(VALU_DEP_1) | instskip(NEXT) | instid1(VALU_DEP_1)
	v_and_b32_e32 v0, 0x7f800000, v20
	v_cmpx_ne_u32_e32 0x7f800000, v0
	s_xor_b32 s14, exec_lo, s14
; %bb.1661:                             ;   in Loop: Header=BB12_1247 Depth=2
	v_bfe_u32 v0, v20, 16, 1
	s_delay_alu instid0(VALU_DEP_1)
	v_add3_u32 v24, v20, v0, 0x7fff
                                        ; implicit-def: $vgpr20_vgpr21
; %bb.1662:                             ;   in Loop: Header=BB12_1247 Depth=2
	s_and_not1_saveexec_b32 s14, s14
; %bb.1663:                             ;   in Loop: Header=BB12_1247 Depth=2
	v_and_b32_e32 v0, 0xffff, v20
	v_or_b32_e32 v1, 0x10000, v20
	s_delay_alu instid0(VALU_DEP_2) | instskip(NEXT) | instid1(VALU_DEP_2)
	v_cmp_eq_u32_e32 vcc_lo, 0, v0
	v_cndmask_b32_e32 v24, v1, v20, vcc_lo
; %bb.1664:                             ;   in Loop: Header=BB12_1247 Depth=2
	s_or_b32 exec_lo, exec_lo, s14
	v_lshlrev_b32_e32 v0, 16, v17
	v_lshlrev_b32_e32 v1, 16, v25
	s_mov_b32 s14, exec_lo
                                        ; implicit-def: $vgpr20
	s_delay_alu instid0(VALU_DEP_1) | instskip(NEXT) | instid1(VALU_DEP_1)
	v_mul_f32_e32 v0, v1, v0
	v_and_b32_e32 v1, 0x7f800000, v0
	s_delay_alu instid0(VALU_DEP_1)
	v_cmpx_ne_u32_e32 0x7f800000, v1
	s_xor_b32 s14, exec_lo, s14
; %bb.1665:                             ;   in Loop: Header=BB12_1247 Depth=2
	v_bfe_u32 v1, v0, 16, 1
	s_delay_alu instid0(VALU_DEP_1)
	v_add3_u32 v20, v0, v1, 0x7fff
                                        ; implicit-def: $vgpr0
; %bb.1666:                             ;   in Loop: Header=BB12_1247 Depth=2
	s_and_not1_saveexec_b32 s14, s14
; %bb.1667:                             ;   in Loop: Header=BB12_1247 Depth=2
	v_and_b32_e32 v1, 0xffff, v0
	v_or_b32_e32 v6, 0x10000, v0
	s_delay_alu instid0(VALU_DEP_2) | instskip(NEXT) | instid1(VALU_DEP_2)
	v_cmp_eq_u32_e32 vcc_lo, 0, v1
	v_cndmask_b32_e32 v20, v6, v0, vcc_lo
; %bb.1668:                             ;   in Loop: Header=BB12_1247 Depth=2
	s_or_b32 exec_lo, exec_lo, s14
	v_and_b32_e32 v1, 0xffff0000, v25
	v_and_b32_e32 v0, 0xffff0000, v17
	s_mov_b32 s14, exec_lo
                                        ; implicit-def: $vgpr21
	s_delay_alu instid0(VALU_DEP_2) | instskip(NEXT) | instid1(VALU_DEP_1)
	v_mov_b32_e32 v6, v1
	v_pk_mul_f32 v[16:17], v[6:7], v[0:1]
	s_delay_alu instid0(VALU_DEP_1) | instskip(NEXT) | instid1(VALU_DEP_1)
	v_and_b32_e32 v0, 0x7f800000, v16
	v_cmpx_ne_u32_e32 0x7f800000, v0
	s_xor_b32 s14, exec_lo, s14
; %bb.1669:                             ;   in Loop: Header=BB12_1247 Depth=2
	v_bfe_u32 v0, v16, 16, 1
	s_delay_alu instid0(VALU_DEP_1)
	v_add3_u32 v21, v16, v0, 0x7fff
                                        ; implicit-def: $vgpr16_vgpr17
; %bb.1670:                             ;   in Loop: Header=BB12_1247 Depth=2
	s_and_not1_saveexec_b32 s14, s14
; %bb.1671:                             ;   in Loop: Header=BB12_1247 Depth=2
	v_and_b32_e32 v0, 0xffff, v16
	v_or_b32_e32 v1, 0x10000, v16
	s_delay_alu instid0(VALU_DEP_2) | instskip(NEXT) | instid1(VALU_DEP_2)
	v_cmp_eq_u32_e32 vcc_lo, 0, v0
	v_cndmask_b32_e32 v21, v1, v16, vcc_lo
; %bb.1672:                             ;   in Loop: Header=BB12_1247 Depth=2
	s_or_b32 exec_lo, exec_lo, s14
	v_lshlrev_b32_e32 v0, 16, v26
	v_lshlrev_b32_e32 v1, 16, v18
	s_mov_b32 s14, exec_lo
                                        ; implicit-def: $vgpr6
	s_delay_alu instid0(VALU_DEP_1) | instskip(NEXT) | instid1(VALU_DEP_1)
	v_mul_f32_e32 v0, v1, v0
	v_and_b32_e32 v1, 0x7f800000, v0
	s_delay_alu instid0(VALU_DEP_1)
	v_cmpx_ne_u32_e32 0x7f800000, v1
	s_xor_b32 s14, exec_lo, s14
; %bb.1673:                             ;   in Loop: Header=BB12_1247 Depth=2
	v_bfe_u32 v1, v0, 16, 1
	s_delay_alu instid0(VALU_DEP_1)
	v_add3_u32 v6, v0, v1, 0x7fff
                                        ; implicit-def: $vgpr0
; %bb.1674:                             ;   in Loop: Header=BB12_1247 Depth=2
	s_and_not1_saveexec_b32 s14, s14
; %bb.1675:                             ;   in Loop: Header=BB12_1247 Depth=2
	v_and_b32_e32 v1, 0xffff, v0
	v_or_b32_e32 v6, 0x10000, v0
	s_delay_alu instid0(VALU_DEP_2) | instskip(NEXT) | instid1(VALU_DEP_2)
	v_cmp_eq_u32_e32 vcc_lo, 0, v1
	v_cndmask_b32_e32 v6, v6, v0, vcc_lo
; %bb.1676:                             ;   in Loop: Header=BB12_1247 Depth=2
	s_or_b32 exec_lo, exec_lo, s14
	v_and_b32_e32 v1, 0xffff0000, v26
	v_and_b32_e32 v0, 0xffff0000, v18
	s_mov_b32 s14, exec_lo
                                        ; implicit-def: $vgpr7
	s_delay_alu instid0(VALU_DEP_2) | instskip(NEXT) | instid1(VALU_DEP_1)
	v_mov_b32_e32 v16, v1
	v_pk_mul_f32 v[16:17], v[16:17], v[0:1]
	s_delay_alu instid0(VALU_DEP_1) | instskip(NEXT) | instid1(VALU_DEP_1)
	v_and_b32_e32 v0, 0x7f800000, v16
	v_cmpx_ne_u32_e32 0x7f800000, v0
	s_xor_b32 s14, exec_lo, s14
; %bb.1677:                             ;   in Loop: Header=BB12_1247 Depth=2
	v_bfe_u32 v0, v16, 16, 1
	s_delay_alu instid0(VALU_DEP_1)
	v_add3_u32 v7, v16, v0, 0x7fff
                                        ; implicit-def: $vgpr16_vgpr17
; %bb.1678:                             ;   in Loop: Header=BB12_1247 Depth=2
	s_and_not1_saveexec_b32 s14, s14
; %bb.1679:                             ;   in Loop: Header=BB12_1247 Depth=2
	v_and_b32_e32 v0, 0xffff, v16
	v_or_b32_e32 v1, 0x10000, v16
	s_delay_alu instid0(VALU_DEP_2) | instskip(NEXT) | instid1(VALU_DEP_2)
	v_cmp_eq_u32_e32 vcc_lo, 0, v0
	v_cndmask_b32_e32 v7, v1, v16, vcc_lo
; %bb.1680:                             ;   in Loop: Header=BB12_1247 Depth=2
	s_or_b32 exec_lo, exec_lo, s14
	v_lshlrev_b32_e32 v0, 16, v19
	v_lshlrev_b32_e32 v1, 16, v27
	s_mov_b32 s14, exec_lo
                                        ; implicit-def: $vgpr18
	s_delay_alu instid0(VALU_DEP_1) | instskip(NEXT) | instid1(VALU_DEP_1)
	v_mul_f32_e32 v0, v1, v0
	v_and_b32_e32 v1, 0x7f800000, v0
	s_delay_alu instid0(VALU_DEP_1)
	v_cmpx_ne_u32_e32 0x7f800000, v1
	s_xor_b32 s14, exec_lo, s14
; %bb.1681:                             ;   in Loop: Header=BB12_1247 Depth=2
	v_bfe_u32 v1, v0, 16, 1
	s_delay_alu instid0(VALU_DEP_1)
	v_add3_u32 v18, v0, v1, 0x7fff
                                        ; implicit-def: $vgpr0
; %bb.1682:                             ;   in Loop: Header=BB12_1247 Depth=2
	s_and_not1_saveexec_b32 s14, s14
; %bb.1683:                             ;   in Loop: Header=BB12_1247 Depth=2
	v_and_b32_e32 v1, 0xffff, v0
	v_or_b32_e32 v16, 0x10000, v0
	s_delay_alu instid0(VALU_DEP_2) | instskip(NEXT) | instid1(VALU_DEP_2)
	v_cmp_eq_u32_e32 vcc_lo, 0, v1
	v_cndmask_b32_e32 v18, v16, v0, vcc_lo
; %bb.1684:                             ;   in Loop: Header=BB12_1247 Depth=2
	s_or_b32 exec_lo, exec_lo, s14
	v_and_b32_e32 v1, 0xffff0000, v27
	v_and_b32_e32 v0, 0xffff0000, v19
	s_mov_b32 s14, exec_lo
                                        ; implicit-def: $vgpr19
	s_delay_alu instid0(VALU_DEP_2) | instskip(NEXT) | instid1(VALU_DEP_1)
	v_mov_b32_e32 v16, v1
	v_pk_mul_f32 v[16:17], v[16:17], v[0:1]
	s_delay_alu instid0(VALU_DEP_1) | instskip(NEXT) | instid1(VALU_DEP_1)
	v_and_b32_e32 v0, 0x7f800000, v16
	v_cmpx_ne_u32_e32 0x7f800000, v0
	s_xor_b32 s14, exec_lo, s14
; %bb.1685:                             ;   in Loop: Header=BB12_1247 Depth=2
	v_bfe_u32 v0, v16, 16, 1
	s_delay_alu instid0(VALU_DEP_1)
	v_add3_u32 v19, v16, v0, 0x7fff
                                        ; implicit-def: $vgpr16_vgpr17
; %bb.1686:                             ;   in Loop: Header=BB12_1247 Depth=2
	s_and_not1_saveexec_b32 s14, s14
; %bb.1687:                             ;   in Loop: Header=BB12_1247 Depth=2
	v_and_b32_e32 v0, 0xffff, v16
	v_or_b32_e32 v1, 0x10000, v16
	s_delay_alu instid0(VALU_DEP_2) | instskip(NEXT) | instid1(VALU_DEP_2)
	v_cmp_eq_u32_e32 vcc_lo, 0, v0
	v_cndmask_b32_e32 v19, v1, v16, vcc_lo
; %bb.1688:                             ;   in Loop: Header=BB12_1247 Depth=2
	s_or_b32 exec_lo, exec_lo, s14
	v_lshlrev_b32_e32 v0, 16, v12
	v_lshlrev_b32_e32 v1, 16, v8
	s_mov_b32 s14, exec_lo
                                        ; implicit-def: $vgpr25
	s_delay_alu instid0(VALU_DEP_1) | instskip(NEXT) | instid1(VALU_DEP_1)
	v_mul_f32_e32 v0, v1, v0
	v_and_b32_e32 v1, 0x7f800000, v0
	s_delay_alu instid0(VALU_DEP_1)
	v_cmpx_ne_u32_e32 0x7f800000, v1
	s_xor_b32 s14, exec_lo, s14
; %bb.1689:                             ;   in Loop: Header=BB12_1247 Depth=2
	v_bfe_u32 v1, v0, 16, 1
	s_delay_alu instid0(VALU_DEP_1)
	v_add3_u32 v25, v0, v1, 0x7fff
                                        ; implicit-def: $vgpr0
; %bb.1690:                             ;   in Loop: Header=BB12_1247 Depth=2
	s_and_not1_saveexec_b32 s14, s14
; %bb.1691:                             ;   in Loop: Header=BB12_1247 Depth=2
	v_and_b32_e32 v1, 0xffff, v0
	v_or_b32_e32 v16, 0x10000, v0
	s_delay_alu instid0(VALU_DEP_2) | instskip(NEXT) | instid1(VALU_DEP_2)
	v_cmp_eq_u32_e32 vcc_lo, 0, v1
	v_cndmask_b32_e32 v25, v16, v0, vcc_lo
; %bb.1692:                             ;   in Loop: Header=BB12_1247 Depth=2
	s_or_b32 exec_lo, exec_lo, s14
	v_and_b32_e32 v1, 0xffff0000, v12
	v_and_b32_e32 v0, 0xffff0000, v8
	s_mov_b32 s14, exec_lo
                                        ; implicit-def: $vgpr12
	s_delay_alu instid0(VALU_DEP_2) | instskip(NEXT) | instid1(VALU_DEP_1)
	v_mov_b32_e32 v8, v1
	v_pk_mul_f32 v[16:17], v[8:9], v[0:1]
	s_delay_alu instid0(VALU_DEP_1) | instskip(NEXT) | instid1(VALU_DEP_1)
	v_and_b32_e32 v0, 0x7f800000, v16
	v_cmpx_ne_u32_e32 0x7f800000, v0
	s_xor_b32 s14, exec_lo, s14
; %bb.1693:                             ;   in Loop: Header=BB12_1247 Depth=2
	v_bfe_u32 v0, v16, 16, 1
	s_delay_alu instid0(VALU_DEP_1)
	v_add3_u32 v12, v16, v0, 0x7fff
                                        ; implicit-def: $vgpr16_vgpr17
; %bb.1694:                             ;   in Loop: Header=BB12_1247 Depth=2
	s_and_not1_saveexec_b32 s14, s14
; %bb.1695:                             ;   in Loop: Header=BB12_1247 Depth=2
	v_and_b32_e32 v0, 0xffff, v16
	v_or_b32_e32 v1, 0x10000, v16
	s_delay_alu instid0(VALU_DEP_2) | instskip(NEXT) | instid1(VALU_DEP_2)
	v_cmp_eq_u32_e32 vcc_lo, 0, v0
	v_cndmask_b32_e32 v12, v1, v16, vcc_lo
; %bb.1696:                             ;   in Loop: Header=BB12_1247 Depth=2
	s_or_b32 exec_lo, exec_lo, s14
	v_lshlrev_b32_e32 v0, 16, v9
	v_lshlrev_b32_e32 v1, 16, v13
	s_mov_b32 s14, exec_lo
                                        ; implicit-def: $vgpr16
	s_delay_alu instid0(VALU_DEP_1) | instskip(NEXT) | instid1(VALU_DEP_1)
	v_mul_f32_e32 v0, v1, v0
	v_and_b32_e32 v1, 0x7f800000, v0
	s_delay_alu instid0(VALU_DEP_1)
	v_cmpx_ne_u32_e32 0x7f800000, v1
	s_xor_b32 s14, exec_lo, s14
; %bb.1697:                             ;   in Loop: Header=BB12_1247 Depth=2
	v_bfe_u32 v1, v0, 16, 1
	s_delay_alu instid0(VALU_DEP_1)
	v_add3_u32 v16, v0, v1, 0x7fff
                                        ; implicit-def: $vgpr0
; %bb.1698:                             ;   in Loop: Header=BB12_1247 Depth=2
	s_and_not1_saveexec_b32 s14, s14
; %bb.1699:                             ;   in Loop: Header=BB12_1247 Depth=2
	v_and_b32_e32 v1, 0xffff, v0
	v_or_b32_e32 v8, 0x10000, v0
	s_delay_alu instid0(VALU_DEP_2) | instskip(NEXT) | instid1(VALU_DEP_2)
	v_cmp_eq_u32_e32 vcc_lo, 0, v1
	v_cndmask_b32_e32 v16, v8, v0, vcc_lo
; %bb.1700:                             ;   in Loop: Header=BB12_1247 Depth=2
	s_or_b32 exec_lo, exec_lo, s14
	v_and_b32_e32 v1, 0xffff0000, v13
	v_and_b32_e32 v0, 0xffff0000, v9
	s_mov_b32 s14, exec_lo
                                        ; implicit-def: $vgpr13
	s_delay_alu instid0(VALU_DEP_2) | instskip(NEXT) | instid1(VALU_DEP_1)
	v_mov_b32_e32 v8, v1
	v_pk_mul_f32 v[8:9], v[8:9], v[0:1]
	s_delay_alu instid0(VALU_DEP_1) | instskip(NEXT) | instid1(VALU_DEP_1)
	v_and_b32_e32 v0, 0x7f800000, v8
	v_cmpx_ne_u32_e32 0x7f800000, v0
	s_xor_b32 s14, exec_lo, s14
; %bb.1701:                             ;   in Loop: Header=BB12_1247 Depth=2
	v_bfe_u32 v0, v8, 16, 1
	s_delay_alu instid0(VALU_DEP_1)
	v_add3_u32 v13, v8, v0, 0x7fff
                                        ; implicit-def: $vgpr8_vgpr9
; %bb.1702:                             ;   in Loop: Header=BB12_1247 Depth=2
	s_and_not1_saveexec_b32 s14, s14
; %bb.1703:                             ;   in Loop: Header=BB12_1247 Depth=2
	v_and_b32_e32 v0, 0xffff, v8
	v_or_b32_e32 v1, 0x10000, v8
	s_delay_alu instid0(VALU_DEP_2) | instskip(NEXT) | instid1(VALU_DEP_2)
	v_cmp_eq_u32_e32 vcc_lo, 0, v0
	v_cndmask_b32_e32 v13, v1, v8, vcc_lo
; %bb.1704:                             ;   in Loop: Header=BB12_1247 Depth=2
	s_or_b32 exec_lo, exec_lo, s14
	v_lshlrev_b32_e32 v0, 16, v14
	v_lshlrev_b32_e32 v1, 16, v10
	s_delay_alu instid0(VALU_DEP_1) | instskip(NEXT) | instid1(VALU_DEP_1)
	v_mul_f32_e32 v1, v1, v0
	v_and_b32_e32 v0, 0x7f800000, v1
	s_delay_alu instid0(VALU_DEP_1) | instskip(SKIP_1) | instid1(SALU_CYCLE_1)
	v_cmp_ne_u32_e32 vcc_lo, 0x7f800000, v0
                                        ; implicit-def: $vgpr0
	s_and_saveexec_b32 s14, vcc_lo
	s_xor_b32 s14, exec_lo, s14
; %bb.1705:                             ;   in Loop: Header=BB12_1247 Depth=2
	v_bfe_u32 v0, v1, 16, 1
	s_delay_alu instid0(VALU_DEP_1)
	v_add3_u32 v0, v1, v0, 0x7fff
                                        ; implicit-def: $vgpr1
; %bb.1706:                             ;   in Loop: Header=BB12_1247 Depth=2
	s_and_not1_saveexec_b32 s14, s14
; %bb.1707:                             ;   in Loop: Header=BB12_1247 Depth=2
	v_and_b32_e32 v0, 0xffff, v1
	v_or_b32_e32 v8, 0x10000, v1
	s_delay_alu instid0(VALU_DEP_2) | instskip(NEXT) | instid1(VALU_DEP_2)
	v_cmp_eq_u32_e32 vcc_lo, 0, v0
	v_cndmask_b32_e32 v0, v8, v1, vcc_lo
; %bb.1708:                             ;   in Loop: Header=BB12_1247 Depth=2
	s_or_b32 exec_lo, exec_lo, s14
	v_and_b32_e32 v9, 0xffff0000, v14
	v_and_b32_e32 v8, 0xffff0000, v10
	s_delay_alu instid0(VALU_DEP_2) | instskip(NEXT) | instid1(VALU_DEP_1)
	v_mov_b32_e32 v10, v9
	v_pk_mul_f32 v[8:9], v[10:11], v[8:9]
	s_delay_alu instid0(VALU_DEP_1) | instskip(NEXT) | instid1(VALU_DEP_1)
	v_and_b32_e32 v1, 0x7f800000, v8
	v_cmp_ne_u32_e32 vcc_lo, 0x7f800000, v1
                                        ; implicit-def: $vgpr1
	s_and_saveexec_b32 s14, vcc_lo
	s_delay_alu instid0(SALU_CYCLE_1)
	s_xor_b32 s14, exec_lo, s14
; %bb.1709:                             ;   in Loop: Header=BB12_1247 Depth=2
	v_bfe_u32 v1, v8, 16, 1
	s_delay_alu instid0(VALU_DEP_1)
	v_add3_u32 v1, v8, v1, 0x7fff
                                        ; implicit-def: $vgpr8_vgpr9
; %bb.1710:                             ;   in Loop: Header=BB12_1247 Depth=2
	s_and_not1_saveexec_b32 s14, s14
; %bb.1711:                             ;   in Loop: Header=BB12_1247 Depth=2
	v_and_b32_e32 v1, 0xffff, v8
	v_or_b32_e32 v9, 0x10000, v8
	s_delay_alu instid0(VALU_DEP_2) | instskip(NEXT) | instid1(VALU_DEP_2)
	v_cmp_eq_u32_e32 vcc_lo, 0, v1
	v_cndmask_b32_e32 v1, v9, v8, vcc_lo
; %bb.1712:                             ;   in Loop: Header=BB12_1247 Depth=2
	s_or_b32 exec_lo, exec_lo, s14
	v_lshlrev_b32_e32 v8, 16, v11
	v_lshlrev_b32_e32 v9, 16, v15
	s_mov_b32 s14, exec_lo
                                        ; implicit-def: $vgpr10
	s_delay_alu instid0(VALU_DEP_1) | instskip(NEXT) | instid1(VALU_DEP_1)
	v_mul_f32_e32 v8, v9, v8
	v_and_b32_e32 v9, 0x7f800000, v8
	s_delay_alu instid0(VALU_DEP_1)
	v_cmpx_ne_u32_e32 0x7f800000, v9
	s_xor_b32 s14, exec_lo, s14
; %bb.1713:                             ;   in Loop: Header=BB12_1247 Depth=2
	v_bfe_u32 v9, v8, 16, 1
	s_delay_alu instid0(VALU_DEP_1)
	v_add3_u32 v10, v8, v9, 0x7fff
                                        ; implicit-def: $vgpr8
; %bb.1714:                             ;   in Loop: Header=BB12_1247 Depth=2
	s_and_not1_saveexec_b32 s14, s14
; %bb.1715:                             ;   in Loop: Header=BB12_1247 Depth=2
	v_and_b32_e32 v9, 0xffff, v8
	v_or_b32_e32 v10, 0x10000, v8
	s_delay_alu instid0(VALU_DEP_2) | instskip(NEXT) | instid1(VALU_DEP_2)
	v_cmp_eq_u32_e32 vcc_lo, 0, v9
	v_cndmask_b32_e32 v10, v10, v8, vcc_lo
; %bb.1716:                             ;   in Loop: Header=BB12_1247 Depth=2
	s_or_b32 exec_lo, exec_lo, s14
	v_and_b32_e32 v9, 0xffff0000, v15
	v_and_b32_e32 v8, 0xffff0000, v11
	s_mov_b32 s14, exec_lo
                                        ; implicit-def: $vgpr11
	s_delay_alu instid0(VALU_DEP_2) | instskip(NEXT) | instid1(VALU_DEP_1)
	v_mov_b32_e32 v14, v9
	v_pk_mul_f32 v[8:9], v[14:15], v[8:9]
	s_delay_alu instid0(VALU_DEP_1) | instskip(NEXT) | instid1(VALU_DEP_1)
	v_and_b32_e32 v9, 0x7f800000, v8
	v_cmpx_ne_u32_e32 0x7f800000, v9
	s_xor_b32 s14, exec_lo, s14
; %bb.1717:                             ;   in Loop: Header=BB12_1247 Depth=2
	v_bfe_u32 v9, v8, 16, 1
	s_delay_alu instid0(VALU_DEP_1)
	v_add3_u32 v11, v8, v9, 0x7fff
                                        ; implicit-def: $vgpr8_vgpr9
; %bb.1718:                             ;   in Loop: Header=BB12_1247 Depth=2
	s_and_not1_saveexec_b32 s14, s14
; %bb.1719:                             ;   in Loop: Header=BB12_1247 Depth=2
	v_and_b32_e32 v9, 0xffff, v8
	v_or_b32_e32 v11, 0x10000, v8
	s_delay_alu instid0(VALU_DEP_2) | instskip(NEXT) | instid1(VALU_DEP_2)
	v_cmp_eq_u32_e32 vcc_lo, 0, v9
	v_cndmask_b32_e32 v11, v11, v8, vcc_lo
; %bb.1720:                             ;   in Loop: Header=BB12_1247 Depth=2
	s_or_b32 exec_lo, exec_lo, s14
	v_dual_lshrrev_b32 v8, 16, v20 :: v_dual_lshrrev_b32 v9, 16, v39
	v_lshrrev_b32_e32 v14, 16, v18
	v_dual_lshrrev_b32 v6, 16, v6 :: v_dual_lshrrev_b32 v15, 16, v32
	s_delay_alu instid0(VALU_DEP_3) | instskip(SKIP_1) | instid1(VALU_DEP_4)
	v_and_or_b32 v65, 0xffff0000, v21, v8
	v_lshrrev_b32_e32 v8, 16, v53
	v_and_or_b32 v67, 0xffff0000, v19, v14
	v_dual_lshrrev_b32 v14, 16, v48 :: v_dual_lshrrev_b32 v2, 16, v2
	v_and_or_b32 v66, 0xffff0000, v7, v6
	v_and_or_b32 v7, 0xffff0000, v33, v15
	v_lshrrev_b32_e32 v15, 16, v51
	v_and_or_b32 v64, 0xffff0000, v24, v9
	v_and_or_b32 v18, 0xffff0000, v50, v2
	v_lshrrev_b32_e32 v2, 16, v52
	v_and_or_b32 v6, 0xffff0000, v36, v8
	v_dual_lshrrev_b32 v8, 16, v37 :: v_dual_lshrrev_b32 v9, 16, v38
	v_and_or_b32 v19, 0xffff0000, v49, v14
	v_and_or_b32 v20, 0xffff0000, v34, v15
	v_dual_lshrrev_b32 v14, 16, v16 :: v_dual_lshrrev_b32 v15, 16, v25
	v_dual_lshrrev_b32 v0, 16, v0 :: v_dual_lshrrev_b32 v10, 16, v10
	v_and_or_b32 v21, 0xffff0000, v35, v2
	v_and_or_b32 v8, 0xffff0000, v22, v8
	;; [unrolled: 1-line block ×7, first 2 shown]
	s_clause 0x3
	global_store_b128 v[4:5], v[18:21], off th:TH_STORE_NT
	global_store_b128 v[4:5], v[6:9], off offset:512 th:TH_STORE_NT
	global_store_b128 v[4:5], v[64:67], off offset:1024 th:TH_STORE_NT
	;; [unrolled: 1-line block ×3, first 2 shown]
	s_clause 0x3
	global_store_b128 v[110:111], v[18:21], off th:TH_STORE_NT
	global_store_b128 v[110:111], v[6:9], off offset:512 th:TH_STORE_NT
	global_store_b128 v[110:111], v[64:67], off offset:1024 th:TH_STORE_NT
	;; [unrolled: 1-line block ×3, first 2 shown]
.LBB12_1721:                            ;   in Loop: Header=BB12_1247 Depth=2
	s_wait_xcnt 0x0
	s_or_b32 exec_lo, exec_lo, s13
	s_wait_loadcnt 0x0
	v_lshlrev_b32_e32 v24, 11, v29
	s_mov_b32 s77, exec_lo
                                        ; implicit-def: $vgpr14
                                        ; implicit-def: $vgpr15
                                        ; implicit-def: $vgpr16
                                        ; implicit-def: $vgpr1
	s_delay_alu instid0(VALU_DEP_1)
	v_cmpx_ne_u32_e64 v123, v24
	s_cbranch_execz .LBB12_1841
; %bb.1722:                             ;   in Loop: Header=BB12_1247 Depth=2
	scratch_load_b32 v1, off, s33 offset:316 ; 4-byte Folded Reload
	v_dual_lshlrev_b32 v0, 5, v31 :: v_dual_sub_nc_u32 v2, v123, v24
	s_mov_b32 s14, 0
	s_mov_b32 s78, exec_lo
	s_wait_loadcnt 0x0
	s_delay_alu instid0(VALU_DEP_1) | instskip(NEXT) | instid1(VALU_DEP_1)
	v_dual_ashrrev_i32 v5, 31, v2 :: v_dual_sub_nc_u32 v0, v1, v0
	v_ashrrev_i32_e32 v1, 31, v0
	s_delay_alu instid0(VALU_DEP_1) | instskip(NEXT) | instid1(VALU_DEP_1)
	v_lshrrev_b32_e32 v1, 27, v1
	v_add_nc_u32_e32 v1, v0, v1
	s_delay_alu instid0(VALU_DEP_1) | instskip(NEXT) | instid1(VALU_DEP_1)
	v_and_b32_e32 v4, 0xffffffe0, v1
	v_dual_sub_nc_u32 v26, v0, v4 :: v_dual_lshrrev_b32 v0, 23, v5
	s_delay_alu instid0(VALU_DEP_1) | instskip(NEXT) | instid1(VALU_DEP_2)
	v_dual_ashrrev_i32 v1, 5, v1 :: v_dual_lshlrev_b32 v4, 4, v26
	v_add_nc_u32_e32 v0, v2, v0
	s_delay_alu instid0(VALU_DEP_2) | instskip(NEXT) | instid1(VALU_DEP_2)
	v_lshl_add_u32 v4, v1, 9, v4
	v_and_b32_e32 v25, 0xfffffe00, v0
	v_ashrrev_i32_e32 v0, 9, v0
	s_delay_alu instid0(VALU_DEP_2) | instskip(SKIP_1) | instid1(VALU_DEP_2)
	v_dual_add_nc_u32 v8, v4, v24 :: v_dual_sub_nc_u32 v27, v2, v25
	v_sub_nc_u32_e32 v2, v2, v4
	v_cmp_lt_i32_e64 s13, 15, v27
	s_delay_alu instid0(VALU_DEP_1) | instskip(NEXT) | instid1(VALU_DEP_1)
	v_add_co_ci_u32_e64 v0, null, 0, v0, s13
	v_dual_ashrrev_i32 v9, 31, v8 :: v_dual_sub_nc_u32 v31, v0, v1
	s_delay_alu instid0(VALU_DEP_1)
	v_add_nc_u64_e32 v[4:5], v[8:9], v[44:45]
	v_add_nc_u64_e32 v[16:17], v[8:9], v[98:99]
	s_wait_xcnt 0x0
	v_cmpx_lt_i32_e32 15, v2
	s_cbranch_execz .LBB12_1803
; %bb.1723:                             ;   in Loop: Header=BB12_1247 Depth=2
	s_trap 2
	ds_load_b64 v[0:1], v0
	v_add_nc_u64_e32 v[18:19], v[8:9], v[72:73]
	s_mov_b32 s89, 0
	s_mov_b32 s79, 0
                                        ; implicit-def: $sgpr88
	s_wait_dscnt 0x0
	v_add_nc_u64_e32 v[20:21], v[0:1], v[8:9]
	s_branch .LBB12_1725
.LBB12_1724:                            ;   in Loop: Header=BB12_1725 Depth=3
	s_or_b32 exec_lo, exec_lo, s14
	s_delay_alu instid0(VALU_DEP_1) | instskip(SKIP_3) | instid1(SALU_CYCLE_1)
	v_cmp_gt_i32_e32 vcc_lo, 16, v2
	s_or_b32 s79, vcc_lo, s79
	s_and_not1_b32 s14, s88, exec_lo
	s_and_b32 s15, s89, exec_lo
	s_or_b32 s88, s14, s15
	s_and_not1_b32 exec_lo, exec_lo, s79
	s_cbranch_execz .LBB12_1802
.LBB12_1725:                            ;   Parent Loop BB12_47 Depth=1
                                        ;     Parent Loop BB12_1247 Depth=2
                                        ; =>    This Loop Header: Depth=3
                                        ;         Child Loop BB12_1726 Depth 4
                                        ;         Child Loop BB12_1761 Depth 4
                                        ;         Child Loop BB12_1765 Depth 4
                                        ;         Child Loop BB12_1799 Depth 4
	s_add_co_i32 s14, s33, 0xc0
	s_mov_b64 s[40:41], 0
	s_mov_b32 s90, s14
	s_mov_b32 s91, -1
.LBB12_1726:                            ;   Parent Loop BB12_47 Depth=1
                                        ;     Parent Loop BB12_1247 Depth=2
                                        ;       Parent Loop BB12_1725 Depth=3
                                        ; =>      This Inner Loop Header: Depth=4
	s_cmp_eq_u32 s40, 1
	s_cselect_b32 vcc_lo, -1, 0
	s_cmp_eq_u32 s40, 0
	v_dual_cndmask_b32 v1, v19, v21 :: v_dual_cndmask_b32 v0, v18, v20
	s_cselect_b32 s14, -1, 0
	s_and_b32 s15, exec_lo, s91
	s_mov_b64 s[40:41], 1
	s_mov_b32 s91, 0
	global_load_b128 v[6:9], v[0:1], off th:TH_LOAD_NT
	s_wait_xcnt 0x0
	v_add_nc_u64_e32 v[0:1], 0x200, v[0:1]
	s_delay_alu instid0(VALU_DEP_1)
	v_dual_cndmask_b32 v19, v19, v1, s14 :: v_dual_cndmask_b32 v18, v18, v0, s14
	v_dual_cndmask_b32 v21, v21, v1 :: v_dual_cndmask_b32 v20, v20, v0
	s_mov_b32 vcc_lo, s15
	s_wait_loadcnt 0x0
	scratch_store_b128 off, v[6:9], s90
	s_wait_xcnt 0x0
	s_mov_b32 s90, s58
	s_cbranch_vccnz .LBB12_1726
; %bb.1727:                             ;   in Loop: Header=BB12_1725 Depth=3
	s_and_saveexec_b32 s90, s89
	s_cbranch_execz .LBB12_1763
; %bb.1728:                             ;   in Loop: Header=BB12_1725 Depth=3
	s_clause 0x1
	scratch_load_b128 v[8:11], off, s33 offset:224
	scratch_load_b128 v[12:15], off, s33 offset:240
	s_mov_b32 s14, exec_lo
                                        ; implicit-def: $vgpr6
	s_wait_loadcnt 0x1
	v_lshlrev_b32_e32 v0, 16, v8
	s_wait_loadcnt 0x0
	v_lshlrev_b32_e32 v1, 16, v12
	s_delay_alu instid0(VALU_DEP_1) | instskip(NEXT) | instid1(VALU_DEP_1)
	v_mul_f32_e32 v0, v0, v1
	v_and_b32_e32 v1, 0x7f800000, v0
	s_wait_xcnt 0x0
	s_delay_alu instid0(VALU_DEP_1)
	v_cmpx_ne_u32_e32 0x7f800000, v1
	s_xor_b32 s14, exec_lo, s14
; %bb.1729:                             ;   in Loop: Header=BB12_1725 Depth=3
	v_bfe_u32 v1, v0, 16, 1
	s_delay_alu instid0(VALU_DEP_1)
	v_add3_u32 v6, v0, v1, 0x7fff
                                        ; implicit-def: $vgpr0
; %bb.1730:                             ;   in Loop: Header=BB12_1725 Depth=3
	s_and_not1_saveexec_b32 s14, s14
; %bb.1731:                             ;   in Loop: Header=BB12_1725 Depth=3
	v_and_b32_e32 v1, 0xffff, v0
	v_or_b32_e32 v6, 0x10000, v0
	s_delay_alu instid0(VALU_DEP_2) | instskip(NEXT) | instid1(VALU_DEP_2)
	v_cmp_eq_u32_e32 vcc_lo, 0, v1
	v_cndmask_b32_e32 v6, v6, v0, vcc_lo
; %bb.1732:                             ;   in Loop: Header=BB12_1725 Depth=3
	s_or_b32 exec_lo, exec_lo, s14
	v_and_b32_e32 v1, 0xffff0000, v12
	v_and_b32_e32 v0, 0xffff0000, v8
	s_mov_b32 s14, exec_lo
                                        ; implicit-def: $vgpr7
	s_delay_alu instid0(VALU_DEP_2) | instskip(NEXT) | instid1(VALU_DEP_1)
	v_mov_b32_e32 v8, v1
	v_pk_mul_f32 v[22:23], v[8:9], v[0:1]
	s_delay_alu instid0(VALU_DEP_1) | instskip(NEXT) | instid1(VALU_DEP_1)
	v_and_b32_e32 v0, 0x7f800000, v22
	v_cmpx_ne_u32_e32 0x7f800000, v0
	s_xor_b32 s14, exec_lo, s14
; %bb.1733:                             ;   in Loop: Header=BB12_1725 Depth=3
	v_bfe_u32 v0, v22, 16, 1
	s_delay_alu instid0(VALU_DEP_1)
	v_add3_u32 v7, v22, v0, 0x7fff
                                        ; implicit-def: $vgpr22_vgpr23
; %bb.1734:                             ;   in Loop: Header=BB12_1725 Depth=3
	s_and_not1_saveexec_b32 s14, s14
; %bb.1735:                             ;   in Loop: Header=BB12_1725 Depth=3
	v_and_b32_e32 v0, 0xffff, v22
	v_or_b32_e32 v1, 0x10000, v22
	s_delay_alu instid0(VALU_DEP_2) | instskip(NEXT) | instid1(VALU_DEP_2)
	v_cmp_eq_u32_e32 vcc_lo, 0, v0
	v_cndmask_b32_e32 v7, v1, v22, vcc_lo
; %bb.1736:                             ;   in Loop: Header=BB12_1725 Depth=3
	s_or_b32 exec_lo, exec_lo, s14
	v_lshlrev_b32_e32 v0, 16, v9
	v_lshlrev_b32_e32 v1, 16, v13
	s_mov_b32 s14, exec_lo
                                        ; implicit-def: $vgpr12
	s_delay_alu instid0(VALU_DEP_1) | instskip(NEXT) | instid1(VALU_DEP_1)
	v_mul_f32_e32 v0, v1, v0
	v_and_b32_e32 v1, 0x7f800000, v0
	s_delay_alu instid0(VALU_DEP_1)
	v_cmpx_ne_u32_e32 0x7f800000, v1
	s_xor_b32 s14, exec_lo, s14
; %bb.1737:                             ;   in Loop: Header=BB12_1725 Depth=3
	v_bfe_u32 v1, v0, 16, 1
	s_delay_alu instid0(VALU_DEP_1)
	v_add3_u32 v12, v0, v1, 0x7fff
                                        ; implicit-def: $vgpr0
; %bb.1738:                             ;   in Loop: Header=BB12_1725 Depth=3
	s_and_not1_saveexec_b32 s14, s14
; %bb.1739:                             ;   in Loop: Header=BB12_1725 Depth=3
	v_and_b32_e32 v1, 0xffff, v0
	v_or_b32_e32 v8, 0x10000, v0
	s_delay_alu instid0(VALU_DEP_2) | instskip(NEXT) | instid1(VALU_DEP_2)
	v_cmp_eq_u32_e32 vcc_lo, 0, v1
	v_cndmask_b32_e32 v12, v8, v0, vcc_lo
; %bb.1740:                             ;   in Loop: Header=BB12_1725 Depth=3
	s_or_b32 exec_lo, exec_lo, s14
	v_and_b32_e32 v1, 0xffff0000, v13
	v_and_b32_e32 v0, 0xffff0000, v9
	s_delay_alu instid0(VALU_DEP_2) | instskip(NEXT) | instid1(VALU_DEP_1)
	v_mov_b32_e32 v8, v1
	v_pk_mul_f32 v[8:9], v[8:9], v[0:1]
	s_delay_alu instid0(VALU_DEP_1) | instskip(NEXT) | instid1(VALU_DEP_1)
	v_and_b32_e32 v0, 0x7f800000, v8
	v_cmp_ne_u32_e32 vcc_lo, 0x7f800000, v0
                                        ; implicit-def: $vgpr0
	s_and_saveexec_b32 s14, vcc_lo
	s_delay_alu instid0(SALU_CYCLE_1)
	s_xor_b32 s14, exec_lo, s14
; %bb.1741:                             ;   in Loop: Header=BB12_1725 Depth=3
	v_bfe_u32 v0, v8, 16, 1
	s_delay_alu instid0(VALU_DEP_1)
	v_add3_u32 v0, v8, v0, 0x7fff
                                        ; implicit-def: $vgpr8_vgpr9
; %bb.1742:                             ;   in Loop: Header=BB12_1725 Depth=3
	s_and_not1_saveexec_b32 s14, s14
; %bb.1743:                             ;   in Loop: Header=BB12_1725 Depth=3
	v_and_b32_e32 v0, 0xffff, v8
	v_or_b32_e32 v1, 0x10000, v8
	s_delay_alu instid0(VALU_DEP_2) | instskip(NEXT) | instid1(VALU_DEP_2)
	v_cmp_eq_u32_e32 vcc_lo, 0, v0
	v_cndmask_b32_e32 v0, v1, v8, vcc_lo
; %bb.1744:                             ;   in Loop: Header=BB12_1725 Depth=3
	s_or_b32 exec_lo, exec_lo, s14
	v_lshlrev_b32_e32 v1, 16, v10
	v_lshlrev_b32_e32 v8, 16, v14
	s_delay_alu instid0(VALU_DEP_1) | instskip(NEXT) | instid1(VALU_DEP_1)
	v_mul_f32_e32 v8, v8, v1
	v_and_b32_e32 v1, 0x7f800000, v8
	s_delay_alu instid0(VALU_DEP_1) | instskip(SKIP_1) | instid1(SALU_CYCLE_1)
	v_cmp_ne_u32_e32 vcc_lo, 0x7f800000, v1
                                        ; implicit-def: $vgpr1
	s_and_saveexec_b32 s14, vcc_lo
	s_xor_b32 s14, exec_lo, s14
; %bb.1745:                             ;   in Loop: Header=BB12_1725 Depth=3
	v_bfe_u32 v1, v8, 16, 1
	s_delay_alu instid0(VALU_DEP_1)
	v_add3_u32 v1, v8, v1, 0x7fff
                                        ; implicit-def: $vgpr8
; %bb.1746:                             ;   in Loop: Header=BB12_1725 Depth=3
	s_and_not1_saveexec_b32 s14, s14
; %bb.1747:                             ;   in Loop: Header=BB12_1725 Depth=3
	v_and_b32_e32 v1, 0xffff, v8
	v_or_b32_e32 v9, 0x10000, v8
	s_delay_alu instid0(VALU_DEP_2) | instskip(NEXT) | instid1(VALU_DEP_2)
	v_cmp_eq_u32_e32 vcc_lo, 0, v1
	v_cndmask_b32_e32 v1, v9, v8, vcc_lo
; %bb.1748:                             ;   in Loop: Header=BB12_1725 Depth=3
	s_or_b32 exec_lo, exec_lo, s14
	v_and_b32_e32 v9, 0xffff0000, v14
	v_and_b32_e32 v8, 0xffff0000, v10
	s_mov_b32 s14, exec_lo
	s_delay_alu instid0(VALU_DEP_2) | instskip(NEXT) | instid1(VALU_DEP_1)
	v_mov_b32_e32 v10, v9
	v_pk_mul_f32 v[8:9], v[10:11], v[8:9]
                                        ; implicit-def: $vgpr10
	s_delay_alu instid0(VALU_DEP_1) | instskip(NEXT) | instid1(VALU_DEP_1)
	v_and_b32_e32 v9, 0x7f800000, v8
	v_cmpx_ne_u32_e32 0x7f800000, v9
	s_xor_b32 s14, exec_lo, s14
; %bb.1749:                             ;   in Loop: Header=BB12_1725 Depth=3
	v_bfe_u32 v9, v8, 16, 1
	s_delay_alu instid0(VALU_DEP_1)
	v_add3_u32 v10, v8, v9, 0x7fff
                                        ; implicit-def: $vgpr8_vgpr9
; %bb.1750:                             ;   in Loop: Header=BB12_1725 Depth=3
	s_and_not1_saveexec_b32 s14, s14
; %bb.1751:                             ;   in Loop: Header=BB12_1725 Depth=3
	v_and_b32_e32 v9, 0xffff, v8
	v_or_b32_e32 v10, 0x10000, v8
	s_delay_alu instid0(VALU_DEP_2) | instskip(NEXT) | instid1(VALU_DEP_2)
	v_cmp_eq_u32_e32 vcc_lo, 0, v9
	v_cndmask_b32_e32 v10, v10, v8, vcc_lo
; %bb.1752:                             ;   in Loop: Header=BB12_1725 Depth=3
	s_or_b32 exec_lo, exec_lo, s14
	v_lshlrev_b32_e32 v8, 16, v11
	v_lshlrev_b32_e32 v9, 16, v15
	s_mov_b32 s14, exec_lo
                                        ; implicit-def: $vgpr13
	s_delay_alu instid0(VALU_DEP_1) | instskip(NEXT) | instid1(VALU_DEP_1)
	v_mul_f32_e32 v8, v9, v8
	v_and_b32_e32 v9, 0x7f800000, v8
	s_delay_alu instid0(VALU_DEP_1)
	v_cmpx_ne_u32_e32 0x7f800000, v9
	s_xor_b32 s14, exec_lo, s14
; %bb.1753:                             ;   in Loop: Header=BB12_1725 Depth=3
	v_bfe_u32 v9, v8, 16, 1
	s_delay_alu instid0(VALU_DEP_1)
	v_add3_u32 v13, v8, v9, 0x7fff
                                        ; implicit-def: $vgpr8
; %bb.1754:                             ;   in Loop: Header=BB12_1725 Depth=3
	s_and_not1_saveexec_b32 s14, s14
; %bb.1755:                             ;   in Loop: Header=BB12_1725 Depth=3
	v_and_b32_e32 v9, 0xffff, v8
	v_or_b32_e32 v13, 0x10000, v8
	s_delay_alu instid0(VALU_DEP_2) | instskip(NEXT) | instid1(VALU_DEP_2)
	v_cmp_eq_u32_e32 vcc_lo, 0, v9
	v_cndmask_b32_e32 v13, v13, v8, vcc_lo
; %bb.1756:                             ;   in Loop: Header=BB12_1725 Depth=3
	s_or_b32 exec_lo, exec_lo, s14
	v_and_b32_e32 v9, 0xffff0000, v15
	v_and_b32_e32 v8, 0xffff0000, v11
	s_mov_b32 s14, exec_lo
                                        ; implicit-def: $vgpr11
	s_delay_alu instid0(VALU_DEP_2) | instskip(NEXT) | instid1(VALU_DEP_1)
	v_mov_b32_e32 v14, v9
	v_pk_mul_f32 v[8:9], v[14:15], v[8:9]
	s_delay_alu instid0(VALU_DEP_1) | instskip(NEXT) | instid1(VALU_DEP_1)
	v_and_b32_e32 v9, 0x7f800000, v8
	v_cmpx_ne_u32_e32 0x7f800000, v9
	s_xor_b32 s14, exec_lo, s14
; %bb.1757:                             ;   in Loop: Header=BB12_1725 Depth=3
	v_bfe_u32 v9, v8, 16, 1
	s_delay_alu instid0(VALU_DEP_1)
	v_add3_u32 v11, v8, v9, 0x7fff
                                        ; implicit-def: $vgpr8_vgpr9
; %bb.1758:                             ;   in Loop: Header=BB12_1725 Depth=3
	s_and_not1_saveexec_b32 s14, s14
; %bb.1759:                             ;   in Loop: Header=BB12_1725 Depth=3
	v_and_b32_e32 v9, 0xffff, v8
	v_or_b32_e32 v11, 0x10000, v8
	s_delay_alu instid0(VALU_DEP_2) | instskip(NEXT) | instid1(VALU_DEP_2)
	v_cmp_eq_u32_e32 vcc_lo, 0, v9
	v_cndmask_b32_e32 v11, v11, v8, vcc_lo
; %bb.1760:                             ;   in Loop: Header=BB12_1725 Depth=3
	s_or_b32 exec_lo, exec_lo, s14
	v_dual_lshrrev_b32 v8, 16, v12 :: v_dual_lshrrev_b32 v6, 16, v6
	v_lshrrev_b32_e32 v1, 16, v1
	v_lshrrev_b32_e32 v12, 16, v13
	s_mov_b64 s[40:41], 0
	s_delay_alu instid0(VALU_DEP_3)
	v_and_or_b32 v9, 0xffff0000, v0, v8
	v_and_or_b32 v8, 0xffff0000, v7, v6
	;; [unrolled: 1-line block ×4, first 2 shown]
	s_mov_b32 s89, -1
	scratch_store_b128 off, v[8:11], s33 offset:224
.LBB12_1761:                            ;   Parent Loop BB12_47 Depth=1
                                        ;     Parent Loop BB12_1247 Depth=2
                                        ;       Parent Loop BB12_1725 Depth=3
                                        ; =>      This Inner Loop Header: Depth=4
	s_cmp_eq_u32 s40, 1
	s_cselect_b32 vcc_lo, -1, 0
	s_cmp_eq_u32 s40, 0
	s_wait_xcnt 0x0
	v_dual_cndmask_b32 v1, v5, v17 :: v_dual_cndmask_b32 v0, v4, v16
	s_cselect_b32 s14, -1, 0
	s_and_b32 s15, exec_lo, s89
	s_mov_b64 s[40:41], 1
	s_mov_b32 s89, 0
	v_add_nc_u64_e32 v[6:7], 0x200, v[0:1]
	global_store_b128 v[0:1], v[8:11], off th:TH_STORE_NT
	v_dual_cndmask_b32 v17, v17, v7 :: v_dual_cndmask_b32 v16, v16, v6
	v_dual_cndmask_b32 v5, v5, v7, s14 :: v_dual_cndmask_b32 v4, v4, v6, s14
	s_mov_b32 vcc_lo, s15
	s_cbranch_vccnz .LBB12_1761
; %bb.1762:                             ;   in Loop: Header=BB12_1725 Depth=3
	s_delay_alu instid0(VALU_DEP_1)
	v_add_nc_u64_e32 v[4:5], v[4:5], v[90:91]
	v_add_nc_u64_e32 v[16:17], v[16:17], v[90:91]
.LBB12_1763:                            ;   in Loop: Header=BB12_1725 Depth=3
	s_wait_xcnt 0x0
	s_or_b32 exec_lo, exec_lo, s90
	v_sub_nc_u32_e32 v2, v2, v121
	v_add_nc_u64_e32 v[18:19], v[18:19], v[90:91]
	v_add_nc_u64_e32 v[20:21], v[20:21], v[90:91]
	s_delay_alu instid0(VALU_DEP_3)
	v_cmp_lt_i32_e64 s89, 15, v2
	s_and_saveexec_b32 s90, s89
	s_cbranch_execz .LBB12_1766
; %bb.1764:                             ;   in Loop: Header=BB12_1725 Depth=3
	s_add_co_i32 s14, s33, 0xe0
	s_mov_b64 s[40:41], 0
	s_mov_b32 s91, s14
	s_mov_b32 s92, -1
.LBB12_1765:                            ;   Parent Loop BB12_47 Depth=1
                                        ;     Parent Loop BB12_1247 Depth=2
                                        ;       Parent Loop BB12_1725 Depth=3
                                        ; =>      This Inner Loop Header: Depth=4
	s_cmp_eq_u32 s40, 1
	s_cselect_b32 vcc_lo, -1, 0
	s_cmp_eq_u32 s40, 0
	v_dual_cndmask_b32 v1, v19, v21 :: v_dual_cndmask_b32 v0, v18, v20
	s_cselect_b32 s14, -1, 0
	s_and_b32 s15, exec_lo, s92
	s_mov_b64 s[40:41], 1
	s_mov_b32 s92, 0
	global_load_b128 v[6:9], v[0:1], off th:TH_LOAD_NT
	s_wait_xcnt 0x0
	v_add_nc_u64_e32 v[0:1], 0x200, v[0:1]
	s_delay_alu instid0(VALU_DEP_1)
	v_dual_cndmask_b32 v19, v19, v1, s14 :: v_dual_cndmask_b32 v18, v18, v0, s14
	v_dual_cndmask_b32 v21, v21, v1 :: v_dual_cndmask_b32 v20, v20, v0
	s_mov_b32 vcc_lo, s15
	s_wait_loadcnt 0x0
	scratch_store_b128 off, v[6:9], s91
	s_wait_xcnt 0x0
	s_mov_b32 s91, s57
	s_cbranch_vccnz .LBB12_1765
.LBB12_1766:                            ;   in Loop: Header=BB12_1725 Depth=3
	s_or_b32 exec_lo, exec_lo, s90
	s_clause 0x1
	scratch_load_b128 v[8:11], off, s33 offset:192
	scratch_load_b128 v[12:15], off, s33 offset:208
	s_mov_b32 s14, exec_lo
                                        ; implicit-def: $vgpr6
	s_wait_loadcnt 0x1
	v_lshlrev_b32_e32 v0, 16, v8
	s_wait_loadcnt 0x0
	v_lshlrev_b32_e32 v1, 16, v12
	s_delay_alu instid0(VALU_DEP_1) | instskip(NEXT) | instid1(VALU_DEP_1)
	v_mul_f32_e32 v0, v0, v1
	v_and_b32_e32 v1, 0x7f800000, v0
	s_wait_xcnt 0x0
	s_delay_alu instid0(VALU_DEP_1)
	v_cmpx_ne_u32_e32 0x7f800000, v1
	s_xor_b32 s14, exec_lo, s14
; %bb.1767:                             ;   in Loop: Header=BB12_1725 Depth=3
	v_bfe_u32 v1, v0, 16, 1
	s_delay_alu instid0(VALU_DEP_1)
	v_add3_u32 v6, v0, v1, 0x7fff
                                        ; implicit-def: $vgpr0
; %bb.1768:                             ;   in Loop: Header=BB12_1725 Depth=3
	s_and_not1_saveexec_b32 s14, s14
; %bb.1769:                             ;   in Loop: Header=BB12_1725 Depth=3
	v_and_b32_e32 v1, 0xffff, v0
	v_or_b32_e32 v6, 0x10000, v0
	s_delay_alu instid0(VALU_DEP_2) | instskip(NEXT) | instid1(VALU_DEP_2)
	v_cmp_eq_u32_e32 vcc_lo, 0, v1
	v_cndmask_b32_e32 v6, v6, v0, vcc_lo
; %bb.1770:                             ;   in Loop: Header=BB12_1725 Depth=3
	s_or_b32 exec_lo, exec_lo, s14
	v_and_b32_e32 v1, 0xffff0000, v12
	v_and_b32_e32 v0, 0xffff0000, v8
	s_mov_b32 s14, exec_lo
                                        ; implicit-def: $vgpr7
	s_delay_alu instid0(VALU_DEP_2) | instskip(NEXT) | instid1(VALU_DEP_1)
	v_mov_b32_e32 v8, v1
	v_pk_mul_f32 v[22:23], v[8:9], v[0:1]
	s_delay_alu instid0(VALU_DEP_1) | instskip(NEXT) | instid1(VALU_DEP_1)
	v_and_b32_e32 v0, 0x7f800000, v22
	v_cmpx_ne_u32_e32 0x7f800000, v0
	s_xor_b32 s14, exec_lo, s14
; %bb.1771:                             ;   in Loop: Header=BB12_1725 Depth=3
	v_bfe_u32 v0, v22, 16, 1
	s_delay_alu instid0(VALU_DEP_1)
	v_add3_u32 v7, v22, v0, 0x7fff
                                        ; implicit-def: $vgpr22_vgpr23
; %bb.1772:                             ;   in Loop: Header=BB12_1725 Depth=3
	s_and_not1_saveexec_b32 s14, s14
; %bb.1773:                             ;   in Loop: Header=BB12_1725 Depth=3
	v_and_b32_e32 v0, 0xffff, v22
	v_or_b32_e32 v1, 0x10000, v22
	s_delay_alu instid0(VALU_DEP_2) | instskip(NEXT) | instid1(VALU_DEP_2)
	v_cmp_eq_u32_e32 vcc_lo, 0, v0
	v_cndmask_b32_e32 v7, v1, v22, vcc_lo
; %bb.1774:                             ;   in Loop: Header=BB12_1725 Depth=3
	s_or_b32 exec_lo, exec_lo, s14
	v_lshlrev_b32_e32 v0, 16, v9
	v_lshlrev_b32_e32 v1, 16, v13
	s_mov_b32 s14, exec_lo
                                        ; implicit-def: $vgpr12
	s_delay_alu instid0(VALU_DEP_1) | instskip(NEXT) | instid1(VALU_DEP_1)
	v_mul_f32_e32 v0, v1, v0
	v_and_b32_e32 v1, 0x7f800000, v0
	s_delay_alu instid0(VALU_DEP_1)
	v_cmpx_ne_u32_e32 0x7f800000, v1
	s_xor_b32 s14, exec_lo, s14
; %bb.1775:                             ;   in Loop: Header=BB12_1725 Depth=3
	v_bfe_u32 v1, v0, 16, 1
	s_delay_alu instid0(VALU_DEP_1)
	v_add3_u32 v12, v0, v1, 0x7fff
                                        ; implicit-def: $vgpr0
; %bb.1776:                             ;   in Loop: Header=BB12_1725 Depth=3
	s_and_not1_saveexec_b32 s14, s14
; %bb.1777:                             ;   in Loop: Header=BB12_1725 Depth=3
	v_and_b32_e32 v1, 0xffff, v0
	v_or_b32_e32 v8, 0x10000, v0
	s_delay_alu instid0(VALU_DEP_2) | instskip(NEXT) | instid1(VALU_DEP_2)
	v_cmp_eq_u32_e32 vcc_lo, 0, v1
	v_cndmask_b32_e32 v12, v8, v0, vcc_lo
; %bb.1778:                             ;   in Loop: Header=BB12_1725 Depth=3
	s_or_b32 exec_lo, exec_lo, s14
	v_and_b32_e32 v1, 0xffff0000, v13
	v_and_b32_e32 v0, 0xffff0000, v9
	s_delay_alu instid0(VALU_DEP_2) | instskip(NEXT) | instid1(VALU_DEP_1)
	v_mov_b32_e32 v8, v1
	v_pk_mul_f32 v[8:9], v[8:9], v[0:1]
	s_delay_alu instid0(VALU_DEP_1) | instskip(NEXT) | instid1(VALU_DEP_1)
	v_and_b32_e32 v0, 0x7f800000, v8
	v_cmp_ne_u32_e32 vcc_lo, 0x7f800000, v0
                                        ; implicit-def: $vgpr0
	s_and_saveexec_b32 s14, vcc_lo
	s_delay_alu instid0(SALU_CYCLE_1)
	s_xor_b32 s14, exec_lo, s14
; %bb.1779:                             ;   in Loop: Header=BB12_1725 Depth=3
	v_bfe_u32 v0, v8, 16, 1
	s_delay_alu instid0(VALU_DEP_1)
	v_add3_u32 v0, v8, v0, 0x7fff
                                        ; implicit-def: $vgpr8_vgpr9
; %bb.1780:                             ;   in Loop: Header=BB12_1725 Depth=3
	s_and_not1_saveexec_b32 s14, s14
; %bb.1781:                             ;   in Loop: Header=BB12_1725 Depth=3
	v_and_b32_e32 v0, 0xffff, v8
	v_or_b32_e32 v1, 0x10000, v8
	s_delay_alu instid0(VALU_DEP_2) | instskip(NEXT) | instid1(VALU_DEP_2)
	v_cmp_eq_u32_e32 vcc_lo, 0, v0
	v_cndmask_b32_e32 v0, v1, v8, vcc_lo
; %bb.1782:                             ;   in Loop: Header=BB12_1725 Depth=3
	s_or_b32 exec_lo, exec_lo, s14
	v_lshlrev_b32_e32 v1, 16, v10
	v_lshlrev_b32_e32 v8, 16, v14
	s_delay_alu instid0(VALU_DEP_1) | instskip(NEXT) | instid1(VALU_DEP_1)
	v_mul_f32_e32 v8, v8, v1
	v_and_b32_e32 v1, 0x7f800000, v8
	s_delay_alu instid0(VALU_DEP_1) | instskip(SKIP_1) | instid1(SALU_CYCLE_1)
	v_cmp_ne_u32_e32 vcc_lo, 0x7f800000, v1
                                        ; implicit-def: $vgpr1
	s_and_saveexec_b32 s14, vcc_lo
	s_xor_b32 s14, exec_lo, s14
; %bb.1783:                             ;   in Loop: Header=BB12_1725 Depth=3
	v_bfe_u32 v1, v8, 16, 1
	s_delay_alu instid0(VALU_DEP_1)
	v_add3_u32 v1, v8, v1, 0x7fff
                                        ; implicit-def: $vgpr8
; %bb.1784:                             ;   in Loop: Header=BB12_1725 Depth=3
	s_and_not1_saveexec_b32 s14, s14
; %bb.1785:                             ;   in Loop: Header=BB12_1725 Depth=3
	v_and_b32_e32 v1, 0xffff, v8
	v_or_b32_e32 v9, 0x10000, v8
	s_delay_alu instid0(VALU_DEP_2) | instskip(NEXT) | instid1(VALU_DEP_2)
	v_cmp_eq_u32_e32 vcc_lo, 0, v1
	v_cndmask_b32_e32 v1, v9, v8, vcc_lo
; %bb.1786:                             ;   in Loop: Header=BB12_1725 Depth=3
	s_or_b32 exec_lo, exec_lo, s14
	v_and_b32_e32 v9, 0xffff0000, v14
	v_and_b32_e32 v8, 0xffff0000, v10
	s_mov_b32 s14, exec_lo
	s_delay_alu instid0(VALU_DEP_2) | instskip(NEXT) | instid1(VALU_DEP_1)
	v_mov_b32_e32 v10, v9
	v_pk_mul_f32 v[8:9], v[10:11], v[8:9]
                                        ; implicit-def: $vgpr10
	s_delay_alu instid0(VALU_DEP_1) | instskip(NEXT) | instid1(VALU_DEP_1)
	v_and_b32_e32 v9, 0x7f800000, v8
	v_cmpx_ne_u32_e32 0x7f800000, v9
	s_xor_b32 s14, exec_lo, s14
; %bb.1787:                             ;   in Loop: Header=BB12_1725 Depth=3
	v_bfe_u32 v9, v8, 16, 1
	s_delay_alu instid0(VALU_DEP_1)
	v_add3_u32 v10, v8, v9, 0x7fff
                                        ; implicit-def: $vgpr8_vgpr9
; %bb.1788:                             ;   in Loop: Header=BB12_1725 Depth=3
	s_and_not1_saveexec_b32 s14, s14
; %bb.1789:                             ;   in Loop: Header=BB12_1725 Depth=3
	v_and_b32_e32 v9, 0xffff, v8
	v_or_b32_e32 v10, 0x10000, v8
	s_delay_alu instid0(VALU_DEP_2) | instskip(NEXT) | instid1(VALU_DEP_2)
	v_cmp_eq_u32_e32 vcc_lo, 0, v9
	v_cndmask_b32_e32 v10, v10, v8, vcc_lo
; %bb.1790:                             ;   in Loop: Header=BB12_1725 Depth=3
	s_or_b32 exec_lo, exec_lo, s14
	v_lshlrev_b32_e32 v8, 16, v11
	v_lshlrev_b32_e32 v9, 16, v15
	s_mov_b32 s14, exec_lo
                                        ; implicit-def: $vgpr13
	s_delay_alu instid0(VALU_DEP_1) | instskip(NEXT) | instid1(VALU_DEP_1)
	v_mul_f32_e32 v8, v9, v8
	v_and_b32_e32 v9, 0x7f800000, v8
	s_delay_alu instid0(VALU_DEP_1)
	v_cmpx_ne_u32_e32 0x7f800000, v9
	s_xor_b32 s14, exec_lo, s14
; %bb.1791:                             ;   in Loop: Header=BB12_1725 Depth=3
	v_bfe_u32 v9, v8, 16, 1
	s_delay_alu instid0(VALU_DEP_1)
	v_add3_u32 v13, v8, v9, 0x7fff
                                        ; implicit-def: $vgpr8
; %bb.1792:                             ;   in Loop: Header=BB12_1725 Depth=3
	s_and_not1_saveexec_b32 s14, s14
; %bb.1793:                             ;   in Loop: Header=BB12_1725 Depth=3
	v_and_b32_e32 v9, 0xffff, v8
	v_or_b32_e32 v13, 0x10000, v8
	s_delay_alu instid0(VALU_DEP_2) | instskip(NEXT) | instid1(VALU_DEP_2)
	v_cmp_eq_u32_e32 vcc_lo, 0, v9
	v_cndmask_b32_e32 v13, v13, v8, vcc_lo
; %bb.1794:                             ;   in Loop: Header=BB12_1725 Depth=3
	s_or_b32 exec_lo, exec_lo, s14
	v_and_b32_e32 v9, 0xffff0000, v15
	v_and_b32_e32 v8, 0xffff0000, v11
	s_mov_b32 s14, exec_lo
                                        ; implicit-def: $vgpr11
	s_delay_alu instid0(VALU_DEP_2) | instskip(NEXT) | instid1(VALU_DEP_1)
	v_mov_b32_e32 v14, v9
	v_pk_mul_f32 v[8:9], v[14:15], v[8:9]
	s_delay_alu instid0(VALU_DEP_1) | instskip(NEXT) | instid1(VALU_DEP_1)
	v_and_b32_e32 v9, 0x7f800000, v8
	v_cmpx_ne_u32_e32 0x7f800000, v9
	s_xor_b32 s14, exec_lo, s14
; %bb.1795:                             ;   in Loop: Header=BB12_1725 Depth=3
	v_bfe_u32 v9, v8, 16, 1
	s_delay_alu instid0(VALU_DEP_1)
	v_add3_u32 v11, v8, v9, 0x7fff
                                        ; implicit-def: $vgpr8_vgpr9
; %bb.1796:                             ;   in Loop: Header=BB12_1725 Depth=3
	s_and_not1_saveexec_b32 s14, s14
; %bb.1797:                             ;   in Loop: Header=BB12_1725 Depth=3
	v_and_b32_e32 v9, 0xffff, v8
	v_or_b32_e32 v11, 0x10000, v8
	s_delay_alu instid0(VALU_DEP_2) | instskip(NEXT) | instid1(VALU_DEP_2)
	v_cmp_eq_u32_e32 vcc_lo, 0, v9
	v_cndmask_b32_e32 v11, v11, v8, vcc_lo
; %bb.1798:                             ;   in Loop: Header=BB12_1725 Depth=3
	s_or_b32 exec_lo, exec_lo, s14
	v_dual_lshrrev_b32 v8, 16, v12 :: v_dual_lshrrev_b32 v6, 16, v6
	v_lshrrev_b32_e32 v1, 16, v1
	v_lshrrev_b32_e32 v12, 16, v13
	s_mov_b64 s[40:41], 0
	s_delay_alu instid0(VALU_DEP_3)
	v_and_or_b32 v9, 0xffff0000, v0, v8
	v_and_or_b32 v8, 0xffff0000, v7, v6
	;; [unrolled: 1-line block ×4, first 2 shown]
	s_mov_b32 s90, -1
	scratch_store_b128 off, v[8:11], s33 offset:192
.LBB12_1799:                            ;   Parent Loop BB12_47 Depth=1
                                        ;     Parent Loop BB12_1247 Depth=2
                                        ;       Parent Loop BB12_1725 Depth=3
                                        ; =>      This Inner Loop Header: Depth=4
	s_cmp_eq_u32 s40, 1
	s_cselect_b32 vcc_lo, -1, 0
	s_cmp_eq_u32 s40, 0
	s_wait_xcnt 0x0
	v_dual_cndmask_b32 v1, v5, v17 :: v_dual_cndmask_b32 v0, v4, v16
	s_cselect_b32 s14, -1, 0
	s_and_b32 s15, exec_lo, s90
	s_mov_b64 s[40:41], 1
	s_mov_b32 s90, 0
	v_add_nc_u64_e32 v[6:7], 0x200, v[0:1]
	global_store_b128 v[0:1], v[8:11], off th:TH_STORE_NT
	v_dual_cndmask_b32 v17, v17, v7 :: v_dual_cndmask_b32 v16, v16, v6
	v_dual_cndmask_b32 v5, v5, v7, s14 :: v_dual_cndmask_b32 v4, v4, v6, s14
	s_mov_b32 vcc_lo, s15
	s_cbranch_vccnz .LBB12_1799
; %bb.1800:                             ;   in Loop: Header=BB12_1725 Depth=3
	v_sub_nc_u32_e32 v31, v31, v60
	s_wait_xcnt 0x0
	s_and_saveexec_b32 s14, s89
	s_cbranch_execz .LBB12_1724
; %bb.1801:                             ;   in Loop: Header=BB12_1725 Depth=3
	v_add_nc_u64_e32 v[4:5], v[4:5], v[90:91]
	v_add_nc_u64_e32 v[16:17], v[16:17], v[90:91]
	;; [unrolled: 1-line block ×4, first 2 shown]
	v_dual_sub_nc_u32 v2, v2, v121 :: v_dual_sub_nc_u32 v31, v31, v60
	s_branch .LBB12_1724
.LBB12_1802:                            ;   in Loop: Header=BB12_1247 Depth=2
	s_or_b32 exec_lo, exec_lo, s79
	s_delay_alu instid0(SALU_CYCLE_1)
	s_and_b32 s14, s88, exec_lo
.LBB12_1803:                            ;   in Loop: Header=BB12_1247 Depth=2
	s_or_b32 exec_lo, exec_lo, s78
	s_and_saveexec_b32 s78, s14
	s_cbranch_execz .LBB12_1838
; %bb.1804:                             ;   in Loop: Header=BB12_1247 Depth=2
	s_clause 0x1
	scratch_load_b128 v[8:11], off, s33 offset:224
	scratch_load_b128 v[12:15], off, s33 offset:240
	s_mov_b32 s14, exec_lo
                                        ; implicit-def: $vgpr2
	s_wait_loadcnt 0x1
	v_lshlrev_b32_e32 v0, 16, v8
	s_wait_loadcnt 0x0
	v_lshlrev_b32_e32 v1, 16, v12
	s_delay_alu instid0(VALU_DEP_1) | instskip(NEXT) | instid1(VALU_DEP_1)
	v_mul_f32_e32 v0, v0, v1
	v_and_b32_e32 v1, 0x7f800000, v0
	s_wait_xcnt 0x0
	s_delay_alu instid0(VALU_DEP_1)
	v_cmpx_ne_u32_e32 0x7f800000, v1
	s_xor_b32 s14, exec_lo, s14
; %bb.1805:                             ;   in Loop: Header=BB12_1247 Depth=2
	v_bfe_u32 v1, v0, 16, 1
	s_delay_alu instid0(VALU_DEP_1)
	v_add3_u32 v2, v0, v1, 0x7fff
                                        ; implicit-def: $vgpr0
; %bb.1806:                             ;   in Loop: Header=BB12_1247 Depth=2
	s_and_not1_saveexec_b32 s14, s14
; %bb.1807:                             ;   in Loop: Header=BB12_1247 Depth=2
	v_and_b32_e32 v1, 0xffff, v0
	v_or_b32_e32 v2, 0x10000, v0
	s_delay_alu instid0(VALU_DEP_2) | instskip(NEXT) | instid1(VALU_DEP_2)
	v_cmp_eq_u32_e32 vcc_lo, 0, v1
	v_cndmask_b32_e32 v2, v2, v0, vcc_lo
; %bb.1808:                             ;   in Loop: Header=BB12_1247 Depth=2
	s_or_b32 exec_lo, exec_lo, s14
	v_and_b32_e32 v1, 0xffff0000, v12
	v_and_b32_e32 v0, 0xffff0000, v8
	s_mov_b32 s14, exec_lo
	s_delay_alu instid0(VALU_DEP_2) | instskip(NEXT) | instid1(VALU_DEP_1)
	v_mov_b32_e32 v6, v1
	v_pk_mul_f32 v[18:19], v[6:7], v[0:1]
                                        ; implicit-def: $vgpr6
	s_delay_alu instid0(VALU_DEP_1) | instskip(NEXT) | instid1(VALU_DEP_1)
	v_and_b32_e32 v0, 0x7f800000, v18
	v_cmpx_ne_u32_e32 0x7f800000, v0
	s_xor_b32 s14, exec_lo, s14
; %bb.1809:                             ;   in Loop: Header=BB12_1247 Depth=2
	v_bfe_u32 v0, v18, 16, 1
	s_delay_alu instid0(VALU_DEP_1)
	v_add3_u32 v6, v18, v0, 0x7fff
                                        ; implicit-def: $vgpr18_vgpr19
; %bb.1810:                             ;   in Loop: Header=BB12_1247 Depth=2
	s_and_not1_saveexec_b32 s14, s14
; %bb.1811:                             ;   in Loop: Header=BB12_1247 Depth=2
	v_and_b32_e32 v0, 0xffff, v18
	v_or_b32_e32 v1, 0x10000, v18
	s_delay_alu instid0(VALU_DEP_2) | instskip(NEXT) | instid1(VALU_DEP_2)
	v_cmp_eq_u32_e32 vcc_lo, 0, v0
	v_cndmask_b32_e32 v6, v1, v18, vcc_lo
; %bb.1812:                             ;   in Loop: Header=BB12_1247 Depth=2
	s_or_b32 exec_lo, exec_lo, s14
	v_lshlrev_b32_e32 v0, 16, v9
	v_lshlrev_b32_e32 v1, 16, v13
	s_mov_b32 s14, exec_lo
                                        ; implicit-def: $vgpr7
	s_delay_alu instid0(VALU_DEP_1) | instskip(NEXT) | instid1(VALU_DEP_1)
	v_mul_f32_e32 v0, v1, v0
	v_and_b32_e32 v1, 0x7f800000, v0
	s_delay_alu instid0(VALU_DEP_1)
	v_cmpx_ne_u32_e32 0x7f800000, v1
	s_xor_b32 s14, exec_lo, s14
; %bb.1813:                             ;   in Loop: Header=BB12_1247 Depth=2
	v_bfe_u32 v1, v0, 16, 1
	s_delay_alu instid0(VALU_DEP_1)
	v_add3_u32 v7, v0, v1, 0x7fff
                                        ; implicit-def: $vgpr0
; %bb.1814:                             ;   in Loop: Header=BB12_1247 Depth=2
	s_and_not1_saveexec_b32 s14, s14
; %bb.1815:                             ;   in Loop: Header=BB12_1247 Depth=2
	v_and_b32_e32 v1, 0xffff, v0
	v_or_b32_e32 v7, 0x10000, v0
	s_delay_alu instid0(VALU_DEP_2) | instskip(NEXT) | instid1(VALU_DEP_2)
	v_cmp_eq_u32_e32 vcc_lo, 0, v1
	v_cndmask_b32_e32 v7, v7, v0, vcc_lo
; %bb.1816:                             ;   in Loop: Header=BB12_1247 Depth=2
	s_or_b32 exec_lo, exec_lo, s14
	v_and_b32_e32 v1, 0xffff0000, v13
	v_and_b32_e32 v0, 0xffff0000, v9
	s_delay_alu instid0(VALU_DEP_2) | instskip(NEXT) | instid1(VALU_DEP_1)
	v_mov_b32_e32 v8, v1
	v_pk_mul_f32 v[8:9], v[8:9], v[0:1]
	s_delay_alu instid0(VALU_DEP_1) | instskip(NEXT) | instid1(VALU_DEP_1)
	v_and_b32_e32 v0, 0x7f800000, v8
	v_cmp_ne_u32_e32 vcc_lo, 0x7f800000, v0
                                        ; implicit-def: $vgpr0
	s_and_saveexec_b32 s14, vcc_lo
	s_delay_alu instid0(SALU_CYCLE_1)
	s_xor_b32 s14, exec_lo, s14
; %bb.1817:                             ;   in Loop: Header=BB12_1247 Depth=2
	v_bfe_u32 v0, v8, 16, 1
	s_delay_alu instid0(VALU_DEP_1)
	v_add3_u32 v0, v8, v0, 0x7fff
                                        ; implicit-def: $vgpr8_vgpr9
; %bb.1818:                             ;   in Loop: Header=BB12_1247 Depth=2
	s_and_not1_saveexec_b32 s14, s14
; %bb.1819:                             ;   in Loop: Header=BB12_1247 Depth=2
	v_and_b32_e32 v0, 0xffff, v8
	v_or_b32_e32 v1, 0x10000, v8
	s_delay_alu instid0(VALU_DEP_2) | instskip(NEXT) | instid1(VALU_DEP_2)
	v_cmp_eq_u32_e32 vcc_lo, 0, v0
	v_cndmask_b32_e32 v0, v1, v8, vcc_lo
; %bb.1820:                             ;   in Loop: Header=BB12_1247 Depth=2
	s_or_b32 exec_lo, exec_lo, s14
	v_lshlrev_b32_e32 v1, 16, v10
	v_lshlrev_b32_e32 v8, 16, v14
	s_delay_alu instid0(VALU_DEP_1) | instskip(NEXT) | instid1(VALU_DEP_1)
	v_mul_f32_e32 v8, v8, v1
	v_and_b32_e32 v1, 0x7f800000, v8
	s_delay_alu instid0(VALU_DEP_1) | instskip(SKIP_1) | instid1(SALU_CYCLE_1)
	v_cmp_ne_u32_e32 vcc_lo, 0x7f800000, v1
                                        ; implicit-def: $vgpr1
	s_and_saveexec_b32 s14, vcc_lo
	s_xor_b32 s14, exec_lo, s14
; %bb.1821:                             ;   in Loop: Header=BB12_1247 Depth=2
	v_bfe_u32 v1, v8, 16, 1
	s_delay_alu instid0(VALU_DEP_1)
	v_add3_u32 v1, v8, v1, 0x7fff
                                        ; implicit-def: $vgpr8
; %bb.1822:                             ;   in Loop: Header=BB12_1247 Depth=2
	s_and_not1_saveexec_b32 s14, s14
; %bb.1823:                             ;   in Loop: Header=BB12_1247 Depth=2
	v_and_b32_e32 v1, 0xffff, v8
	v_or_b32_e32 v9, 0x10000, v8
	s_delay_alu instid0(VALU_DEP_2) | instskip(NEXT) | instid1(VALU_DEP_2)
	v_cmp_eq_u32_e32 vcc_lo, 0, v1
	v_cndmask_b32_e32 v1, v9, v8, vcc_lo
; %bb.1824:                             ;   in Loop: Header=BB12_1247 Depth=2
	s_or_b32 exec_lo, exec_lo, s14
	v_and_b32_e32 v9, 0xffff0000, v14
	v_and_b32_e32 v8, 0xffff0000, v10
	s_mov_b32 s14, exec_lo
	s_delay_alu instid0(VALU_DEP_2) | instskip(NEXT) | instid1(VALU_DEP_1)
	v_mov_b32_e32 v10, v9
	v_pk_mul_f32 v[8:9], v[10:11], v[8:9]
                                        ; implicit-def: $vgpr10
	s_delay_alu instid0(VALU_DEP_1) | instskip(NEXT) | instid1(VALU_DEP_1)
	v_and_b32_e32 v9, 0x7f800000, v8
	v_cmpx_ne_u32_e32 0x7f800000, v9
	s_xor_b32 s14, exec_lo, s14
; %bb.1825:                             ;   in Loop: Header=BB12_1247 Depth=2
	v_bfe_u32 v9, v8, 16, 1
	s_delay_alu instid0(VALU_DEP_1)
	v_add3_u32 v10, v8, v9, 0x7fff
                                        ; implicit-def: $vgpr8_vgpr9
; %bb.1826:                             ;   in Loop: Header=BB12_1247 Depth=2
	s_and_not1_saveexec_b32 s14, s14
; %bb.1827:                             ;   in Loop: Header=BB12_1247 Depth=2
	v_and_b32_e32 v9, 0xffff, v8
	v_or_b32_e32 v10, 0x10000, v8
	s_delay_alu instid0(VALU_DEP_2) | instskip(NEXT) | instid1(VALU_DEP_2)
	v_cmp_eq_u32_e32 vcc_lo, 0, v9
	v_cndmask_b32_e32 v10, v10, v8, vcc_lo
; %bb.1828:                             ;   in Loop: Header=BB12_1247 Depth=2
	s_or_b32 exec_lo, exec_lo, s14
	v_lshlrev_b32_e32 v8, 16, v11
	v_lshlrev_b32_e32 v9, 16, v15
	s_mov_b32 s14, exec_lo
                                        ; implicit-def: $vgpr12
	s_delay_alu instid0(VALU_DEP_1) | instskip(NEXT) | instid1(VALU_DEP_1)
	v_mul_f32_e32 v8, v9, v8
	v_and_b32_e32 v9, 0x7f800000, v8
	s_delay_alu instid0(VALU_DEP_1)
	v_cmpx_ne_u32_e32 0x7f800000, v9
	s_xor_b32 s14, exec_lo, s14
; %bb.1829:                             ;   in Loop: Header=BB12_1247 Depth=2
	v_bfe_u32 v9, v8, 16, 1
	s_delay_alu instid0(VALU_DEP_1)
	v_add3_u32 v12, v8, v9, 0x7fff
                                        ; implicit-def: $vgpr8
; %bb.1830:                             ;   in Loop: Header=BB12_1247 Depth=2
	s_and_not1_saveexec_b32 s14, s14
; %bb.1831:                             ;   in Loop: Header=BB12_1247 Depth=2
	v_and_b32_e32 v9, 0xffff, v8
	v_or_b32_e32 v12, 0x10000, v8
	s_delay_alu instid0(VALU_DEP_2) | instskip(NEXT) | instid1(VALU_DEP_2)
	v_cmp_eq_u32_e32 vcc_lo, 0, v9
	v_cndmask_b32_e32 v12, v12, v8, vcc_lo
; %bb.1832:                             ;   in Loop: Header=BB12_1247 Depth=2
	s_or_b32 exec_lo, exec_lo, s14
	v_and_b32_e32 v9, 0xffff0000, v15
	v_and_b32_e32 v8, 0xffff0000, v11
	s_mov_b32 s14, exec_lo
                                        ; implicit-def: $vgpr11
	s_delay_alu instid0(VALU_DEP_2) | instskip(NEXT) | instid1(VALU_DEP_1)
	v_mov_b32_e32 v14, v9
	v_pk_mul_f32 v[8:9], v[14:15], v[8:9]
	s_delay_alu instid0(VALU_DEP_1) | instskip(NEXT) | instid1(VALU_DEP_1)
	v_and_b32_e32 v9, 0x7f800000, v8
	v_cmpx_ne_u32_e32 0x7f800000, v9
	s_xor_b32 s14, exec_lo, s14
; %bb.1833:                             ;   in Loop: Header=BB12_1247 Depth=2
	v_bfe_u32 v9, v8, 16, 1
	s_delay_alu instid0(VALU_DEP_1)
	v_add3_u32 v11, v8, v9, 0x7fff
                                        ; implicit-def: $vgpr8_vgpr9
; %bb.1834:                             ;   in Loop: Header=BB12_1247 Depth=2
	s_and_not1_saveexec_b32 s14, s14
; %bb.1835:                             ;   in Loop: Header=BB12_1247 Depth=2
	v_and_b32_e32 v9, 0xffff, v8
	v_or_b32_e32 v11, 0x10000, v8
	s_delay_alu instid0(VALU_DEP_2) | instskip(NEXT) | instid1(VALU_DEP_2)
	v_cmp_eq_u32_e32 vcc_lo, 0, v9
	v_cndmask_b32_e32 v11, v11, v8, vcc_lo
; %bb.1836:                             ;   in Loop: Header=BB12_1247 Depth=2
	s_or_b32 exec_lo, exec_lo, s14
	v_dual_lshrrev_b32 v7, 16, v7 :: v_dual_lshrrev_b32 v2, 16, v2
	v_dual_lshrrev_b32 v1, 16, v1 :: v_dual_lshrrev_b32 v12, 16, v12
	s_mov_b64 s[40:41], 0
	s_delay_alu instid0(VALU_DEP_2) | instskip(NEXT) | instid1(VALU_DEP_3)
	v_and_or_b32 v9, 0xffff0000, v0, v7
	v_and_or_b32 v8, 0xffff0000, v6, v2
	s_delay_alu instid0(VALU_DEP_3)
	v_and_or_b32 v10, 0xffff0000, v10, v1
	v_and_or_b32 v11, 0xffff0000, v11, v12
	s_mov_b32 s79, -1
.LBB12_1837:                            ;   Parent Loop BB12_47 Depth=1
                                        ;     Parent Loop BB12_1247 Depth=2
                                        ; =>    This Inner Loop Header: Depth=3
	s_cmp_eq_u32 s40, 1
	s_cselect_b32 vcc_lo, -1, 0
	s_cmp_eq_u32 s40, 0
	s_wait_xcnt 0x0
	v_dual_cndmask_b32 v1, v5, v17 :: v_dual_cndmask_b32 v0, v4, v16
	s_cselect_b32 s14, -1, 0
	s_and_b32 s15, exec_lo, s79
	s_mov_b64 s[40:41], 1
	s_mov_b32 s79, 0
	v_add_nc_u64_e32 v[6:7], 0x200, v[0:1]
	global_store_b128 v[0:1], v[8:11], off th:TH_STORE_NT
	v_dual_cndmask_b32 v17, v17, v7 :: v_dual_cndmask_b32 v16, v16, v6
	v_dual_cndmask_b32 v5, v5, v7, s14 :: v_dual_cndmask_b32 v4, v4, v6, s14
	s_mov_b32 vcc_lo, s15
	s_cbranch_vccnz .LBB12_1837
.LBB12_1838:                            ;   in Loop: Header=BB12_1247 Depth=2
	s_wait_xcnt 0x0
	s_or_b32 exec_lo, exec_lo, s78
	v_and_b32_e32 v0, 14, v123
	s_mov_b32 s15, s76
	s_mov_b32 s14, exec_lo
                                        ; implicit-def: $vgpr15
                                        ; implicit-def: $vgpr16
                                        ; implicit-def: $vgpr1
	s_delay_alu instid0(VALU_DEP_1) | instskip(NEXT) | instid1(VALU_DEP_1)
	v_cndmask_b32_e64 v14, v27, v0, s13
	v_cmpx_ne_u32_e32 0, v14
	s_cbranch_execz .LBB12_1840
; %bb.1839:                             ;   in Loop: Header=BB12_1247 Depth=2
	v_cmp_lt_i32_e32 vcc_lo, 0, v31
	s_or_b32 s15, s76, exec_lo
	v_sub_nc_u32_e32 v0, v27, v0
	v_cndmask_b32_e32 v1, 0, v60, vcc_lo
	s_delay_alu instid0(VALU_DEP_1) | instskip(NEXT) | instid1(VALU_DEP_1)
	v_dual_cndmask_b32 v0, 0, v0, s13 :: v_dual_sub_nc_u32 v1, v1, v31
	v_add3_u32 v15, v25, v24, v0
	s_delay_alu instid0(VALU_DEP_2) | instskip(NEXT) | instid1(VALU_DEP_1)
	v_lshl_add_u32 v2, v1, 5, v26
	v_ashrrev_i32_e32 v1, 31, v2
	s_delay_alu instid0(VALU_DEP_1) | instskip(NEXT) | instid1(VALU_DEP_1)
	v_lshrrev_b32_e32 v1, 27, v1
	v_add_nc_u32_e32 v1, v2, v1
	s_delay_alu instid0(VALU_DEP_1) | instskip(NEXT) | instid1(VALU_DEP_1)
	v_and_b32_e32 v4, 0xffffffe0, v1
	v_dual_ashrrev_i32 v1, 5, v1 :: v_dual_sub_nc_u32 v16, v2, v4
.LBB12_1840:                            ;   in Loop: Header=BB12_1247 Depth=2
	s_or_b32 exec_lo, exec_lo, s14
	s_delay_alu instid0(SALU_CYCLE_1) | instskip(SKIP_1) | instid1(SALU_CYCLE_1)
	s_and_not1_b32 s13, s76, exec_lo
	s_and_b32 s14, s15, exec_lo
	s_or_b32 s76, s13, s14
.LBB12_1841:                            ;   in Loop: Header=BB12_1247 Depth=2
	s_or_b32 exec_lo, exec_lo, s77
	s_and_saveexec_b32 s15, s76
	s_cbranch_execz .LBB12_2078
.LBB12_1842:                            ;   in Loop: Header=BB12_1247 Depth=2
	s_wait_loadcnt 0x0
	v_dual_ashrrev_i32 v2, 31, v14 :: v_dual_lshlrev_b32 v4, 10, v1
	v_dual_lshlrev_b32 v5, 1, v16 :: v_dual_mov_b32 v87, 0
	s_delay_alu instid0(VALU_DEP_2) | instskip(SKIP_1) | instid1(VALU_DEP_3)
	v_dual_mov_b32 v0, 0 :: v_dual_lshrrev_b32 v2, 22, v2
	v_dual_mov_b32 v85, 0 :: v_dual_mov_b32 v83, 0
	v_add3_u32 v12, v15, v5, v4
	s_delay_alu instid0(VALU_DEP_3) | instskip(SKIP_1) | instid1(VALU_DEP_3)
	v_dual_mov_b32 v27, 0 :: v_dual_add_nc_u32 v2, v14, v2
	v_dual_mov_b32 v66, 0 :: v_dual_mov_b32 v80, 0
	v_dual_mov_b32 v69, 0 :: v_dual_ashrrev_i32 v13, 31, v12
	s_delay_alu instid0(VALU_DEP_3) | instskip(SKIP_1) | instid1(VALU_DEP_3)
	v_dual_ashrrev_i32 v18, 10, v2 :: v_dual_mov_b32 v6, 0
	v_dual_mov_b32 v55, 0 :: v_dual_mov_b32 v52, 0
	v_add_nc_u64_e32 v[8:9], v[44:45], v[12:13]
	v_add_nc_u64_e32 v[4:5], v[98:99], v[12:13]
	s_delay_alu instid0(VALU_DEP_4)
	v_dual_mov_b32 v24, 0 :: v_dual_sub_nc_u32 v17, v18, v1
	v_dual_mov_b32 v22, 0 :: v_dual_mov_b32 v20, 0
	v_dual_mov_b32 v11, 0 :: v_dual_mov_b32 v2, 0
	;; [unrolled: 1-line block ×10, first 2 shown]
	s_mov_b32 s14, 0
	s_mov_b32 s13, exec_lo
	v_cmpx_lt_i32_e32 0, v17
	s_cbranch_execz .LBB12_1980
; %bb.1843:                             ;   in Loop: Header=BB12_1247 Depth=2
	s_trap 2
	ds_load_b64 v[0:1], v0
	v_mov_b64_e32 v[108:109], v[98:99]
	v_add_nc_u64_e32 v[10:11], v[12:13], v[72:73]
	s_mov_b32 s41, 0
	s_mov_b32 s40, 0
                                        ; implicit-def: $sgpr14
                                        ; implicit-def: $vgpr113
                                        ; implicit-def: $vgpr102
                                        ; implicit-def: $vgpr99
                                        ; implicit-def: $vgpr96
                                        ; implicit-def: $vgpr84
                                        ; implicit-def: $vgpr82
                                        ; implicit-def: $vgpr71
                                        ; implicit-def: $vgpr68
                                        ; implicit-def: $vgpr64
                                        ; implicit-def: $vgpr53
                                        ; implicit-def: $vgpr51
                                        ; implicit-def: $vgpr50
                                        ; implicit-def: $vgpr49
                                        ; implicit-def: $vgpr48
                                        ; implicit-def: $vgpr39
                                        ; implicit-def: $vgpr38
                                        ; implicit-def: $vgpr19
                                        ; implicit-def: $vgpr20
                                        ; implicit-def: $vgpr21
                                        ; implicit-def: $vgpr22
                                        ; implicit-def: $vgpr23
                                        ; implicit-def: $vgpr24
                                        ; implicit-def: $vgpr25
                                        ; implicit-def: $vgpr26
                                        ; implicit-def: $vgpr27
                                        ; implicit-def: $vgpr31
                                        ; implicit-def: $vgpr32
                                        ; implicit-def: $vgpr33
                                        ; implicit-def: $vgpr34
                                        ; implicit-def: $vgpr35
                                        ; implicit-def: $vgpr36
                                        ; implicit-def: $vgpr37
	s_wait_dscnt 0x0
	v_add_nc_u64_e32 v[12:13], v[0:1], v[12:13]
	s_branch .LBB12_1845
.LBB12_1844:                            ;   in Loop: Header=BB12_1845 Depth=3
	s_or_b32 exec_lo, exec_lo, s76
	s_delay_alu instid0(VALU_DEP_1) | instskip(SKIP_3) | instid1(SALU_CYCLE_1)
	v_cmp_gt_i32_e32 vcc_lo, 1, v17
	s_or_b32 s40, vcc_lo, s40
	s_and_not1_b32 s14, s14, exec_lo
	s_and_b32 s76, s41, exec_lo
	s_or_b32 s14, s14, s76
	s_and_not1_b32 exec_lo, exec_lo, s40
	s_cbranch_execz .LBB12_1979
.LBB12_1845:                            ;   Parent Loop BB12_47 Depth=1
                                        ;     Parent Loop BB12_1247 Depth=2
                                        ; =>    This Inner Loop Header: Depth=3
	s_clause 0xf
	flat_load_u16 v77, v[10:11] th:TH_LOAD_NT
	flat_load_u16 v63, v[10:11] offset:64 th:TH_LOAD_NT
	flat_load_u16 v43, v[10:11] offset:128 th:TH_LOAD_NT
	;; [unrolled: 1-line block ×15, first 2 shown]
	s_clause 0xf
	flat_load_u16 v94, v[12:13] th:TH_LOAD_NT
	flat_load_u16 v75, v[12:13] offset:64 th:TH_LOAD_NT
	flat_load_u16 v62, v[12:13] offset:128 th:TH_LOAD_NT
	;; [unrolled: 1-line block ×15, first 2 shown]
	s_wait_xcnt 0x0
	s_and_saveexec_b32 s76, s41
	s_cbranch_execz .LBB12_1911
; %bb.1846:                             ;   in Loop: Header=BB12_1845 Depth=3
	v_dual_lshlrev_b32 v0, 16, v113 :: v_dual_lshlrev_b32 v1, 16, v19
	s_mov_b32 s41, exec_lo
                                        ; implicit-def: $vgpr113
	s_delay_alu instid0(VALU_DEP_1) | instskip(NEXT) | instid1(VALU_DEP_1)
	v_mul_f32_e32 v0, v0, v1
	v_and_b32_e32 v1, 0x7f800000, v0
	s_delay_alu instid0(VALU_DEP_1)
	v_cmpx_ne_u32_e32 0x7f800000, v1
	s_xor_b32 s41, exec_lo, s41
; %bb.1847:                             ;   in Loop: Header=BB12_1845 Depth=3
	v_bfe_u32 v1, v0, 16, 1
	s_delay_alu instid0(VALU_DEP_1)
	v_add3_u32 v113, v0, v1, 0x7fff
                                        ; implicit-def: $vgpr0
; %bb.1848:                             ;   in Loop: Header=BB12_1845 Depth=3
	s_and_not1_saveexec_b32 s41, s41
; %bb.1849:                             ;   in Loop: Header=BB12_1845 Depth=3
	v_and_b32_e32 v1, 0xffff, v0
	v_or_b32_e32 v6, 0x10000, v0
	s_delay_alu instid0(VALU_DEP_2) | instskip(NEXT) | instid1(VALU_DEP_2)
	v_cmp_eq_u32_e32 vcc_lo, 0, v1
	v_cndmask_b32_e32 v113, v6, v0, vcc_lo
; %bb.1850:                             ;   in Loop: Header=BB12_1845 Depth=3
	s_or_b32 exec_lo, exec_lo, s41
	v_dual_lshlrev_b32 v0, 16, v102 :: v_dual_lshlrev_b32 v1, 16, v20
	s_mov_b32 s41, exec_lo
                                        ; implicit-def: $vgpr102
	s_delay_alu instid0(VALU_DEP_1) | instskip(NEXT) | instid1(VALU_DEP_1)
	v_mul_f32_e32 v0, v0, v1
	v_and_b32_e32 v1, 0x7f800000, v0
	s_delay_alu instid0(VALU_DEP_1)
	v_cmpx_ne_u32_e32 0x7f800000, v1
	s_xor_b32 s41, exec_lo, s41
; %bb.1851:                             ;   in Loop: Header=BB12_1845 Depth=3
	v_bfe_u32 v1, v0, 16, 1
	s_delay_alu instid0(VALU_DEP_1)
	v_add3_u32 v102, v0, v1, 0x7fff
                                        ; implicit-def: $vgpr0
; %bb.1852:                             ;   in Loop: Header=BB12_1845 Depth=3
	s_and_not1_saveexec_b32 s41, s41
; %bb.1853:                             ;   in Loop: Header=BB12_1845 Depth=3
	v_and_b32_e32 v1, 0xffff, v0
	v_or_b32_e32 v6, 0x10000, v0
	s_delay_alu instid0(VALU_DEP_2) | instskip(NEXT) | instid1(VALU_DEP_2)
	v_cmp_eq_u32_e32 vcc_lo, 0, v1
	v_cndmask_b32_e32 v102, v6, v0, vcc_lo
; %bb.1854:                             ;   in Loop: Header=BB12_1845 Depth=3
	s_or_b32 exec_lo, exec_lo, s41
	v_dual_lshlrev_b32 v0, 16, v99 :: v_dual_lshlrev_b32 v1, 16, v21
	s_mov_b32 s41, exec_lo
                                        ; implicit-def: $vgpr99
	s_delay_alu instid0(VALU_DEP_1) | instskip(NEXT) | instid1(VALU_DEP_1)
	v_mul_f32_e32 v0, v0, v1
	v_and_b32_e32 v1, 0x7f800000, v0
	s_delay_alu instid0(VALU_DEP_1)
	v_cmpx_ne_u32_e32 0x7f800000, v1
	s_xor_b32 s41, exec_lo, s41
; %bb.1855:                             ;   in Loop: Header=BB12_1845 Depth=3
	v_bfe_u32 v1, v0, 16, 1
	s_delay_alu instid0(VALU_DEP_1)
	v_add3_u32 v99, v0, v1, 0x7fff
                                        ; implicit-def: $vgpr0
; %bb.1856:                             ;   in Loop: Header=BB12_1845 Depth=3
	s_and_not1_saveexec_b32 s41, s41
; %bb.1857:                             ;   in Loop: Header=BB12_1845 Depth=3
	v_and_b32_e32 v1, 0xffff, v0
	v_or_b32_e32 v6, 0x10000, v0
	s_delay_alu instid0(VALU_DEP_2) | instskip(NEXT) | instid1(VALU_DEP_2)
	v_cmp_eq_u32_e32 vcc_lo, 0, v1
	v_cndmask_b32_e32 v99, v6, v0, vcc_lo
; %bb.1858:                             ;   in Loop: Header=BB12_1845 Depth=3
	s_or_b32 exec_lo, exec_lo, s41
	v_dual_lshlrev_b32 v0, 16, v96 :: v_dual_lshlrev_b32 v1, 16, v22
	s_mov_b32 s41, exec_lo
                                        ; implicit-def: $vgpr96
	s_delay_alu instid0(VALU_DEP_1) | instskip(NEXT) | instid1(VALU_DEP_1)
	v_mul_f32_e32 v0, v0, v1
	v_and_b32_e32 v1, 0x7f800000, v0
	s_delay_alu instid0(VALU_DEP_1)
	v_cmpx_ne_u32_e32 0x7f800000, v1
	s_xor_b32 s41, exec_lo, s41
; %bb.1859:                             ;   in Loop: Header=BB12_1845 Depth=3
	v_bfe_u32 v1, v0, 16, 1
	s_delay_alu instid0(VALU_DEP_1)
	v_add3_u32 v96, v0, v1, 0x7fff
                                        ; implicit-def: $vgpr0
; %bb.1860:                             ;   in Loop: Header=BB12_1845 Depth=3
	s_and_not1_saveexec_b32 s41, s41
; %bb.1861:                             ;   in Loop: Header=BB12_1845 Depth=3
	v_and_b32_e32 v1, 0xffff, v0
	v_or_b32_e32 v6, 0x10000, v0
	s_delay_alu instid0(VALU_DEP_2) | instskip(NEXT) | instid1(VALU_DEP_2)
	v_cmp_eq_u32_e32 vcc_lo, 0, v1
	v_cndmask_b32_e32 v96, v6, v0, vcc_lo
; %bb.1862:                             ;   in Loop: Header=BB12_1845 Depth=3
	s_or_b32 exec_lo, exec_lo, s41
	v_dual_lshlrev_b32 v0, 16, v84 :: v_dual_lshlrev_b32 v1, 16, v23
	s_mov_b32 s41, exec_lo
                                        ; implicit-def: $vgpr6
	s_delay_alu instid0(VALU_DEP_1) | instskip(NEXT) | instid1(VALU_DEP_1)
	v_mul_f32_e32 v0, v0, v1
	v_and_b32_e32 v1, 0x7f800000, v0
	s_delay_alu instid0(VALU_DEP_1)
	v_cmpx_ne_u32_e32 0x7f800000, v1
	s_xor_b32 s41, exec_lo, s41
; %bb.1863:                             ;   in Loop: Header=BB12_1845 Depth=3
	v_bfe_u32 v1, v0, 16, 1
	s_delay_alu instid0(VALU_DEP_1)
	v_add3_u32 v6, v0, v1, 0x7fff
                                        ; implicit-def: $vgpr0
; %bb.1864:                             ;   in Loop: Header=BB12_1845 Depth=3
	s_and_not1_saveexec_b32 s41, s41
; %bb.1865:                             ;   in Loop: Header=BB12_1845 Depth=3
	v_and_b32_e32 v1, 0xffff, v0
	v_or_b32_e32 v6, 0x10000, v0
	s_delay_alu instid0(VALU_DEP_2) | instskip(NEXT) | instid1(VALU_DEP_2)
	v_cmp_eq_u32_e32 vcc_lo, 0, v1
	v_cndmask_b32_e32 v6, v6, v0, vcc_lo
; %bb.1866:                             ;   in Loop: Header=BB12_1845 Depth=3
	s_or_b32 exec_lo, exec_lo, s41
	v_dual_lshlrev_b32 v0, 16, v82 :: v_dual_lshlrev_b32 v1, 16, v24
	s_mov_b32 s41, exec_lo
                                        ; implicit-def: $vgpr7
	s_delay_alu instid0(VALU_DEP_1) | instskip(NEXT) | instid1(VALU_DEP_1)
	v_mul_f32_e32 v0, v0, v1
	v_and_b32_e32 v1, 0x7f800000, v0
	s_delay_alu instid0(VALU_DEP_1)
	v_cmpx_ne_u32_e32 0x7f800000, v1
	s_xor_b32 s41, exec_lo, s41
; %bb.1867:                             ;   in Loop: Header=BB12_1845 Depth=3
	v_bfe_u32 v1, v0, 16, 1
	s_delay_alu instid0(VALU_DEP_1)
	v_add3_u32 v7, v0, v1, 0x7fff
                                        ; implicit-def: $vgpr0
; %bb.1868:                             ;   in Loop: Header=BB12_1845 Depth=3
	s_and_not1_saveexec_b32 s41, s41
; %bb.1869:                             ;   in Loop: Header=BB12_1845 Depth=3
	v_and_b32_e32 v1, 0xffff, v0
	v_or_b32_e32 v7, 0x10000, v0
	s_delay_alu instid0(VALU_DEP_2) | instskip(NEXT) | instid1(VALU_DEP_2)
	v_cmp_eq_u32_e32 vcc_lo, 0, v1
	v_cndmask_b32_e32 v7, v7, v0, vcc_lo
; %bb.1870:                             ;   in Loop: Header=BB12_1845 Depth=3
	s_or_b32 exec_lo, exec_lo, s41
	v_dual_lshlrev_b32 v0, 16, v71 :: v_dual_lshlrev_b32 v1, 16, v25
	s_mov_b32 s41, exec_lo
                                        ; implicit-def: $vgpr71
	s_delay_alu instid0(VALU_DEP_1) | instskip(NEXT) | instid1(VALU_DEP_1)
	v_mul_f32_e32 v0, v0, v1
	v_and_b32_e32 v1, 0x7f800000, v0
	s_delay_alu instid0(VALU_DEP_1)
	v_cmpx_ne_u32_e32 0x7f800000, v1
	s_xor_b32 s41, exec_lo, s41
; %bb.1871:                             ;   in Loop: Header=BB12_1845 Depth=3
	v_bfe_u32 v1, v0, 16, 1
	s_delay_alu instid0(VALU_DEP_1)
	v_add3_u32 v71, v0, v1, 0x7fff
                                        ; implicit-def: $vgpr0
; %bb.1872:                             ;   in Loop: Header=BB12_1845 Depth=3
	s_and_not1_saveexec_b32 s41, s41
; %bb.1873:                             ;   in Loop: Header=BB12_1845 Depth=3
	v_and_b32_e32 v1, 0xffff, v0
	v_or_b32_e32 v29, 0x10000, v0
	s_delay_alu instid0(VALU_DEP_2) | instskip(NEXT) | instid1(VALU_DEP_2)
	v_cmp_eq_u32_e32 vcc_lo, 0, v1
	v_cndmask_b32_e32 v71, v29, v0, vcc_lo
; %bb.1874:                             ;   in Loop: Header=BB12_1845 Depth=3
	s_or_b32 exec_lo, exec_lo, s41
	v_dual_lshlrev_b32 v0, 16, v68 :: v_dual_lshlrev_b32 v1, 16, v26
	s_mov_b32 s41, exec_lo
                                        ; implicit-def: $vgpr68
	s_delay_alu instid0(VALU_DEP_1) | instskip(NEXT) | instid1(VALU_DEP_1)
	v_mul_f32_e32 v0, v0, v1
	v_and_b32_e32 v1, 0x7f800000, v0
	s_delay_alu instid0(VALU_DEP_1)
	v_cmpx_ne_u32_e32 0x7f800000, v1
	s_xor_b32 s41, exec_lo, s41
; %bb.1875:                             ;   in Loop: Header=BB12_1845 Depth=3
	v_bfe_u32 v1, v0, 16, 1
	s_delay_alu instid0(VALU_DEP_1)
	v_add3_u32 v68, v0, v1, 0x7fff
                                        ; implicit-def: $vgpr0
; %bb.1876:                             ;   in Loop: Header=BB12_1845 Depth=3
	s_and_not1_saveexec_b32 s41, s41
; %bb.1877:                             ;   in Loop: Header=BB12_1845 Depth=3
	v_and_b32_e32 v1, 0xffff, v0
	v_or_b32_e32 v29, 0x10000, v0
	s_delay_alu instid0(VALU_DEP_2) | instskip(NEXT) | instid1(VALU_DEP_2)
	v_cmp_eq_u32_e32 vcc_lo, 0, v1
	v_cndmask_b32_e32 v68, v29, v0, vcc_lo
; %bb.1878:                             ;   in Loop: Header=BB12_1845 Depth=3
	s_or_b32 exec_lo, exec_lo, s41
	v_dual_lshlrev_b32 v0, 16, v64 :: v_dual_lshlrev_b32 v1, 16, v27
	s_mov_b32 s41, exec_lo
                                        ; implicit-def: $vgpr64
	s_delay_alu instid0(VALU_DEP_1) | instskip(NEXT) | instid1(VALU_DEP_1)
	v_mul_f32_e32 v0, v0, v1
	v_and_b32_e32 v1, 0x7f800000, v0
	s_delay_alu instid0(VALU_DEP_1)
	v_cmpx_ne_u32_e32 0x7f800000, v1
	s_xor_b32 s41, exec_lo, s41
; %bb.1879:                             ;   in Loop: Header=BB12_1845 Depth=3
	v_bfe_u32 v1, v0, 16, 1
	s_delay_alu instid0(VALU_DEP_1)
	v_add3_u32 v64, v0, v1, 0x7fff
                                        ; implicit-def: $vgpr0
; %bb.1880:                             ;   in Loop: Header=BB12_1845 Depth=3
	s_and_not1_saveexec_b32 s41, s41
; %bb.1881:                             ;   in Loop: Header=BB12_1845 Depth=3
	v_and_b32_e32 v1, 0xffff, v0
	v_or_b32_e32 v29, 0x10000, v0
	s_delay_alu instid0(VALU_DEP_2) | instskip(NEXT) | instid1(VALU_DEP_2)
	v_cmp_eq_u32_e32 vcc_lo, 0, v1
	v_cndmask_b32_e32 v64, v29, v0, vcc_lo
; %bb.1882:                             ;   in Loop: Header=BB12_1845 Depth=3
	s_or_b32 exec_lo, exec_lo, s41
	v_dual_lshlrev_b32 v0, 16, v53 :: v_dual_lshlrev_b32 v1, 16, v31
	s_mov_b32 s41, exec_lo
                                        ; implicit-def: $vgpr53
	s_delay_alu instid0(VALU_DEP_1) | instskip(NEXT) | instid1(VALU_DEP_1)
	v_mul_f32_e32 v0, v0, v1
	v_and_b32_e32 v1, 0x7f800000, v0
	s_delay_alu instid0(VALU_DEP_1)
	v_cmpx_ne_u32_e32 0x7f800000, v1
	s_xor_b32 s41, exec_lo, s41
; %bb.1883:                             ;   in Loop: Header=BB12_1845 Depth=3
	v_bfe_u32 v1, v0, 16, 1
	s_delay_alu instid0(VALU_DEP_1)
	v_add3_u32 v53, v0, v1, 0x7fff
                                        ; implicit-def: $vgpr0
; %bb.1884:                             ;   in Loop: Header=BB12_1845 Depth=3
	s_and_not1_saveexec_b32 s41, s41
; %bb.1885:                             ;   in Loop: Header=BB12_1845 Depth=3
	v_and_b32_e32 v1, 0xffff, v0
	v_or_b32_e32 v29, 0x10000, v0
	s_delay_alu instid0(VALU_DEP_2) | instskip(NEXT) | instid1(VALU_DEP_2)
	v_cmp_eq_u32_e32 vcc_lo, 0, v1
	v_cndmask_b32_e32 v53, v29, v0, vcc_lo
; %bb.1886:                             ;   in Loop: Header=BB12_1845 Depth=3
	s_or_b32 exec_lo, exec_lo, s41
	v_dual_lshlrev_b32 v0, 16, v51 :: v_dual_lshlrev_b32 v1, 16, v32
	s_mov_b32 s41, exec_lo
                                        ; implicit-def: $vgpr29
	s_delay_alu instid0(VALU_DEP_1) | instskip(NEXT) | instid1(VALU_DEP_1)
	v_mul_f32_e32 v0, v0, v1
	v_and_b32_e32 v1, 0x7f800000, v0
	s_delay_alu instid0(VALU_DEP_1)
	v_cmpx_ne_u32_e32 0x7f800000, v1
	s_xor_b32 s41, exec_lo, s41
; %bb.1887:                             ;   in Loop: Header=BB12_1845 Depth=3
	v_bfe_u32 v1, v0, 16, 1
	s_delay_alu instid0(VALU_DEP_1)
	v_add3_u32 v29, v0, v1, 0x7fff
                                        ; implicit-def: $vgpr0
; %bb.1888:                             ;   in Loop: Header=BB12_1845 Depth=3
	s_and_not1_saveexec_b32 s41, s41
; %bb.1889:                             ;   in Loop: Header=BB12_1845 Depth=3
	v_and_b32_e32 v1, 0xffff, v0
	v_or_b32_e32 v29, 0x10000, v0
	s_delay_alu instid0(VALU_DEP_2) | instskip(NEXT) | instid1(VALU_DEP_2)
	v_cmp_eq_u32_e32 vcc_lo, 0, v1
	v_cndmask_b32_e32 v29, v29, v0, vcc_lo
; %bb.1890:                             ;   in Loop: Header=BB12_1845 Depth=3
	s_or_b32 exec_lo, exec_lo, s41
	v_dual_lshlrev_b32 v0, 16, v50 :: v_dual_lshlrev_b32 v1, 16, v33
	s_delay_alu instid0(VALU_DEP_1) | instskip(NEXT) | instid1(VALU_DEP_1)
	v_mul_f32_e32 v1, v0, v1
	v_and_b32_e32 v0, 0x7f800000, v1
	s_delay_alu instid0(VALU_DEP_1) | instskip(SKIP_1) | instid1(SALU_CYCLE_1)
	v_cmp_ne_u32_e32 vcc_lo, 0x7f800000, v0
                                        ; implicit-def: $vgpr0
	s_and_saveexec_b32 s41, vcc_lo
	s_xor_b32 s41, exec_lo, s41
; %bb.1891:                             ;   in Loop: Header=BB12_1845 Depth=3
	v_bfe_u32 v0, v1, 16, 1
	s_delay_alu instid0(VALU_DEP_1)
	v_add3_u32 v0, v1, v0, 0x7fff
                                        ; implicit-def: $vgpr1
; %bb.1892:                             ;   in Loop: Header=BB12_1845 Depth=3
	s_and_not1_saveexec_b32 s41, s41
; %bb.1893:                             ;   in Loop: Header=BB12_1845 Depth=3
	v_and_b32_e32 v0, 0xffff, v1
	v_or_b32_e32 v50, 0x10000, v1
	s_delay_alu instid0(VALU_DEP_2) | instskip(NEXT) | instid1(VALU_DEP_2)
	v_cmp_eq_u32_e32 vcc_lo, 0, v0
	v_cndmask_b32_e32 v0, v50, v1, vcc_lo
; %bb.1894:                             ;   in Loop: Header=BB12_1845 Depth=3
	s_or_b32 exec_lo, exec_lo, s41
	v_dual_lshlrev_b32 v1, 16, v49 :: v_dual_lshlrev_b32 v49, 16, v34
	s_delay_alu instid0(VALU_DEP_1) | instskip(NEXT) | instid1(VALU_DEP_1)
	v_mul_f32_e32 v49, v1, v49
	v_and_b32_e32 v1, 0x7f800000, v49
	s_delay_alu instid0(VALU_DEP_1) | instskip(SKIP_1) | instid1(SALU_CYCLE_1)
	v_cmp_ne_u32_e32 vcc_lo, 0x7f800000, v1
                                        ; implicit-def: $vgpr1
	s_and_saveexec_b32 s41, vcc_lo
	s_xor_b32 s41, exec_lo, s41
; %bb.1895:                             ;   in Loop: Header=BB12_1845 Depth=3
	v_bfe_u32 v1, v49, 16, 1
	s_delay_alu instid0(VALU_DEP_1)
	v_add3_u32 v1, v49, v1, 0x7fff
                                        ; implicit-def: $vgpr49
; %bb.1896:                             ;   in Loop: Header=BB12_1845 Depth=3
	s_and_not1_saveexec_b32 s41, s41
; %bb.1897:                             ;   in Loop: Header=BB12_1845 Depth=3
	v_and_b32_e32 v1, 0xffff, v49
	v_or_b32_e32 v50, 0x10000, v49
	s_delay_alu instid0(VALU_DEP_2) | instskip(NEXT) | instid1(VALU_DEP_2)
	v_cmp_eq_u32_e32 vcc_lo, 0, v1
	v_cndmask_b32_e32 v1, v50, v49, vcc_lo
; %bb.1898:                             ;   in Loop: Header=BB12_1845 Depth=3
	s_or_b32 exec_lo, exec_lo, s41
	v_dual_lshlrev_b32 v48, 16, v48 :: v_dual_lshlrev_b32 v49, 16, v35
	s_delay_alu instid0(VALU_DEP_1) | instskip(NEXT) | instid1(VALU_DEP_1)
	v_mul_f32_e32 v49, v48, v49
	v_and_b32_e32 v48, 0x7f800000, v49
	s_delay_alu instid0(VALU_DEP_1) | instskip(SKIP_1) | instid1(SALU_CYCLE_1)
	v_cmp_ne_u32_e32 vcc_lo, 0x7f800000, v48
                                        ; implicit-def: $vgpr48
	s_and_saveexec_b32 s41, vcc_lo
	s_xor_b32 s41, exec_lo, s41
; %bb.1899:                             ;   in Loop: Header=BB12_1845 Depth=3
	v_bfe_u32 v48, v49, 16, 1
	s_delay_alu instid0(VALU_DEP_1)
	v_add3_u32 v48, v49, v48, 0x7fff
                                        ; implicit-def: $vgpr49
; %bb.1900:                             ;   in Loop: Header=BB12_1845 Depth=3
	s_and_not1_saveexec_b32 s41, s41
; %bb.1901:                             ;   in Loop: Header=BB12_1845 Depth=3
	v_and_b32_e32 v48, 0xffff, v49
	v_or_b32_e32 v50, 0x10000, v49
	s_delay_alu instid0(VALU_DEP_2) | instskip(NEXT) | instid1(VALU_DEP_2)
	v_cmp_eq_u32_e32 vcc_lo, 0, v48
	v_cndmask_b32_e32 v48, v50, v49, vcc_lo
; %bb.1902:                             ;   in Loop: Header=BB12_1845 Depth=3
	s_or_b32 exec_lo, exec_lo, s41
	v_dual_lshlrev_b32 v39, 16, v39 :: v_dual_lshlrev_b32 v49, 16, v36
	s_delay_alu instid0(VALU_DEP_1) | instskip(NEXT) | instid1(VALU_DEP_1)
	v_mul_f32_e32 v49, v39, v49
	v_and_b32_e32 v39, 0x7f800000, v49
	s_delay_alu instid0(VALU_DEP_1) | instskip(SKIP_1) | instid1(SALU_CYCLE_1)
	v_cmp_ne_u32_e32 vcc_lo, 0x7f800000, v39
                                        ; implicit-def: $vgpr39
	s_and_saveexec_b32 s41, vcc_lo
	s_xor_b32 s41, exec_lo, s41
; %bb.1903:                             ;   in Loop: Header=BB12_1845 Depth=3
	v_bfe_u32 v39, v49, 16, 1
	s_delay_alu instid0(VALU_DEP_1)
	v_add3_u32 v39, v49, v39, 0x7fff
                                        ; implicit-def: $vgpr49
; %bb.1904:                             ;   in Loop: Header=BB12_1845 Depth=3
	s_and_not1_saveexec_b32 s41, s41
; %bb.1905:                             ;   in Loop: Header=BB12_1845 Depth=3
	v_and_b32_e32 v39, 0xffff, v49
	v_or_b32_e32 v50, 0x10000, v49
	s_delay_alu instid0(VALU_DEP_2) | instskip(NEXT) | instid1(VALU_DEP_2)
	v_cmp_eq_u32_e32 vcc_lo, 0, v39
	v_cndmask_b32_e32 v39, v50, v49, vcc_lo
; %bb.1906:                             ;   in Loop: Header=BB12_1845 Depth=3
	s_or_b32 exec_lo, exec_lo, s41
	v_dual_lshlrev_b32 v38, 16, v38 :: v_dual_lshlrev_b32 v49, 16, v37
	s_delay_alu instid0(VALU_DEP_1) | instskip(NEXT) | instid1(VALU_DEP_1)
	v_mul_f32_e32 v49, v38, v49
	v_and_b32_e32 v38, 0x7f800000, v49
	s_delay_alu instid0(VALU_DEP_1) | instskip(SKIP_1) | instid1(SALU_CYCLE_1)
	v_cmp_ne_u32_e32 vcc_lo, 0x7f800000, v38
                                        ; implicit-def: $vgpr38
	s_and_saveexec_b32 s41, vcc_lo
	s_xor_b32 s41, exec_lo, s41
; %bb.1907:                             ;   in Loop: Header=BB12_1845 Depth=3
	v_bfe_u32 v38, v49, 16, 1
	s_delay_alu instid0(VALU_DEP_1)
	v_add3_u32 v38, v49, v38, 0x7fff
                                        ; implicit-def: $vgpr49
; %bb.1908:                             ;   in Loop: Header=BB12_1845 Depth=3
	s_and_not1_saveexec_b32 s41, s41
; %bb.1909:                             ;   in Loop: Header=BB12_1845 Depth=3
	v_and_b32_e32 v38, 0xffff, v49
	v_or_b32_e32 v50, 0x10000, v49
	s_delay_alu instid0(VALU_DEP_2) | instskip(NEXT) | instid1(VALU_DEP_2)
	v_cmp_eq_u32_e32 vcc_lo, 0, v38
	v_cndmask_b32_e32 v38, v50, v49, vcc_lo
; %bb.1910:                             ;   in Loop: Header=BB12_1845 Depth=3
	s_or_b32 exec_lo, exec_lo, s41
	v_dual_lshrrev_b32 v82, 16, v7 :: v_dual_lshrrev_b32 v113, 16, v113
	v_dual_lshrrev_b32 v102, 16, v102 :: v_dual_lshrrev_b32 v99, 16, v99
	s_delay_alu instid0(VALU_DEP_3)
	v_dual_lshrrev_b32 v96, 16, v96 :: v_dual_lshrrev_b32 v38, 16, v38
	v_dual_lshrrev_b32 v71, 16, v71 :: v_dual_lshrrev_b32 v84, 16, v6
	;; [unrolled: 1-line block ×6, first 2 shown]
	s_clause 0xf
	flat_store_b16 v[8:9], v113 th:TH_STORE_NT
	flat_store_b16 v[8:9], v102 offset:64 th:TH_STORE_NT
	flat_store_b16 v[8:9], v99 offset:128 th:TH_STORE_NT
	flat_store_b16 v[8:9], v96 offset:192 th:TH_STORE_NT
	flat_store_b16 v[8:9], v84 offset:256 th:TH_STORE_NT
	flat_store_b16 v[8:9], v82 offset:320 th:TH_STORE_NT
	flat_store_b16 v[8:9], v71 offset:384 th:TH_STORE_NT
	flat_store_b16 v[8:9], v68 offset:448 th:TH_STORE_NT
	flat_store_b16 v[8:9], v64 offset:512 th:TH_STORE_NT
	flat_store_b16 v[8:9], v53 offset:576 th:TH_STORE_NT
	flat_store_b16 v[8:9], v51 offset:640 th:TH_STORE_NT
	flat_store_b16 v[8:9], v50 offset:704 th:TH_STORE_NT
	flat_store_b16 v[8:9], v49 offset:768 th:TH_STORE_NT
	flat_store_b16 v[8:9], v48 offset:832 th:TH_STORE_NT
	flat_store_b16 v[8:9], v39 offset:896 th:TH_STORE_NT
	flat_store_b16 v[8:9], v38 offset:960 th:TH_STORE_NT
	s_clause 0xf
	flat_store_b16 v[4:5], v113 th:TH_STORE_NT
	flat_store_b16 v[4:5], v102 offset:64 th:TH_STORE_NT
	flat_store_b16 v[4:5], v99 offset:128 th:TH_STORE_NT
	;; [unrolled: 1-line block ×15, first 2 shown]
	s_wait_xcnt 0x10
	v_add_nc_u64_e32 v[8:9], v[8:9], v[104:105]
	s_wait_xcnt 0x0
	v_add_nc_u64_e32 v[4:5], v[4:5], v[104:105]
.LBB12_1911:                            ;   in Loop: Header=BB12_1845 Depth=3
	s_or_b32 exec_lo, exec_lo, s76
	v_sub_nc_u32_e32 v17, v17, v60
	v_add_nc_u64_e32 v[10:11], v[10:11], v[104:105]
	v_add_nc_u64_e32 v[12:13], v[12:13], v[104:105]
	s_delay_alu instid0(VALU_DEP_3)
	v_cmp_lt_i32_e64 s41, 0, v17
	s_and_saveexec_b32 s76, s41
	s_cbranch_execz .LBB12_1913
; %bb.1912:                             ;   in Loop: Header=BB12_1845 Depth=3
	s_clause 0xf
	flat_load_u16 v113, v[10:11] th:TH_LOAD_NT
	flat_load_u16 v102, v[10:11] offset:64 th:TH_LOAD_NT
	flat_load_u16 v99, v[10:11] offset:128 th:TH_LOAD_NT
	;; [unrolled: 1-line block ×15, first 2 shown]
	s_clause 0xf
	flat_load_u16 v19, v[12:13] th:TH_LOAD_NT
	flat_load_u16 v20, v[12:13] offset:64 th:TH_LOAD_NT
	flat_load_u16 v21, v[12:13] offset:128 th:TH_LOAD_NT
	;; [unrolled: 1-line block ×15, first 2 shown]
	s_wait_xcnt 0x10
	v_add_nc_u64_e32 v[10:11], 0x400, v[10:11]
	s_wait_xcnt 0x0
	v_add_nc_u64_e32 v[12:13], 0x400, v[12:13]
.LBB12_1913:                            ;   in Loop: Header=BB12_1845 Depth=3
	s_or_b32 exec_lo, exec_lo, s76
	s_wait_loadcnt_dscnt 0xf0f
	v_dual_lshlrev_b32 v0, 16, v77 :: v_dual_lshlrev_b32 v1, 16, v94
	s_mov_b32 s76, exec_lo
                                        ; implicit-def: $vgpr46
	s_delay_alu instid0(VALU_DEP_1) | instskip(NEXT) | instid1(VALU_DEP_1)
	v_mul_f32_e32 v0, v1, v0
	v_and_b32_e32 v1, 0x7f800000, v0
	s_delay_alu instid0(VALU_DEP_1)
	v_cmpx_ne_u32_e32 0x7f800000, v1
	s_xor_b32 s76, exec_lo, s76
; %bb.1914:                             ;   in Loop: Header=BB12_1845 Depth=3
	v_bfe_u32 v1, v0, 16, 1
	s_delay_alu instid0(VALU_DEP_1)
	v_add3_u32 v46, v0, v1, 0x7fff
                                        ; implicit-def: $vgpr0
; %bb.1915:                             ;   in Loop: Header=BB12_1845 Depth=3
	s_and_not1_saveexec_b32 s76, s76
; %bb.1916:                             ;   in Loop: Header=BB12_1845 Depth=3
	v_and_b32_e32 v1, 0xffff, v0
	v_or_b32_e32 v6, 0x10000, v0
	s_delay_alu instid0(VALU_DEP_2) | instskip(NEXT) | instid1(VALU_DEP_2)
	v_cmp_eq_u32_e32 vcc_lo, 0, v1
	v_cndmask_b32_e32 v46, v6, v0, vcc_lo
; %bb.1917:                             ;   in Loop: Header=BB12_1845 Depth=3
	s_or_b32 exec_lo, exec_lo, s76
	v_lshlrev_b32_e32 v0, 16, v63
	s_wait_loadcnt_dscnt 0xe0e
	v_lshlrev_b32_e32 v1, 16, v75
	s_mov_b32 s76, exec_lo
                                        ; implicit-def: $vgpr47
	s_delay_alu instid0(VALU_DEP_1) | instskip(NEXT) | instid1(VALU_DEP_1)
	v_mul_f32_e32 v0, v1, v0
	v_and_b32_e32 v1, 0x7f800000, v0
	s_delay_alu instid0(VALU_DEP_1)
	v_cmpx_ne_u32_e32 0x7f800000, v1
	s_xor_b32 s76, exec_lo, s76
; %bb.1918:                             ;   in Loop: Header=BB12_1845 Depth=3
	v_bfe_u32 v1, v0, 16, 1
	s_delay_alu instid0(VALU_DEP_1)
	v_add3_u32 v47, v0, v1, 0x7fff
                                        ; implicit-def: $vgpr0
; %bb.1919:                             ;   in Loop: Header=BB12_1845 Depth=3
	s_and_not1_saveexec_b32 s76, s76
; %bb.1920:                             ;   in Loop: Header=BB12_1845 Depth=3
	v_and_b32_e32 v1, 0xffff, v0
	v_or_b32_e32 v6, 0x10000, v0
	s_delay_alu instid0(VALU_DEP_2) | instskip(NEXT) | instid1(VALU_DEP_2)
	v_cmp_eq_u32_e32 vcc_lo, 0, v1
	v_cndmask_b32_e32 v47, v6, v0, vcc_lo
; %bb.1921:                             ;   in Loop: Header=BB12_1845 Depth=3
	s_or_b32 exec_lo, exec_lo, s76
	s_wait_loadcnt_dscnt 0xd0d
	v_dual_lshlrev_b32 v0, 16, v43 :: v_dual_lshlrev_b32 v1, 16, v62
	s_mov_b32 s76, exec_lo
                                        ; implicit-def: $vgpr43
	s_delay_alu instid0(VALU_DEP_1) | instskip(NEXT) | instid1(VALU_DEP_1)
	v_mul_f32_e32 v0, v1, v0
	v_and_b32_e32 v1, 0x7f800000, v0
	s_delay_alu instid0(VALU_DEP_1)
	v_cmpx_ne_u32_e32 0x7f800000, v1
	s_xor_b32 s76, exec_lo, s76
; %bb.1922:                             ;   in Loop: Header=BB12_1845 Depth=3
	v_bfe_u32 v1, v0, 16, 1
	s_delay_alu instid0(VALU_DEP_1)
	v_add3_u32 v43, v0, v1, 0x7fff
                                        ; implicit-def: $vgpr0
; %bb.1923:                             ;   in Loop: Header=BB12_1845 Depth=3
	s_and_not1_saveexec_b32 s76, s76
; %bb.1924:                             ;   in Loop: Header=BB12_1845 Depth=3
	v_and_b32_e32 v1, 0xffff, v0
	v_or_b32_e32 v6, 0x10000, v0
	s_delay_alu instid0(VALU_DEP_2) | instskip(NEXT) | instid1(VALU_DEP_2)
	v_cmp_eq_u32_e32 vcc_lo, 0, v1
	v_cndmask_b32_e32 v43, v6, v0, vcc_lo
; %bb.1925:                             ;   in Loop: Header=BB12_1845 Depth=3
	s_or_b32 exec_lo, exec_lo, s76
	s_wait_loadcnt_dscnt 0xc0c
	v_dual_lshlrev_b32 v0, 16, v119 :: v_dual_lshlrev_b32 v1, 16, v42
	s_mov_b32 s76, exec_lo
                                        ; implicit-def: $vgpr119
	s_delay_alu instid0(VALU_DEP_1) | instskip(NEXT) | instid1(VALU_DEP_1)
	v_mul_f32_e32 v0, v1, v0
	v_and_b32_e32 v1, 0x7f800000, v0
	s_delay_alu instid0(VALU_DEP_1)
	v_cmpx_ne_u32_e32 0x7f800000, v1
	s_xor_b32 s76, exec_lo, s76
; %bb.1926:                             ;   in Loop: Header=BB12_1845 Depth=3
	v_bfe_u32 v1, v0, 16, 1
	s_delay_alu instid0(VALU_DEP_1)
	v_add3_u32 v119, v0, v1, 0x7fff
                                        ; implicit-def: $vgpr0
; %bb.1927:                             ;   in Loop: Header=BB12_1845 Depth=3
	s_and_not1_saveexec_b32 s76, s76
; %bb.1928:                             ;   in Loop: Header=BB12_1845 Depth=3
	v_and_b32_e32 v1, 0xffff, v0
	v_or_b32_e32 v6, 0x10000, v0
	s_delay_alu instid0(VALU_DEP_2) | instskip(NEXT) | instid1(VALU_DEP_2)
	v_cmp_eq_u32_e32 vcc_lo, 0, v1
	v_cndmask_b32_e32 v119, v6, v0, vcc_lo
; %bb.1929:                             ;   in Loop: Header=BB12_1845 Depth=3
	s_or_b32 exec_lo, exec_lo, s76
	s_wait_loadcnt_dscnt 0xb0b
	v_dual_lshlrev_b32 v0, 16, v115 :: v_dual_lshlrev_b32 v1, 16, v118
	s_mov_b32 s76, exec_lo
                                        ; implicit-def: $vgpr6
	s_delay_alu instid0(VALU_DEP_1) | instskip(NEXT) | instid1(VALU_DEP_1)
	v_mul_f32_e32 v0, v1, v0
	v_and_b32_e32 v1, 0x7f800000, v0
	s_delay_alu instid0(VALU_DEP_1)
	v_cmpx_ne_u32_e32 0x7f800000, v1
	s_xor_b32 s76, exec_lo, s76
; %bb.1930:                             ;   in Loop: Header=BB12_1845 Depth=3
	v_bfe_u32 v1, v0, 16, 1
	s_delay_alu instid0(VALU_DEP_1)
	v_add3_u32 v6, v0, v1, 0x7fff
                                        ; implicit-def: $vgpr0
; %bb.1931:                             ;   in Loop: Header=BB12_1845 Depth=3
	s_and_not1_saveexec_b32 s76, s76
; %bb.1932:                             ;   in Loop: Header=BB12_1845 Depth=3
	v_and_b32_e32 v1, 0xffff, v0
	v_or_b32_e32 v6, 0x10000, v0
	s_delay_alu instid0(VALU_DEP_2) | instskip(NEXT) | instid1(VALU_DEP_2)
	v_cmp_eq_u32_e32 vcc_lo, 0, v1
	v_cndmask_b32_e32 v6, v6, v0, vcc_lo
; %bb.1933:                             ;   in Loop: Header=BB12_1845 Depth=3
	s_or_b32 exec_lo, exec_lo, s76
	s_wait_loadcnt_dscnt 0xa0a
	v_dual_lshlrev_b32 v0, 16, v112 :: v_dual_lshlrev_b32 v1, 16, v114
	s_mov_b32 s76, exec_lo
                                        ; implicit-def: $vgpr7
	s_delay_alu instid0(VALU_DEP_1) | instskip(NEXT) | instid1(VALU_DEP_1)
	v_mul_f32_e32 v0, v1, v0
	v_and_b32_e32 v1, 0x7f800000, v0
	s_delay_alu instid0(VALU_DEP_1)
	v_cmpx_ne_u32_e32 0x7f800000, v1
	s_xor_b32 s76, exec_lo, s76
; %bb.1934:                             ;   in Loop: Header=BB12_1845 Depth=3
	v_bfe_u32 v1, v0, 16, 1
	s_delay_alu instid0(VALU_DEP_1)
	v_add3_u32 v7, v0, v1, 0x7fff
                                        ; implicit-def: $vgpr0
; %bb.1935:                             ;   in Loop: Header=BB12_1845 Depth=3
	s_and_not1_saveexec_b32 s76, s76
; %bb.1936:                             ;   in Loop: Header=BB12_1845 Depth=3
	v_and_b32_e32 v1, 0xffff, v0
	v_or_b32_e32 v7, 0x10000, v0
	s_delay_alu instid0(VALU_DEP_2) | instskip(NEXT) | instid1(VALU_DEP_2)
	v_cmp_eq_u32_e32 vcc_lo, 0, v1
	v_cndmask_b32_e32 v7, v7, v0, vcc_lo
; %bb.1937:                             ;   in Loop: Header=BB12_1845 Depth=3
	s_or_b32 exec_lo, exec_lo, s76
	s_wait_loadcnt_dscnt 0x909
	v_dual_lshlrev_b32 v0, 16, v101 :: v_dual_lshlrev_b32 v1, 16, v103
	s_mov_b32 s76, exec_lo
                                        ; implicit-def: $vgpr101
	s_delay_alu instid0(VALU_DEP_1) | instskip(NEXT) | instid1(VALU_DEP_1)
	v_mul_f32_e32 v0, v1, v0
	v_and_b32_e32 v1, 0x7f800000, v0
	s_delay_alu instid0(VALU_DEP_1)
	v_cmpx_ne_u32_e32 0x7f800000, v1
	s_xor_b32 s76, exec_lo, s76
; %bb.1938:                             ;   in Loop: Header=BB12_1845 Depth=3
	v_bfe_u32 v1, v0, 16, 1
	s_delay_alu instid0(VALU_DEP_1)
	v_add3_u32 v101, v0, v1, 0x7fff
                                        ; implicit-def: $vgpr0
; %bb.1939:                             ;   in Loop: Header=BB12_1845 Depth=3
	s_and_not1_saveexec_b32 s76, s76
; %bb.1940:                             ;   in Loop: Header=BB12_1845 Depth=3
	v_and_b32_e32 v1, 0xffff, v0
	v_or_b32_e32 v29, 0x10000, v0
	s_delay_alu instid0(VALU_DEP_2) | instskip(NEXT) | instid1(VALU_DEP_2)
	v_cmp_eq_u32_e32 vcc_lo, 0, v1
	v_cndmask_b32_e32 v101, v29, v0, vcc_lo
; %bb.1941:                             ;   in Loop: Header=BB12_1845 Depth=3
	s_or_b32 exec_lo, exec_lo, s76
	s_wait_loadcnt_dscnt 0x808
	v_dual_lshlrev_b32 v0, 16, v98 :: v_dual_lshlrev_b32 v1, 16, v100
	s_mov_b32 s76, exec_lo
                                        ; implicit-def: $vgpr98
	s_delay_alu instid0(VALU_DEP_1) | instskip(NEXT) | instid1(VALU_DEP_1)
	v_mul_f32_e32 v0, v1, v0
	v_and_b32_e32 v1, 0x7f800000, v0
	s_delay_alu instid0(VALU_DEP_1)
	v_cmpx_ne_u32_e32 0x7f800000, v1
	s_xor_b32 s76, exec_lo, s76
; %bb.1942:                             ;   in Loop: Header=BB12_1845 Depth=3
	v_bfe_u32 v1, v0, 16, 1
	s_delay_alu instid0(VALU_DEP_1)
	v_add3_u32 v98, v0, v1, 0x7fff
                                        ; implicit-def: $vgpr0
; %bb.1943:                             ;   in Loop: Header=BB12_1845 Depth=3
	s_and_not1_saveexec_b32 s76, s76
; %bb.1944:                             ;   in Loop: Header=BB12_1845 Depth=3
	v_and_b32_e32 v1, 0xffff, v0
	v_or_b32_e32 v29, 0x10000, v0
	s_delay_alu instid0(VALU_DEP_2) | instskip(NEXT) | instid1(VALU_DEP_2)
	v_cmp_eq_u32_e32 vcc_lo, 0, v1
	v_cndmask_b32_e32 v98, v29, v0, vcc_lo
; %bb.1945:                             ;   in Loop: Header=BB12_1845 Depth=3
	s_or_b32 exec_lo, exec_lo, s76
	s_wait_loadcnt_dscnt 0x707
	v_dual_lshlrev_b32 v0, 16, v87 :: v_dual_lshlrev_b32 v1, 16, v97
	s_mov_b32 s76, exec_lo
                                        ; implicit-def: $vgpr87
	s_delay_alu instid0(VALU_DEP_1) | instskip(NEXT) | instid1(VALU_DEP_1)
	v_mul_f32_e32 v0, v1, v0
	v_and_b32_e32 v1, 0x7f800000, v0
	s_delay_alu instid0(VALU_DEP_1)
	v_cmpx_ne_u32_e32 0x7f800000, v1
	s_xor_b32 s76, exec_lo, s76
; %bb.1946:                             ;   in Loop: Header=BB12_1845 Depth=3
	v_bfe_u32 v1, v0, 16, 1
	s_delay_alu instid0(VALU_DEP_1)
	v_add3_u32 v87, v0, v1, 0x7fff
                                        ; implicit-def: $vgpr0
; %bb.1947:                             ;   in Loop: Header=BB12_1845 Depth=3
	s_and_not1_saveexec_b32 s76, s76
; %bb.1948:                             ;   in Loop: Header=BB12_1845 Depth=3
	v_and_b32_e32 v1, 0xffff, v0
	v_or_b32_e32 v29, 0x10000, v0
	s_delay_alu instid0(VALU_DEP_2) | instskip(NEXT) | instid1(VALU_DEP_2)
	v_cmp_eq_u32_e32 vcc_lo, 0, v1
	v_cndmask_b32_e32 v87, v29, v0, vcc_lo
; %bb.1949:                             ;   in Loop: Header=BB12_1845 Depth=3
	s_or_b32 exec_lo, exec_lo, s76
	s_wait_loadcnt_dscnt 0x606
	v_dual_lshlrev_b32 v0, 16, v85 :: v_dual_lshlrev_b32 v1, 16, v86
	s_mov_b32 s76, exec_lo
                                        ; implicit-def: $vgpr85
	s_delay_alu instid0(VALU_DEP_1) | instskip(NEXT) | instid1(VALU_DEP_1)
	v_mul_f32_e32 v0, v1, v0
	v_and_b32_e32 v1, 0x7f800000, v0
	s_delay_alu instid0(VALU_DEP_1)
	v_cmpx_ne_u32_e32 0x7f800000, v1
	s_xor_b32 s76, exec_lo, s76
; %bb.1950:                             ;   in Loop: Header=BB12_1845 Depth=3
	v_bfe_u32 v1, v0, 16, 1
	s_delay_alu instid0(VALU_DEP_1)
	v_add3_u32 v85, v0, v1, 0x7fff
                                        ; implicit-def: $vgpr0
; %bb.1951:                             ;   in Loop: Header=BB12_1845 Depth=3
	s_and_not1_saveexec_b32 s76, s76
; %bb.1952:                             ;   in Loop: Header=BB12_1845 Depth=3
	v_and_b32_e32 v1, 0xffff, v0
	v_or_b32_e32 v29, 0x10000, v0
	s_delay_alu instid0(VALU_DEP_2) | instskip(NEXT) | instid1(VALU_DEP_2)
	v_cmp_eq_u32_e32 vcc_lo, 0, v1
	v_cndmask_b32_e32 v85, v29, v0, vcc_lo
; %bb.1953:                             ;   in Loop: Header=BB12_1845 Depth=3
	s_or_b32 exec_lo, exec_lo, s76
	s_wait_loadcnt_dscnt 0x505
	v_dual_lshlrev_b32 v0, 16, v83 :: v_dual_lshlrev_b32 v1, 16, v2
	s_mov_b32 s76, exec_lo
                                        ; implicit-def: $vgpr2
	s_delay_alu instid0(VALU_DEP_1) | instskip(NEXT) | instid1(VALU_DEP_1)
	v_mul_f32_e32 v0, v1, v0
	v_and_b32_e32 v1, 0x7f800000, v0
	s_delay_alu instid0(VALU_DEP_1)
	v_cmpx_ne_u32_e32 0x7f800000, v1
	s_xor_b32 s76, exec_lo, s76
; %bb.1954:                             ;   in Loop: Header=BB12_1845 Depth=3
	v_bfe_u32 v1, v0, 16, 1
	s_delay_alu instid0(VALU_DEP_1)
	v_add3_u32 v2, v0, v1, 0x7fff
                                        ; implicit-def: $vgpr0
; %bb.1955:                             ;   in Loop: Header=BB12_1845 Depth=3
	s_and_not1_saveexec_b32 s76, s76
; %bb.1956:                             ;   in Loop: Header=BB12_1845 Depth=3
	v_and_b32_e32 v1, 0xffff, v0
	v_or_b32_e32 v2, 0x10000, v0
	s_delay_alu instid0(VALU_DEP_2) | instskip(NEXT) | instid1(VALU_DEP_2)
	v_cmp_eq_u32_e32 vcc_lo, 0, v1
	v_cndmask_b32_e32 v2, v2, v0, vcc_lo
; %bb.1957:                             ;   in Loop: Header=BB12_1845 Depth=3
	s_or_b32 exec_lo, exec_lo, s76
	s_wait_loadcnt_dscnt 0x404
	v_dual_lshlrev_b32 v0, 16, v80 :: v_dual_lshlrev_b32 v1, 16, v81
	s_delay_alu instid0(VALU_DEP_1) | instskip(NEXT) | instid1(VALU_DEP_1)
	v_mul_f32_e32 v1, v1, v0
	v_and_b32_e32 v0, 0x7f800000, v1
	s_delay_alu instid0(VALU_DEP_1) | instskip(SKIP_1) | instid1(SALU_CYCLE_1)
	v_cmp_ne_u32_e32 vcc_lo, 0x7f800000, v0
                                        ; implicit-def: $vgpr0
	s_and_saveexec_b32 s76, vcc_lo
	s_xor_b32 s76, exec_lo, s76
; %bb.1958:                             ;   in Loop: Header=BB12_1845 Depth=3
	v_bfe_u32 v0, v1, 16, 1
	s_delay_alu instid0(VALU_DEP_1)
	v_add3_u32 v0, v1, v0, 0x7fff
                                        ; implicit-def: $vgpr1
; %bb.1959:                             ;   in Loop: Header=BB12_1845 Depth=3
	s_and_not1_saveexec_b32 s76, s76
; %bb.1960:                             ;   in Loop: Header=BB12_1845 Depth=3
	v_and_b32_e32 v0, 0xffff, v1
	v_or_b32_e32 v29, 0x10000, v1
	s_delay_alu instid0(VALU_DEP_2) | instskip(NEXT) | instid1(VALU_DEP_2)
	v_cmp_eq_u32_e32 vcc_lo, 0, v0
	v_cndmask_b32_e32 v0, v29, v1, vcc_lo
; %bb.1961:                             ;   in Loop: Header=BB12_1845 Depth=3
	s_or_b32 exec_lo, exec_lo, s76
	s_wait_loadcnt_dscnt 0x303
	v_dual_lshlrev_b32 v1, 16, v69 :: v_dual_lshlrev_b32 v29, 16, v70
	s_delay_alu instid0(VALU_DEP_1) | instskip(NEXT) | instid1(VALU_DEP_1)
	v_mul_f32_e32 v29, v29, v1
	v_and_b32_e32 v1, 0x7f800000, v29
	s_delay_alu instid0(VALU_DEP_1) | instskip(SKIP_1) | instid1(SALU_CYCLE_1)
	v_cmp_ne_u32_e32 vcc_lo, 0x7f800000, v1
                                        ; implicit-def: $vgpr1
	s_and_saveexec_b32 s76, vcc_lo
	s_xor_b32 s76, exec_lo, s76
; %bb.1962:                             ;   in Loop: Header=BB12_1845 Depth=3
	v_bfe_u32 v1, v29, 16, 1
	s_delay_alu instid0(VALU_DEP_1)
	v_add3_u32 v1, v29, v1, 0x7fff
                                        ; implicit-def: $vgpr29
; %bb.1963:                             ;   in Loop: Header=BB12_1845 Depth=3
	s_and_not1_saveexec_b32 s76, s76
; %bb.1964:                             ;   in Loop: Header=BB12_1845 Depth=3
	v_and_b32_e32 v1, 0xffff, v29
	v_or_b32_e32 v69, 0x10000, v29
	s_delay_alu instid0(VALU_DEP_2) | instskip(NEXT) | instid1(VALU_DEP_2)
	v_cmp_eq_u32_e32 vcc_lo, 0, v1
	v_cndmask_b32_e32 v1, v69, v29, vcc_lo
; %bb.1965:                             ;   in Loop: Header=BB12_1845 Depth=3
	s_or_b32 exec_lo, exec_lo, s76
	s_wait_loadcnt_dscnt 0x202
	v_dual_lshlrev_b32 v29, 16, v66 :: v_dual_lshlrev_b32 v66, 16, v67
	s_delay_alu instid0(VALU_DEP_1) | instskip(NEXT) | instid1(VALU_DEP_1)
	v_mul_f32_e32 v66, v66, v29
	v_and_b32_e32 v29, 0x7f800000, v66
	s_delay_alu instid0(VALU_DEP_1) | instskip(SKIP_1) | instid1(SALU_CYCLE_1)
	v_cmp_ne_u32_e32 vcc_lo, 0x7f800000, v29
                                        ; implicit-def: $vgpr29
	s_and_saveexec_b32 s76, vcc_lo
	s_xor_b32 s76, exec_lo, s76
; %bb.1966:                             ;   in Loop: Header=BB12_1845 Depth=3
	v_bfe_u32 v29, v66, 16, 1
	s_delay_alu instid0(VALU_DEP_1)
	v_add3_u32 v29, v66, v29, 0x7fff
                                        ; implicit-def: $vgpr66
; %bb.1967:                             ;   in Loop: Header=BB12_1845 Depth=3
	s_and_not1_saveexec_b32 s76, s76
; %bb.1968:                             ;   in Loop: Header=BB12_1845 Depth=3
	v_and_b32_e32 v29, 0xffff, v66
	v_or_b32_e32 v67, 0x10000, v66
	s_delay_alu instid0(VALU_DEP_2) | instskip(NEXT) | instid1(VALU_DEP_2)
	v_cmp_eq_u32_e32 vcc_lo, 0, v29
	v_cndmask_b32_e32 v29, v67, v66, vcc_lo
; %bb.1969:                             ;   in Loop: Header=BB12_1845 Depth=3
	s_or_b32 exec_lo, exec_lo, s76
	s_wait_loadcnt_dscnt 0x101
	v_dual_lshlrev_b32 v55, 16, v55 :: v_dual_lshlrev_b32 v65, 16, v65
	s_delay_alu instid0(VALU_DEP_1) | instskip(NEXT) | instid1(VALU_DEP_1)
	v_mul_f32_e32 v65, v65, v55
	v_and_b32_e32 v55, 0x7f800000, v65
	s_delay_alu instid0(VALU_DEP_1) | instskip(SKIP_1) | instid1(SALU_CYCLE_1)
	v_cmp_ne_u32_e32 vcc_lo, 0x7f800000, v55
                                        ; implicit-def: $vgpr55
	s_and_saveexec_b32 s76, vcc_lo
	s_xor_b32 s76, exec_lo, s76
; %bb.1970:                             ;   in Loop: Header=BB12_1845 Depth=3
	v_bfe_u32 v55, v65, 16, 1
	s_delay_alu instid0(VALU_DEP_1)
	v_add3_u32 v55, v65, v55, 0x7fff
                                        ; implicit-def: $vgpr65
; %bb.1971:                             ;   in Loop: Header=BB12_1845 Depth=3
	s_and_not1_saveexec_b32 s76, s76
; %bb.1972:                             ;   in Loop: Header=BB12_1845 Depth=3
	v_and_b32_e32 v55, 0xffff, v65
	v_or_b32_e32 v66, 0x10000, v65
	s_delay_alu instid0(VALU_DEP_2) | instskip(NEXT) | instid1(VALU_DEP_2)
	v_cmp_eq_u32_e32 vcc_lo, 0, v55
	v_cndmask_b32_e32 v55, v66, v65, vcc_lo
; %bb.1973:                             ;   in Loop: Header=BB12_1845 Depth=3
	s_or_b32 exec_lo, exec_lo, s76
	s_wait_loadcnt_dscnt 0x0
	v_dual_lshlrev_b32 v52, 16, v52 :: v_dual_lshlrev_b32 v54, 16, v54
	s_delay_alu instid0(VALU_DEP_1) | instskip(NEXT) | instid1(VALU_DEP_1)
	v_mul_f32_e32 v54, v54, v52
	v_and_b32_e32 v52, 0x7f800000, v54
	s_delay_alu instid0(VALU_DEP_1) | instskip(SKIP_1) | instid1(SALU_CYCLE_1)
	v_cmp_ne_u32_e32 vcc_lo, 0x7f800000, v52
                                        ; implicit-def: $vgpr52
	s_and_saveexec_b32 s76, vcc_lo
	s_xor_b32 s76, exec_lo, s76
; %bb.1974:                             ;   in Loop: Header=BB12_1845 Depth=3
	v_bfe_u32 v52, v54, 16, 1
	s_delay_alu instid0(VALU_DEP_1)
	v_add3_u32 v52, v54, v52, 0x7fff
                                        ; implicit-def: $vgpr54
; %bb.1975:                             ;   in Loop: Header=BB12_1845 Depth=3
	s_and_not1_saveexec_b32 s76, s76
; %bb.1976:                             ;   in Loop: Header=BB12_1845 Depth=3
	v_and_b32_e32 v52, 0xffff, v54
	v_or_b32_e32 v65, 0x10000, v54
	s_delay_alu instid0(VALU_DEP_2) | instskip(NEXT) | instid1(VALU_DEP_2)
	v_cmp_eq_u32_e32 vcc_lo, 0, v52
	v_cndmask_b32_e32 v52, v65, v54, vcc_lo
; %bb.1977:                             ;   in Loop: Header=BB12_1845 Depth=3
	s_or_b32 exec_lo, exec_lo, s76
	v_dual_lshrrev_b32 v69, 16, v46 :: v_dual_lshrrev_b32 v80, 16, v43
	v_dual_lshrrev_b32 v6, 16, v6 :: v_dual_lshrrev_b32 v70, 16, v47
	s_delay_alu instid0(VALU_DEP_3)
	v_dual_lshrrev_b32 v81, 16, v119 :: v_dual_lshrrev_b32 v52, 16, v52
	v_dual_lshrrev_b32 v54, 16, v55 :: v_dual_lshrrev_b32 v29, 16, v29
	;; [unrolled: 1-line block ×6, first 2 shown]
	s_clause 0xf
	flat_store_b16 v[8:9], v69 th:TH_STORE_NT
	flat_store_b16 v[8:9], v70 offset:64 th:TH_STORE_NT
	flat_store_b16 v[8:9], v80 offset:128 th:TH_STORE_NT
	;; [unrolled: 1-line block ×15, first 2 shown]
	s_wait_xcnt 0x0
	v_add_nc_u64_e32 v[8:9], 0x400, v[8:9]
	s_clause 0xf
	flat_store_b16 v[4:5], v69 th:TH_STORE_NT
	flat_store_b16 v[4:5], v70 offset:64 th:TH_STORE_NT
	flat_store_b16 v[4:5], v80 offset:128 th:TH_STORE_NT
	;; [unrolled: 1-line block ×15, first 2 shown]
	s_wait_xcnt 0x0
	v_add_nc_u64_e32 v[4:5], 0x400, v[4:5]
	s_and_saveexec_b32 s76, s41
	s_cbranch_execz .LBB12_1844
; %bb.1978:                             ;   in Loop: Header=BB12_1845 Depth=3
	v_add_nc_u64_e32 v[8:9], v[8:9], v[78:79]
	s_delay_alu instid0(VALU_DEP_2)
	v_add_nc_u64_e32 v[4:5], v[4:5], v[78:79]
	v_add_nc_u64_e32 v[10:11], v[10:11], v[78:79]
	;; [unrolled: 1-line block ×3, first 2 shown]
	v_sub_nc_u32_e32 v17, v17, v60
	s_branch .LBB12_1844
.LBB12_1979:                            ;   in Loop: Header=BB12_1247 Depth=2
	s_or_b32 exec_lo, exec_lo, s40
	v_dual_lshlrev_b32 v85, 16, v99 :: v_dual_lshlrev_b32 v86, 16, v21
	v_mov_b64_e32 v[98:99], v[108:109]
	v_dual_lshlrev_b32 v87, 16, v113 :: v_dual_lshlrev_b32 v97, 16, v19
	v_dual_lshlrev_b32 v0, 16, v102 :: v_dual_lshlrev_b32 v1, 16, v20
	v_dual_lshlrev_b32 v83, 16, v96 :: v_dual_lshlrev_b32 v29, 16, v22
	v_dual_lshlrev_b32 v80, 16, v84 :: v_dual_lshlrev_b32 v81, 16, v23
	v_dual_lshlrev_b32 v69, 16, v82 :: v_dual_lshlrev_b32 v70, 16, v24
	v_dual_lshlrev_b32 v66, 16, v71 :: v_dual_lshlrev_b32 v67, 16, v25
	v_dual_lshlrev_b32 v55, 16, v68 :: v_dual_lshlrev_b32 v65, 16, v26
	v_dual_lshlrev_b32 v52, 16, v64 :: v_dual_lshlrev_b32 v54, 16, v27
	v_dual_lshlrev_b32 v6, 16, v53 :: v_dual_lshlrev_b32 v7, 16, v31
	v_dual_lshlrev_b32 v27, 16, v51 :: v_dual_lshlrev_b32 v32, 16, v32
	v_dual_lshlrev_b32 v24, 16, v50 :: v_dual_lshlrev_b32 v26, 16, v33
	v_dual_lshlrev_b32 v22, 16, v49 :: v_dual_lshlrev_b32 v23, 16, v34
	v_dual_lshlrev_b32 v20, 16, v48 :: v_dual_lshlrev_b32 v21, 16, v35
	v_dual_lshlrev_b32 v11, 16, v39 :: v_dual_lshlrev_b32 v19, 16, v36
	v_dual_lshlrev_b32 v2, 16, v38 :: v_dual_lshlrev_b32 v10, 16, v37
	s_and_b32 s14, s14, exec_lo
.LBB12_1980:                            ;   in Loop: Header=BB12_1247 Depth=2
	s_or_b32 exec_lo, exec_lo, s13
	s_and_saveexec_b32 s13, s14
	s_cbranch_execz .LBB12_2046
; %bb.1981:                             ;   in Loop: Header=BB12_1247 Depth=2
	v_mul_f32_e32 v13, v97, v87
	s_delay_alu instid0(VALU_DEP_1) | instskip(NEXT) | instid1(VALU_DEP_1)
	v_and_b32_e32 v12, 0x7f800000, v13
	v_cmp_ne_u32_e32 vcc_lo, 0x7f800000, v12
                                        ; implicit-def: $vgpr12
	s_and_saveexec_b32 s14, vcc_lo
	s_delay_alu instid0(SALU_CYCLE_1)
	s_xor_b32 s14, exec_lo, s14
; %bb.1982:                             ;   in Loop: Header=BB12_1247 Depth=2
	v_bfe_u32 v12, v13, 16, 1
	s_delay_alu instid0(VALU_DEP_1)
	v_add3_u32 v12, v13, v12, 0x7fff
                                        ; implicit-def: $vgpr13
; %bb.1983:                             ;   in Loop: Header=BB12_1247 Depth=2
	s_and_not1_saveexec_b32 s14, s14
; %bb.1984:                             ;   in Loop: Header=BB12_1247 Depth=2
	v_and_b32_e32 v12, 0xffff, v13
	v_or_b32_e32 v25, 0x10000, v13
	s_delay_alu instid0(VALU_DEP_2) | instskip(NEXT) | instid1(VALU_DEP_2)
	v_cmp_eq_u32_e32 vcc_lo, 0, v12
	v_cndmask_b32_e32 v12, v25, v13, vcc_lo
; %bb.1985:                             ;   in Loop: Header=BB12_1247 Depth=2
	s_or_b32 exec_lo, exec_lo, s14
	v_mul_f32_e32 v0, v1, v0
	s_mov_b32 s14, exec_lo
                                        ; implicit-def: $vgpr13
	s_delay_alu instid0(VALU_DEP_1) | instskip(NEXT) | instid1(VALU_DEP_1)
	v_and_b32_e32 v1, 0x7f800000, v0
	v_cmpx_ne_u32_e32 0x7f800000, v1
	s_xor_b32 s14, exec_lo, s14
; %bb.1986:                             ;   in Loop: Header=BB12_1247 Depth=2
	v_bfe_u32 v1, v0, 16, 1
	s_delay_alu instid0(VALU_DEP_1)
	v_add3_u32 v13, v0, v1, 0x7fff
                                        ; implicit-def: $vgpr0
; %bb.1987:                             ;   in Loop: Header=BB12_1247 Depth=2
	s_and_not1_saveexec_b32 s14, s14
; %bb.1988:                             ;   in Loop: Header=BB12_1247 Depth=2
	v_and_b32_e32 v1, 0xffff, v0
	v_or_b32_e32 v13, 0x10000, v0
	s_delay_alu instid0(VALU_DEP_2) | instskip(NEXT) | instid1(VALU_DEP_2)
	v_cmp_eq_u32_e32 vcc_lo, 0, v1
	v_cndmask_b32_e32 v13, v13, v0, vcc_lo
; %bb.1989:                             ;   in Loop: Header=BB12_1247 Depth=2
	s_or_b32 exec_lo, exec_lo, s14
	v_mul_f32_e32 v0, v86, v85
	s_mov_b32 s14, exec_lo
                                        ; implicit-def: $vgpr25
	s_delay_alu instid0(VALU_DEP_1) | instskip(NEXT) | instid1(VALU_DEP_1)
	v_and_b32_e32 v1, 0x7f800000, v0
	v_cmpx_ne_u32_e32 0x7f800000, v1
	s_xor_b32 s14, exec_lo, s14
; %bb.1990:                             ;   in Loop: Header=BB12_1247 Depth=2
	v_bfe_u32 v1, v0, 16, 1
	s_delay_alu instid0(VALU_DEP_1)
	v_add3_u32 v25, v0, v1, 0x7fff
                                        ; implicit-def: $vgpr0
; %bb.1991:                             ;   in Loop: Header=BB12_1247 Depth=2
	s_and_not1_saveexec_b32 s14, s14
; %bb.1992:                             ;   in Loop: Header=BB12_1247 Depth=2
	v_and_b32_e32 v1, 0xffff, v0
	v_or_b32_e32 v25, 0x10000, v0
	s_delay_alu instid0(VALU_DEP_2) | instskip(NEXT) | instid1(VALU_DEP_2)
	v_cmp_eq_u32_e32 vcc_lo, 0, v1
	v_cndmask_b32_e32 v25, v25, v0, vcc_lo
; %bb.1993:                             ;   in Loop: Header=BB12_1247 Depth=2
	s_or_b32 exec_lo, exec_lo, s14
	v_mul_f32_e32 v0, v29, v83
	s_mov_b32 s14, exec_lo
                                        ; implicit-def: $vgpr31
	s_delay_alu instid0(VALU_DEP_1) | instskip(NEXT) | instid1(VALU_DEP_1)
	v_and_b32_e32 v1, 0x7f800000, v0
	v_cmpx_ne_u32_e32 0x7f800000, v1
	s_xor_b32 s14, exec_lo, s14
; %bb.1994:                             ;   in Loop: Header=BB12_1247 Depth=2
	v_bfe_u32 v1, v0, 16, 1
	s_delay_alu instid0(VALU_DEP_1)
	v_add3_u32 v31, v0, v1, 0x7fff
                                        ; implicit-def: $vgpr0
; %bb.1995:                             ;   in Loop: Header=BB12_1247 Depth=2
	s_and_not1_saveexec_b32 s14, s14
; %bb.1996:                             ;   in Loop: Header=BB12_1247 Depth=2
	v_and_b32_e32 v1, 0xffff, v0
	v_or_b32_e32 v29, 0x10000, v0
	s_delay_alu instid0(VALU_DEP_2) | instskip(NEXT) | instid1(VALU_DEP_2)
	v_cmp_eq_u32_e32 vcc_lo, 0, v1
	v_cndmask_b32_e32 v31, v29, v0, vcc_lo
; %bb.1997:                             ;   in Loop: Header=BB12_1247 Depth=2
	s_or_b32 exec_lo, exec_lo, s14
	v_mul_f32_e32 v0, v81, v80
	s_mov_b32 s14, exec_lo
                                        ; implicit-def: $vgpr33
	s_delay_alu instid0(VALU_DEP_1) | instskip(NEXT) | instid1(VALU_DEP_1)
	v_and_b32_e32 v1, 0x7f800000, v0
	v_cmpx_ne_u32_e32 0x7f800000, v1
	s_xor_b32 s14, exec_lo, s14
; %bb.1998:                             ;   in Loop: Header=BB12_1247 Depth=2
	v_bfe_u32 v1, v0, 16, 1
	s_delay_alu instid0(VALU_DEP_1)
	v_add3_u32 v33, v0, v1, 0x7fff
                                        ; implicit-def: $vgpr0
; %bb.1999:                             ;   in Loop: Header=BB12_1247 Depth=2
	s_and_not1_saveexec_b32 s14, s14
; %bb.2000:                             ;   in Loop: Header=BB12_1247 Depth=2
	v_and_b32_e32 v1, 0xffff, v0
	v_or_b32_e32 v29, 0x10000, v0
	s_delay_alu instid0(VALU_DEP_2) | instskip(NEXT) | instid1(VALU_DEP_2)
	v_cmp_eq_u32_e32 vcc_lo, 0, v1
	v_cndmask_b32_e32 v33, v29, v0, vcc_lo
; %bb.2001:                             ;   in Loop: Header=BB12_1247 Depth=2
	s_or_b32 exec_lo, exec_lo, s14
	v_mul_f32_e32 v0, v70, v69
	s_mov_b32 s14, exec_lo
                                        ; implicit-def: $vgpr34
	s_delay_alu instid0(VALU_DEP_1) | instskip(NEXT) | instid1(VALU_DEP_1)
	v_and_b32_e32 v1, 0x7f800000, v0
	v_cmpx_ne_u32_e32 0x7f800000, v1
	s_xor_b32 s14, exec_lo, s14
; %bb.2002:                             ;   in Loop: Header=BB12_1247 Depth=2
	v_bfe_u32 v1, v0, 16, 1
	s_delay_alu instid0(VALU_DEP_1)
	v_add3_u32 v34, v0, v1, 0x7fff
                                        ; implicit-def: $vgpr0
; %bb.2003:                             ;   in Loop: Header=BB12_1247 Depth=2
	s_and_not1_saveexec_b32 s14, s14
; %bb.2004:                             ;   in Loop: Header=BB12_1247 Depth=2
	v_and_b32_e32 v1, 0xffff, v0
	v_or_b32_e32 v29, 0x10000, v0
	s_delay_alu instid0(VALU_DEP_2) | instskip(NEXT) | instid1(VALU_DEP_2)
	v_cmp_eq_u32_e32 vcc_lo, 0, v1
	v_cndmask_b32_e32 v34, v29, v0, vcc_lo
; %bb.2005:                             ;   in Loop: Header=BB12_1247 Depth=2
	s_or_b32 exec_lo, exec_lo, s14
	v_mul_f32_e32 v0, v67, v66
	s_mov_b32 s14, exec_lo
                                        ; implicit-def: $vgpr35
	s_delay_alu instid0(VALU_DEP_1) | instskip(NEXT) | instid1(VALU_DEP_1)
	v_and_b32_e32 v1, 0x7f800000, v0
	v_cmpx_ne_u32_e32 0x7f800000, v1
	s_xor_b32 s14, exec_lo, s14
; %bb.2006:                             ;   in Loop: Header=BB12_1247 Depth=2
	v_bfe_u32 v1, v0, 16, 1
	s_delay_alu instid0(VALU_DEP_1)
	v_add3_u32 v35, v0, v1, 0x7fff
                                        ; implicit-def: $vgpr0
; %bb.2007:                             ;   in Loop: Header=BB12_1247 Depth=2
	s_and_not1_saveexec_b32 s14, s14
; %bb.2008:                             ;   in Loop: Header=BB12_1247 Depth=2
	v_and_b32_e32 v1, 0xffff, v0
	v_or_b32_e32 v29, 0x10000, v0
	s_delay_alu instid0(VALU_DEP_2) | instskip(NEXT) | instid1(VALU_DEP_2)
	v_cmp_eq_u32_e32 vcc_lo, 0, v1
	v_cndmask_b32_e32 v35, v29, v0, vcc_lo
; %bb.2009:                             ;   in Loop: Header=BB12_1247 Depth=2
	s_or_b32 exec_lo, exec_lo, s14
	v_mul_f32_e32 v0, v65, v55
	s_mov_b32 s14, exec_lo
                                        ; implicit-def: $vgpr36
	s_delay_alu instid0(VALU_DEP_1) | instskip(NEXT) | instid1(VALU_DEP_1)
	v_and_b32_e32 v1, 0x7f800000, v0
	v_cmpx_ne_u32_e32 0x7f800000, v1
	s_xor_b32 s14, exec_lo, s14
; %bb.2010:                             ;   in Loop: Header=BB12_1247 Depth=2
	v_bfe_u32 v1, v0, 16, 1
	s_delay_alu instid0(VALU_DEP_1)
	v_add3_u32 v36, v0, v1, 0x7fff
                                        ; implicit-def: $vgpr0
; %bb.2011:                             ;   in Loop: Header=BB12_1247 Depth=2
	s_and_not1_saveexec_b32 s14, s14
; %bb.2012:                             ;   in Loop: Header=BB12_1247 Depth=2
	v_and_b32_e32 v1, 0xffff, v0
	v_or_b32_e32 v29, 0x10000, v0
	s_delay_alu instid0(VALU_DEP_2) | instskip(NEXT) | instid1(VALU_DEP_2)
	v_cmp_eq_u32_e32 vcc_lo, 0, v1
	v_cndmask_b32_e32 v36, v29, v0, vcc_lo
; %bb.2013:                             ;   in Loop: Header=BB12_1247 Depth=2
	s_or_b32 exec_lo, exec_lo, s14
	v_mul_f32_e32 v0, v54, v52
	s_mov_b32 s14, exec_lo
                                        ; implicit-def: $vgpr37
	s_delay_alu instid0(VALU_DEP_1) | instskip(NEXT) | instid1(VALU_DEP_1)
	v_and_b32_e32 v1, 0x7f800000, v0
	v_cmpx_ne_u32_e32 0x7f800000, v1
	s_xor_b32 s14, exec_lo, s14
; %bb.2014:                             ;   in Loop: Header=BB12_1247 Depth=2
	v_bfe_u32 v1, v0, 16, 1
	s_delay_alu instid0(VALU_DEP_1)
	v_add3_u32 v37, v0, v1, 0x7fff
                                        ; implicit-def: $vgpr0
; %bb.2015:                             ;   in Loop: Header=BB12_1247 Depth=2
	s_and_not1_saveexec_b32 s14, s14
; %bb.2016:                             ;   in Loop: Header=BB12_1247 Depth=2
	v_and_b32_e32 v1, 0xffff, v0
	v_or_b32_e32 v29, 0x10000, v0
	s_delay_alu instid0(VALU_DEP_2) | instskip(NEXT) | instid1(VALU_DEP_2)
	v_cmp_eq_u32_e32 vcc_lo, 0, v1
	v_cndmask_b32_e32 v37, v29, v0, vcc_lo
; %bb.2017:                             ;   in Loop: Header=BB12_1247 Depth=2
	s_or_b32 exec_lo, exec_lo, s14
	v_mul_f32_e32 v0, v7, v6
	s_mov_b32 s14, exec_lo
                                        ; implicit-def: $vgpr6
	s_delay_alu instid0(VALU_DEP_1) | instskip(NEXT) | instid1(VALU_DEP_1)
	v_and_b32_e32 v1, 0x7f800000, v0
	v_cmpx_ne_u32_e32 0x7f800000, v1
	s_xor_b32 s14, exec_lo, s14
; %bb.2018:                             ;   in Loop: Header=BB12_1247 Depth=2
	v_bfe_u32 v1, v0, 16, 1
	s_delay_alu instid0(VALU_DEP_1)
	v_add3_u32 v6, v0, v1, 0x7fff
                                        ; implicit-def: $vgpr0
; %bb.2019:                             ;   in Loop: Header=BB12_1247 Depth=2
	s_and_not1_saveexec_b32 s14, s14
; %bb.2020:                             ;   in Loop: Header=BB12_1247 Depth=2
	v_and_b32_e32 v1, 0xffff, v0
	v_or_b32_e32 v6, 0x10000, v0
	s_delay_alu instid0(VALU_DEP_2) | instskip(NEXT) | instid1(VALU_DEP_2)
	v_cmp_eq_u32_e32 vcc_lo, 0, v1
	v_cndmask_b32_e32 v6, v6, v0, vcc_lo
; %bb.2021:                             ;   in Loop: Header=BB12_1247 Depth=2
	s_or_b32 exec_lo, exec_lo, s14
	v_mul_f32_e32 v0, v32, v27
	s_mov_b32 s14, exec_lo
                                        ; implicit-def: $vgpr7
	s_delay_alu instid0(VALU_DEP_1) | instskip(NEXT) | instid1(VALU_DEP_1)
	v_and_b32_e32 v1, 0x7f800000, v0
	v_cmpx_ne_u32_e32 0x7f800000, v1
	s_xor_b32 s14, exec_lo, s14
; %bb.2022:                             ;   in Loop: Header=BB12_1247 Depth=2
	v_bfe_u32 v1, v0, 16, 1
	s_delay_alu instid0(VALU_DEP_1)
	v_add3_u32 v7, v0, v1, 0x7fff
                                        ; implicit-def: $vgpr0
; %bb.2023:                             ;   in Loop: Header=BB12_1247 Depth=2
	s_and_not1_saveexec_b32 s14, s14
; %bb.2024:                             ;   in Loop: Header=BB12_1247 Depth=2
	v_and_b32_e32 v1, 0xffff, v0
	v_or_b32_e32 v7, 0x10000, v0
	s_delay_alu instid0(VALU_DEP_2) | instskip(NEXT) | instid1(VALU_DEP_2)
	v_cmp_eq_u32_e32 vcc_lo, 0, v1
	v_cndmask_b32_e32 v7, v7, v0, vcc_lo
; %bb.2025:                             ;   in Loop: Header=BB12_1247 Depth=2
	s_or_b32 exec_lo, exec_lo, s14
	v_mul_f32_e32 v1, v26, v24
	s_delay_alu instid0(VALU_DEP_1) | instskip(NEXT) | instid1(VALU_DEP_1)
	v_and_b32_e32 v0, 0x7f800000, v1
	v_cmp_ne_u32_e32 vcc_lo, 0x7f800000, v0
                                        ; implicit-def: $vgpr0
	s_and_saveexec_b32 s14, vcc_lo
	s_delay_alu instid0(SALU_CYCLE_1)
	s_xor_b32 s14, exec_lo, s14
; %bb.2026:                             ;   in Loop: Header=BB12_1247 Depth=2
	v_bfe_u32 v0, v1, 16, 1
	s_delay_alu instid0(VALU_DEP_1)
	v_add3_u32 v0, v1, v0, 0x7fff
                                        ; implicit-def: $vgpr1
; %bb.2027:                             ;   in Loop: Header=BB12_1247 Depth=2
	s_and_not1_saveexec_b32 s14, s14
; %bb.2028:                             ;   in Loop: Header=BB12_1247 Depth=2
	v_and_b32_e32 v0, 0xffff, v1
	v_or_b32_e32 v24, 0x10000, v1
	s_delay_alu instid0(VALU_DEP_2) | instskip(NEXT) | instid1(VALU_DEP_2)
	v_cmp_eq_u32_e32 vcc_lo, 0, v0
	v_cndmask_b32_e32 v0, v24, v1, vcc_lo
; %bb.2029:                             ;   in Loop: Header=BB12_1247 Depth=2
	s_or_b32 exec_lo, exec_lo, s14
	v_mul_f32_e32 v22, v23, v22
	s_delay_alu instid0(VALU_DEP_1) | instskip(NEXT) | instid1(VALU_DEP_1)
	v_and_b32_e32 v1, 0x7f800000, v22
	v_cmp_ne_u32_e32 vcc_lo, 0x7f800000, v1
                                        ; implicit-def: $vgpr1
	s_and_saveexec_b32 s14, vcc_lo
	s_delay_alu instid0(SALU_CYCLE_1)
	s_xor_b32 s14, exec_lo, s14
; %bb.2030:                             ;   in Loop: Header=BB12_1247 Depth=2
	v_bfe_u32 v1, v22, 16, 1
	s_delay_alu instid0(VALU_DEP_1)
	v_add3_u32 v1, v22, v1, 0x7fff
                                        ; implicit-def: $vgpr22
; %bb.2031:                             ;   in Loop: Header=BB12_1247 Depth=2
	s_and_not1_saveexec_b32 s14, s14
; %bb.2032:                             ;   in Loop: Header=BB12_1247 Depth=2
	v_and_b32_e32 v1, 0xffff, v22
	v_or_b32_e32 v23, 0x10000, v22
	s_delay_alu instid0(VALU_DEP_2) | instskip(NEXT) | instid1(VALU_DEP_2)
	v_cmp_eq_u32_e32 vcc_lo, 0, v1
	v_cndmask_b32_e32 v1, v23, v22, vcc_lo
; %bb.2033:                             ;   in Loop: Header=BB12_1247 Depth=2
	s_or_b32 exec_lo, exec_lo, s14
	v_mul_f32_e32 v21, v21, v20
	s_delay_alu instid0(VALU_DEP_1) | instskip(NEXT) | instid1(VALU_DEP_1)
	v_and_b32_e32 v20, 0x7f800000, v21
	v_cmp_ne_u32_e32 vcc_lo, 0x7f800000, v20
                                        ; implicit-def: $vgpr20
	s_and_saveexec_b32 s14, vcc_lo
	s_delay_alu instid0(SALU_CYCLE_1)
	s_xor_b32 s14, exec_lo, s14
; %bb.2034:                             ;   in Loop: Header=BB12_1247 Depth=2
	v_bfe_u32 v20, v21, 16, 1
	s_delay_alu instid0(VALU_DEP_1)
	v_add3_u32 v20, v21, v20, 0x7fff
                                        ; implicit-def: $vgpr21
; %bb.2035:                             ;   in Loop: Header=BB12_1247 Depth=2
	s_and_not1_saveexec_b32 s14, s14
; %bb.2036:                             ;   in Loop: Header=BB12_1247 Depth=2
	v_and_b32_e32 v20, 0xffff, v21
	v_or_b32_e32 v22, 0x10000, v21
	s_delay_alu instid0(VALU_DEP_2) | instskip(NEXT) | instid1(VALU_DEP_2)
	v_cmp_eq_u32_e32 vcc_lo, 0, v20
	v_cndmask_b32_e32 v20, v22, v21, vcc_lo
; %bb.2037:                             ;   in Loop: Header=BB12_1247 Depth=2
	s_or_b32 exec_lo, exec_lo, s14
	v_mul_f32_e32 v19, v19, v11
	s_delay_alu instid0(VALU_DEP_1) | instskip(NEXT) | instid1(VALU_DEP_1)
	v_and_b32_e32 v11, 0x7f800000, v19
	v_cmp_ne_u32_e32 vcc_lo, 0x7f800000, v11
                                        ; implicit-def: $vgpr11
	s_and_saveexec_b32 s14, vcc_lo
	s_delay_alu instid0(SALU_CYCLE_1)
	s_xor_b32 s14, exec_lo, s14
; %bb.2038:                             ;   in Loop: Header=BB12_1247 Depth=2
	v_bfe_u32 v11, v19, 16, 1
	s_delay_alu instid0(VALU_DEP_1)
	v_add3_u32 v11, v19, v11, 0x7fff
                                        ; implicit-def: $vgpr19
; %bb.2039:                             ;   in Loop: Header=BB12_1247 Depth=2
	s_and_not1_saveexec_b32 s14, s14
; %bb.2040:                             ;   in Loop: Header=BB12_1247 Depth=2
	v_and_b32_e32 v11, 0xffff, v19
	v_or_b32_e32 v21, 0x10000, v19
	s_delay_alu instid0(VALU_DEP_2) | instskip(NEXT) | instid1(VALU_DEP_2)
	v_cmp_eq_u32_e32 vcc_lo, 0, v11
	v_cndmask_b32_e32 v11, v21, v19, vcc_lo
; %bb.2041:                             ;   in Loop: Header=BB12_1247 Depth=2
	s_or_b32 exec_lo, exec_lo, s14
	v_mul_f32_e32 v10, v10, v2
	s_delay_alu instid0(VALU_DEP_1) | instskip(NEXT) | instid1(VALU_DEP_1)
	v_and_b32_e32 v2, 0x7f800000, v10
	v_cmp_ne_u32_e32 vcc_lo, 0x7f800000, v2
                                        ; implicit-def: $vgpr2
	s_and_saveexec_b32 s14, vcc_lo
	s_delay_alu instid0(SALU_CYCLE_1)
	s_xor_b32 s14, exec_lo, s14
; %bb.2042:                             ;   in Loop: Header=BB12_1247 Depth=2
	v_bfe_u32 v2, v10, 16, 1
	s_delay_alu instid0(VALU_DEP_1)
	v_add3_u32 v2, v10, v2, 0x7fff
                                        ; implicit-def: $vgpr10
; %bb.2043:                             ;   in Loop: Header=BB12_1247 Depth=2
	s_and_not1_saveexec_b32 s14, s14
; %bb.2044:                             ;   in Loop: Header=BB12_1247 Depth=2
	v_and_b32_e32 v2, 0xffff, v10
	v_or_b32_e32 v19, 0x10000, v10
	s_delay_alu instid0(VALU_DEP_2) | instskip(NEXT) | instid1(VALU_DEP_2)
	v_cmp_eq_u32_e32 vcc_lo, 0, v2
	v_cndmask_b32_e32 v2, v19, v10, vcc_lo
; %bb.2045:                             ;   in Loop: Header=BB12_1247 Depth=2
	s_or_b32 exec_lo, exec_lo, s14
	v_dual_lshrrev_b32 v23, 16, v33 :: v_dual_lshrrev_b32 v12, 16, v12
	v_lshrrev_b32_e32 v13, 16, v13
	s_delay_alu instid0(VALU_DEP_3)
	v_dual_lshrrev_b32 v24, 16, v25 :: v_dual_lshrrev_b32 v2, 16, v2
	v_lshrrev_b32_e32 v25, 16, v31
	v_dual_lshrrev_b32 v10, 16, v11 :: v_dual_lshrrev_b32 v11, 16, v20
	v_dual_lshrrev_b32 v1, 16, v1 :: v_dual_lshrrev_b32 v0, 16, v0
	;; [unrolled: 1-line block ×5, first 2 shown]
	s_clause 0xf
	flat_store_b16 v[8:9], v12 th:TH_STORE_NT
	flat_store_b16 v[8:9], v13 offset:64 th:TH_STORE_NT
	flat_store_b16 v[8:9], v24 offset:128 th:TH_STORE_NT
	;; [unrolled: 1-line block ×15, first 2 shown]
	s_clause 0xf
	flat_store_b16 v[4:5], v12 th:TH_STORE_NT
	flat_store_b16 v[4:5], v13 offset:64 th:TH_STORE_NT
	flat_store_b16 v[4:5], v24 offset:128 th:TH_STORE_NT
	;; [unrolled: 1-line block ×15, first 2 shown]
.LBB12_2046:                            ;   in Loop: Header=BB12_1247 Depth=2
	s_wait_xcnt 0x0
	s_or_b32 exec_lo, exec_lo, s13
	v_lshlrev_b32_e32 v0, 10, v18
	s_delay_alu instid0(VALU_DEP_1)
	v_cmp_ne_u32_e32 vcc_lo, v14, v0
	s_and_b32 exec_lo, exec_lo, vcc_lo
	s_cbranch_execz .LBB12_2078
; %bb.2047:                             ;   in Loop: Header=BB12_1247 Depth=2
	v_lshlrev_b32_e32 v1, 5, v17
	s_delay_alu instid0(VALU_DEP_1) | instskip(NEXT) | instid1(VALU_DEP_1)
	v_sub_nc_u32_e32 v1, v16, v1
	v_ashrrev_i32_e32 v2, 31, v1
	s_delay_alu instid0(VALU_DEP_1) | instskip(NEXT) | instid1(VALU_DEP_1)
	v_lshrrev_b32_e32 v2, 27, v2
	v_add_nc_u32_e32 v2, v1, v2
	s_delay_alu instid0(VALU_DEP_1) | instskip(NEXT) | instid1(VALU_DEP_1)
	v_and_b32_e32 v4, 0x7fffffe0, v2
	v_dual_lshlrev_b32 v2, 1, v2 :: v_dual_sub_nc_u32 v1, v1, v4
	s_delay_alu instid0(VALU_DEP_1) | instskip(NEXT) | instid1(VALU_DEP_2)
	v_and_b32_e32 v2, 0xffffffc0, v2
	v_lshlrev_b32_e32 v1, 1, v1
	s_delay_alu instid0(VALU_DEP_1) | instskip(NEXT) | instid1(VALU_DEP_1)
	v_add3_u32 v0, v2, v1, v0
	v_sub_nc_u32_e32 v2, v14, v0
	s_delay_alu instid0(VALU_DEP_1)
	v_cmp_lt_i32_e32 vcc_lo, 1, v2
	s_and_b32 exec_lo, exec_lo, vcc_lo
	s_cbranch_execz .LBB12_2078
; %bb.2048:                             ;   in Loop: Header=BB12_1247 Depth=2
	s_trap 2
	ds_load_b128 v[8:11], v0
	v_add_nc_u32_e32 v6, v0, v15
	s_mov_b32 s78, 0
	s_mov_b32 s76, 0
                                        ; implicit-def: $sgpr77
	s_delay_alu instid0(VALU_DEP_1) | instskip(NEXT) | instid1(VALU_DEP_1)
	v_ashrrev_i32_e32 v7, 31, v6
	v_add_nc_u64_e32 v[4:5], v[44:45], v[6:7]
	v_add_nc_u64_e32 v[0:1], v[98:99], v[6:7]
	s_wait_dscnt 0x0
	v_add_nc_u64_e32 v[8:9], v[8:9], v[6:7]
	v_add_nc_u64_e32 v[10:11], v[10:11], v[6:7]
	s_branch .LBB12_2050
.LBB12_2049:                            ;   in Loop: Header=BB12_2050 Depth=3
	s_or_b32 exec_lo, exec_lo, s13
	s_delay_alu instid0(VALU_DEP_1) | instskip(SKIP_3) | instid1(SALU_CYCLE_1)
	v_cmp_gt_i32_e32 vcc_lo, 2, v2
	s_or_b32 s76, vcc_lo, s76
	s_and_not1_b32 s13, s77, exec_lo
	s_and_b32 s14, s78, exec_lo
	s_or_b32 s77, s13, s14
	s_and_not1_b32 exec_lo, exec_lo, s76
	s_cbranch_execz .LBB12_2071
.LBB12_2050:                            ;   Parent Loop BB12_47 Depth=1
                                        ;     Parent Loop BB12_1247 Depth=2
                                        ; =>    This Loop Header: Depth=3
                                        ;         Child Loop BB12_2051 Depth 4
                                        ;         Child Loop BB12_2058 Depth 4
	;; [unrolled: 1-line block ×4, first 2 shown]
	s_add_co_i32 s13, s33, 0xc0
	s_mov_b64 s[40:41], 0
	s_mov_b32 s79, s13
	s_mov_b32 s88, -1
.LBB12_2051:                            ;   Parent Loop BB12_47 Depth=1
                                        ;     Parent Loop BB12_1247 Depth=2
                                        ;       Parent Loop BB12_2050 Depth=3
                                        ; =>      This Inner Loop Header: Depth=4
	s_cmp_eq_u32 s40, 1
	s_cselect_b32 vcc_lo, -1, 0
	s_cmp_eq_u32 s40, 0
	v_dual_cndmask_b32 v7, v9, v11 :: v_dual_cndmask_b32 v6, v8, v10
	s_cselect_b32 s13, -1, 0
	s_and_b32 s14, exec_lo, s88
	s_mov_b64 s[40:41], 1
	s_mov_b32 s88, 0
	flat_load_u16 v12, v[6:7] th:TH_LOAD_NT
	s_wait_xcnt 0x0
	v_add_nc_u64_e32 v[6:7], 64, v[6:7]
	s_delay_alu instid0(VALU_DEP_1)
	v_dual_cndmask_b32 v9, v9, v7, s13 :: v_dual_cndmask_b32 v8, v8, v6, s13
	v_dual_cndmask_b32 v11, v11, v7 :: v_dual_cndmask_b32 v10, v10, v6
	s_add_co_i32 s13, s33, 0xe0
	s_mov_b32 vcc_lo, s14
	s_wait_loadcnt_dscnt 0x0
	scratch_store_b16 off, v12, s79
	s_wait_xcnt 0x0
	s_mov_b32 s79, s13
	s_cbranch_vccnz .LBB12_2051
; %bb.2052:                             ;   in Loop: Header=BB12_2050 Depth=3
	s_and_saveexec_b32 s79, s78
	s_cbranch_execz .LBB12_2060
; %bb.2053:                             ;   in Loop: Header=BB12_2050 Depth=3
	s_clause 0x1
	scratch_load_u16 v6, off, s33 offset:188
	scratch_load_u16 v7, off, s33 offset:190
	s_wait_loadcnt 0x0
	v_dual_lshlrev_b32 v6, 16, v6 :: v_dual_lshlrev_b32 v7, 16, v7
	s_delay_alu instid0(VALU_DEP_1) | instskip(NEXT) | instid1(VALU_DEP_1)
	v_mul_f32_e32 v6, v7, v6
	v_and_b32_e32 v7, 0x7f800000, v6
	s_delay_alu instid0(VALU_DEP_1) | instskip(SKIP_2) | instid1(SALU_CYCLE_1)
	v_cmp_ne_u32_e32 vcc_lo, 0x7f800000, v7
                                        ; implicit-def: $vgpr7
	s_wait_xcnt 0x0
	s_and_saveexec_b32 s13, vcc_lo
	s_xor_b32 s13, exec_lo, s13
; %bb.2054:                             ;   in Loop: Header=BB12_2050 Depth=3
	v_bfe_u32 v7, v6, 16, 1
	s_delay_alu instid0(VALU_DEP_1)
	v_add3_u32 v7, v6, v7, 0x7fff
                                        ; implicit-def: $vgpr6
; %bb.2055:                             ;   in Loop: Header=BB12_2050 Depth=3
	s_and_not1_saveexec_b32 s13, s13
; %bb.2056:                             ;   in Loop: Header=BB12_2050 Depth=3
	v_and_b32_e32 v7, 0xffff, v6
	v_or_b32_e32 v12, 0x10000, v6
	s_delay_alu instid0(VALU_DEP_2) | instskip(NEXT) | instid1(VALU_DEP_2)
	v_cmp_eq_u32_e32 vcc_lo, 0, v7
	v_cndmask_b32_e32 v7, v12, v6, vcc_lo
; %bb.2057:                             ;   in Loop: Header=BB12_2050 Depth=3
	s_or_b32 exec_lo, exec_lo, s13
	s_delay_alu instid0(VALU_DEP_1)
	v_lshrrev_b32_e32 v6, 16, v7
	s_mov_b64 s[40:41], 0
	s_mov_b32 s78, -1
	scratch_store_b16 off, v6, s33 offset:188
.LBB12_2058:                            ;   Parent Loop BB12_47 Depth=1
                                        ;     Parent Loop BB12_1247 Depth=2
                                        ;       Parent Loop BB12_2050 Depth=3
                                        ; =>      This Inner Loop Header: Depth=4
	s_cmp_eq_u32 s40, 1
	s_cselect_b32 vcc_lo, -1, 0
	s_cmp_eq_u32 s40, 0
	s_wait_xcnt 0x0
	v_dual_cndmask_b32 v13, v5, v1 :: v_dual_cndmask_b32 v12, v4, v0
	s_cselect_b32 s13, -1, 0
	s_and_b32 s14, exec_lo, s78
	s_mov_b64 s[40:41], 1
	s_mov_b32 s78, 0
	v_add_nc_u64_e32 v[14:15], 64, v[12:13]
	flat_store_b16 v[12:13], v6 th:TH_STORE_NT
	v_dual_cndmask_b32 v1, v1, v15 :: v_dual_cndmask_b32 v0, v0, v14
	v_dual_cndmask_b32 v5, v5, v15, s13 :: v_dual_cndmask_b32 v4, v4, v14, s13
	s_mov_b32 vcc_lo, s14
	s_cbranch_vccnz .LBB12_2058
; %bb.2059:                             ;   in Loop: Header=BB12_2050 Depth=3
	s_delay_alu instid0(VALU_DEP_1)
	v_add_nc_u64_e32 v[4:5], v[4:5], v[92:93]
	v_add_nc_u64_e32 v[0:1], v[0:1], v[92:93]
.LBB12_2060:                            ;   in Loop: Header=BB12_2050 Depth=3
	s_wait_xcnt 0x0
	s_or_b32 exec_lo, exec_lo, s79
	v_sub_nc_u32_e32 v2, v2, v76
	v_add_nc_u64_e32 v[8:9], v[8:9], v[92:93]
	v_add_nc_u64_e32 v[10:11], v[10:11], v[92:93]
	s_delay_alu instid0(VALU_DEP_3)
	v_cmp_lt_i32_e64 s78, 1, v2
	s_and_saveexec_b32 s79, s78
	s_cbranch_execz .LBB12_2063
; %bb.2061:                             ;   in Loop: Header=BB12_2050 Depth=3
	s_add_co_i32 s13, s33, 0xbc
	s_mov_b64 s[40:41], 0
	s_mov_b32 s88, s13
	s_mov_b32 s89, -1
.LBB12_2062:                            ;   Parent Loop BB12_47 Depth=1
                                        ;     Parent Loop BB12_1247 Depth=2
                                        ;       Parent Loop BB12_2050 Depth=3
                                        ; =>      This Inner Loop Header: Depth=4
	s_cmp_eq_u32 s40, 1
	s_cselect_b32 vcc_lo, -1, 0
	s_cmp_eq_u32 s40, 0
	v_dual_cndmask_b32 v7, v9, v11 :: v_dual_cndmask_b32 v6, v8, v10
	s_cselect_b32 s13, -1, 0
	s_and_b32 s14, exec_lo, s89
	s_mov_b64 s[40:41], 1
	s_mov_b32 s89, 0
	flat_load_u16 v12, v[6:7] th:TH_LOAD_NT
	s_wait_xcnt 0x0
	v_add_nc_u64_e32 v[6:7], 64, v[6:7]
	s_delay_alu instid0(VALU_DEP_1)
	v_dual_cndmask_b32 v9, v9, v7, s13 :: v_dual_cndmask_b32 v8, v8, v6, s13
	v_dual_cndmask_b32 v11, v11, v7 :: v_dual_cndmask_b32 v10, v10, v6
	s_add_co_i32 s13, s33, 0xbe
	s_mov_b32 vcc_lo, s14
	s_wait_loadcnt_dscnt 0x0
	scratch_store_b16 off, v12, s88
	s_wait_xcnt 0x0
	s_mov_b32 s88, s13
	s_cbranch_vccnz .LBB12_2062
.LBB12_2063:                            ;   in Loop: Header=BB12_2050 Depth=3
	s_or_b32 exec_lo, exec_lo, s79
	s_clause 0x1
	scratch_load_u16 v6, off, s33 offset:192
	scratch_load_u16 v7, off, s33 offset:224
	s_wait_loadcnt 0x0
	v_dual_lshlrev_b32 v6, 16, v6 :: v_dual_lshlrev_b32 v7, 16, v7
	s_delay_alu instid0(VALU_DEP_1) | instskip(NEXT) | instid1(VALU_DEP_1)
	v_mul_f32_e32 v6, v7, v6
	v_and_b32_e32 v7, 0x7f800000, v6
	s_delay_alu instid0(VALU_DEP_1) | instskip(SKIP_2) | instid1(SALU_CYCLE_1)
	v_cmp_ne_u32_e32 vcc_lo, 0x7f800000, v7
                                        ; implicit-def: $vgpr7
	s_wait_xcnt 0x0
	s_and_saveexec_b32 s13, vcc_lo
	s_xor_b32 s13, exec_lo, s13
; %bb.2064:                             ;   in Loop: Header=BB12_2050 Depth=3
	v_bfe_u32 v7, v6, 16, 1
	s_delay_alu instid0(VALU_DEP_1)
	v_add3_u32 v7, v6, v7, 0x7fff
                                        ; implicit-def: $vgpr6
; %bb.2065:                             ;   in Loop: Header=BB12_2050 Depth=3
	s_and_not1_saveexec_b32 s13, s13
; %bb.2066:                             ;   in Loop: Header=BB12_2050 Depth=3
	v_and_b32_e32 v7, 0xffff, v6
	v_or_b32_e32 v12, 0x10000, v6
	s_delay_alu instid0(VALU_DEP_2) | instskip(NEXT) | instid1(VALU_DEP_2)
	v_cmp_eq_u32_e32 vcc_lo, 0, v7
	v_cndmask_b32_e32 v7, v12, v6, vcc_lo
; %bb.2067:                             ;   in Loop: Header=BB12_2050 Depth=3
	s_or_b32 exec_lo, exec_lo, s13
	s_delay_alu instid0(VALU_DEP_1)
	v_lshrrev_b32_e32 v6, 16, v7
	s_mov_b64 s[40:41], 0
	s_mov_b32 s79, -1
	scratch_store_b16 off, v6, s33 offset:192
.LBB12_2068:                            ;   Parent Loop BB12_47 Depth=1
                                        ;     Parent Loop BB12_1247 Depth=2
                                        ;       Parent Loop BB12_2050 Depth=3
                                        ; =>      This Inner Loop Header: Depth=4
	s_cmp_eq_u32 s40, 1
	s_cselect_b32 vcc_lo, -1, 0
	s_cmp_eq_u32 s40, 0
	s_wait_xcnt 0x0
	v_dual_cndmask_b32 v13, v5, v1 :: v_dual_cndmask_b32 v12, v4, v0
	s_cselect_b32 s13, -1, 0
	s_and_b32 s14, exec_lo, s79
	s_mov_b64 s[40:41], 1
	s_mov_b32 s79, 0
	v_add_nc_u64_e32 v[14:15], 64, v[12:13]
	flat_store_b16 v[12:13], v6 th:TH_STORE_NT
	v_dual_cndmask_b32 v1, v1, v15 :: v_dual_cndmask_b32 v0, v0, v14
	v_dual_cndmask_b32 v5, v5, v15, s13 :: v_dual_cndmask_b32 v4, v4, v14, s13
	s_mov_b32 vcc_lo, s14
	s_cbranch_vccnz .LBB12_2068
; %bb.2069:                             ;   in Loop: Header=BB12_2050 Depth=3
	s_wait_xcnt 0x0
	s_and_saveexec_b32 s13, s78
	s_cbranch_execz .LBB12_2049
; %bb.2070:                             ;   in Loop: Header=BB12_2050 Depth=3
	v_add_nc_u64_e32 v[4:5], v[4:5], v[92:93]
	v_add_nc_u64_e32 v[0:1], v[0:1], v[92:93]
	;; [unrolled: 1-line block ×4, first 2 shown]
	v_sub_nc_u32_e32 v2, v2, v76
	s_branch .LBB12_2049
.LBB12_2071:                            ;   in Loop: Header=BB12_1247 Depth=2
	s_or_b32 exec_lo, exec_lo, s76
	s_delay_alu instid0(SALU_CYCLE_1)
	s_and_b32 exec_lo, exec_lo, s77
	s_cbranch_execz .LBB12_2078
; %bb.2072:                             ;   in Loop: Header=BB12_1247 Depth=2
	s_clause 0x1
	scratch_load_u16 v2, off, s33 offset:188
	scratch_load_u16 v6, off, s33 offset:190
	s_wait_loadcnt 0x1
	v_lshlrev_b32_e32 v2, 16, v2
	s_wait_loadcnt 0x0
	v_lshlrev_b32_e32 v6, 16, v6
	s_delay_alu instid0(VALU_DEP_1) | instskip(NEXT) | instid1(VALU_DEP_1)
	v_mul_f32_e32 v2, v6, v2
	v_and_b32_e32 v6, 0x7f800000, v2
	s_delay_alu instid0(VALU_DEP_1) | instskip(SKIP_2) | instid1(SALU_CYCLE_1)
	v_cmp_ne_u32_e32 vcc_lo, 0x7f800000, v6
                                        ; implicit-def: $vgpr6
	s_wait_xcnt 0x0
	s_and_saveexec_b32 s13, vcc_lo
	s_xor_b32 s13, exec_lo, s13
; %bb.2073:                             ;   in Loop: Header=BB12_1247 Depth=2
	v_bfe_u32 v6, v2, 16, 1
	s_delay_alu instid0(VALU_DEP_1)
	v_add3_u32 v6, v2, v6, 0x7fff
                                        ; implicit-def: $vgpr2
; %bb.2074:                             ;   in Loop: Header=BB12_1247 Depth=2
	s_and_not1_saveexec_b32 s13, s13
; %bb.2075:                             ;   in Loop: Header=BB12_1247 Depth=2
	v_and_b32_e32 v6, 0xffff, v2
	v_or_b32_e32 v7, 0x10000, v2
	s_delay_alu instid0(VALU_DEP_2) | instskip(NEXT) | instid1(VALU_DEP_2)
	v_cmp_eq_u32_e32 vcc_lo, 0, v6
	v_cndmask_b32_e32 v6, v7, v2, vcc_lo
; %bb.2076:                             ;   in Loop: Header=BB12_1247 Depth=2
	s_or_b32 exec_lo, exec_lo, s13
	s_delay_alu instid0(VALU_DEP_1)
	v_lshrrev_b32_e32 v2, 16, v6
	s_mov_b64 s[40:41], 0
	s_mov_b32 s76, -1
.LBB12_2077:                            ;   Parent Loop BB12_47 Depth=1
                                        ;     Parent Loop BB12_1247 Depth=2
                                        ; =>    This Inner Loop Header: Depth=3
	s_cmp_eq_u32 s40, 1
	s_cselect_b32 vcc_lo, -1, 0
	s_cmp_eq_u32 s40, 0
	s_wait_xcnt 0x0
	v_dual_cndmask_b32 v7, v5, v1 :: v_dual_cndmask_b32 v6, v4, v0
	s_cselect_b32 s13, -1, 0
	s_and_b32 s14, exec_lo, s76
	s_mov_b64 s[40:41], 1
	s_mov_b32 s76, 0
	v_add_nc_u64_e32 v[8:9], 64, v[6:7]
	flat_store_b16 v[6:7], v2 th:TH_STORE_NT
	v_dual_cndmask_b32 v1, v1, v9 :: v_dual_cndmask_b32 v0, v0, v8
	v_dual_cndmask_b32 v5, v5, v9, s13 :: v_dual_cndmask_b32 v4, v4, v8, s13
	s_mov_b32 vcc_lo, s14
	s_cbranch_vccnz .LBB12_2077
.LBB12_2078:                            ;   in Loop: Header=BB12_1247 Depth=2
	s_wait_xcnt 0x0
	s_or_b32 exec_lo, exec_lo, s15
	s_mov_b32 s13, 0
.LBB12_2079:                            ;   in Loop: Header=BB12_1247 Depth=2
	s_delay_alu instid0(SALU_CYCLE_1)
	s_and_b32 vcc_lo, exec_lo, s13
	s_cbranch_vccz .LBB12_2349
; %bb.2080:                             ;   in Loop: Header=BB12_1247 Depth=2
	s_mov_b32 s13, -1
	s_and_saveexec_b32 s14, s12
	s_cbranch_execz .LBB12_2082
; %bb.2081:                             ;   in Loop: Header=BB12_1247 Depth=2
	ds_load_b32 v0, v0 offset:720
	s_wait_dscnt 0x0
	v_and_b32_e32 v0, 15, v0
	s_delay_alu instid0(VALU_DEP_1)
	v_cmp_eq_u32_e32 vcc_lo, 0, v0
	s_or_not1_b32 s13, vcc_lo, exec_lo
.LBB12_2082:                            ;   in Loop: Header=BB12_1247 Depth=2
	s_or_b32 exec_lo, exec_lo, s14
	s_and_saveexec_b32 s14, s7
	s_cbranch_execz .LBB12_2084
; %bb.2083:                             ;   in Loop: Header=BB12_1247 Depth=2
	ds_load_b32 v0, v0 offset:784
	s_wait_dscnt 0x0
	v_and_b32_e32 v0, 15, v0
	s_delay_alu instid0(VALU_DEP_1) | instskip(SKIP_3) | instid1(SALU_CYCLE_1)
	v_cmp_eq_u32_e32 vcc_lo, 0, v0
	s_and_b32 s15, s13, vcc_lo
	s_and_not1_b32 s13, s13, exec_lo
	s_and_b32 s15, s15, exec_lo
	s_or_b32 s13, s13, s15
.LBB12_2084:                            ;   in Loop: Header=BB12_1247 Depth=2
	s_or_b32 exec_lo, exec_lo, s14
	s_xor_b32 s13, s13, -1
	s_delay_alu instid0(SALU_CYCLE_1) | instskip(SKIP_1) | instid1(VALU_DEP_1)
	v_cndmask_b32_e64 v0, 0, 1, s13
	s_mov_b32 s13, -1
	v_cmp_ne_u32_e32 vcc_lo, 0, v0
	s_cbranch_vccz .LBB12_2350
; %bb.2085:                             ;   in Loop: Header=BB12_1247 Depth=2
	s_mov_b32 s76, -1
	v_mov_b32_e32 v10, 0
	s_cbranch_execnz .LBB12_2351
.LBB12_2086:                            ;   in Loop: Header=BB12_1247 Depth=2
	v_ashrrev_i32_e32 v0, 31, v123
	s_mov_b32 s14, 0
	s_mov_b32 s13, exec_lo
                                        ; implicit-def: $vgpr80_vgpr81
                                        ; implicit-def: $vgpr32_vgpr33
                                        ; implicit-def: $vgpr36_vgpr37
                                        ; implicit-def: $vgpr20_vgpr21
                                        ; implicit-def: $vgpr24_vgpr25
                                        ; implicit-def: $vgpr16_vgpr17
                                        ; implicit-def: $vgpr12_vgpr13
                                        ; implicit-def: $vgpr8_vgpr9
	s_delay_alu instid0(VALU_DEP_1) | instskip(NEXT) | instid1(VALU_DEP_1)
	v_lshrrev_b32_e32 v0, 21, v0
	v_add_nc_u32_e32 v0, v123, v0
	s_delay_alu instid0(VALU_DEP_1)
	v_ashrrev_i32_e32 v31, 11, v0
	scratch_load_b32 v0, off, s33 offset:312 ; 4-byte Folded Reload
	s_wait_loadcnt 0x0
	v_sub_nc_u32_e32 v118, v31, v0
	scratch_load_b64 v[0:1], off, s33 offset:328 ; 8-byte Folded Reload
	s_wait_loadcnt 0x0
	v_add_nc_u64_e32 v[0:1], v[44:45], v[0:1]
	s_wait_xcnt 0x0
	v_cmpx_lt_i32_e32 0, v118
	s_cbranch_execz .LBB12_2353
; %bb.2087:                             ;   in Loop: Header=BB12_1247 Depth=2
	scratch_store_b64 off, v[44:45], s33 offset:360 ; 8-byte Folded Spill
	s_trap 2
	scratch_load_b64 v[8:9], off, s33 offset:328 ; 8-byte Folded Reload
	ds_load_b64 v[6:7], v0
	s_mov_b32 s40, 0
                                        ; implicit-def: $sgpr15
                                        ; implicit-def: $vgpr14_vgpr15
                                        ; implicit-def: $vgpr18_vgpr19
                                        ; implicit-def: $vgpr26_vgpr27
                                        ; implicit-def: $vgpr22_vgpr23
                                        ; implicit-def: $vgpr38_vgpr39
                                        ; implicit-def: $vgpr34_vgpr35
                                        ; implicit-def: $vgpr82_vgpr83
	s_wait_loadcnt 0x0
	v_add_nc_u64_e32 v[4:5], v[72:73], v[8:9]
	s_wait_dscnt 0x0
	v_add_nc_u64_e32 v[62:63], v[6:7], v[8:9]
                                        ; implicit-def: $vgpr10_vgpr11
	s_branch .LBB12_2089
.LBB12_2088:                            ;   in Loop: Header=BB12_2089 Depth=3
	s_or_b32 exec_lo, exec_lo, s41
	v_dual_lshrrev_b32 v48, 16, v84 :: v_dual_lshrrev_b32 v49, 16, v99
	v_lshrrev_b32_e32 v55, 16, v66
	v_dual_lshrrev_b32 v6, 16, v6 :: v_dual_lshrrev_b32 v65, 16, v100
	s_delay_alu instid0(VALU_DEP_3) | instskip(SKIP_2) | instid1(VALU_DEP_4)
	v_and_or_b32 v45, 0xffff0000, v69, v48
	v_lshrrev_b32_e32 v48, 16, v115
	v_and_or_b32 v44, 0xffff0000, v68, v49
	v_and_or_b32 v46, 0xffff0000, v7, v6
	v_dual_lshrrev_b32 v6, 16, v101 :: v_dual_lshrrev_b32 v7, 16, v98
	s_delay_alu instid0(VALU_DEP_4) | instskip(SKIP_2) | instid1(VALU_DEP_4)
	v_and_or_b32 v66, 0xffff0000, v96, v48
	v_dual_lshrrev_b32 v48, 16, v119 :: v_dual_lshrrev_b32 v2, 16, v2
	v_lshrrev_b32_e32 v49, 16, v42
	v_and_or_b32 v68, 0xffff0000, v86, v6
	v_and_or_b32 v69, 0xffff0000, v87, v7
	v_lshrrev_b32_e32 v6, 16, v64
	v_and_or_b32 v84, 0xffff0000, v112, v2
	v_dual_lshrrev_b32 v2, 16, v114 :: v_dual_lshrrev_b32 v53, 16, v53
	v_lshrrev_b32_e32 v7, 16, v70
	v_and_or_b32 v85, 0xffff0000, v113, v48
	v_and_or_b32 v86, 0xffff0000, v102, v49
	s_delay_alu instid0(VALU_DEP_4) | instskip(SKIP_4) | instid1(VALU_DEP_4)
	v_and_or_b32 v87, 0xffff0000, v103, v2
	v_dual_cndmask_b32 v2, 0, v60, s40 :: v_dual_lshrrev_b32 v54, 16, v54
	v_and_or_b32 v49, 0xffff0000, v29, v6
	v_and_or_b32 v48, 0xffff0000, v52, v7
	v_add_nc_u64_e32 v[6:7], v[4:5], v[88:89]
	v_sub_nc_u32_e32 v118, v118, v2
	v_and_or_b32 v47, 0xffff0000, v67, v55
	v_and_or_b32 v50, 0xffff0000, v50, v53
	v_cndmask_b32_e64 v53, 0, v107, s40
	v_and_or_b32 v51, 0xffff0000, v51, v54
	v_cndmask_b32_e64 v52, 0x800, v106, s40
	v_add_nc_u64_e32 v[54:55], v[62:63], v[88:89]
	v_and_or_b32 v67, 0xffff0000, v97, v65
	v_cndmask_b32_e64 v5, v5, v7, s40
	v_cmp_gt_i32_e32 vcc_lo, 1, v118
	s_clause 0x3
	global_store_b128 v[0:1], v[84:87], off th:TH_STORE_NT
	global_store_b128 v[0:1], v[66:69], off offset:512 th:TH_STORE_NT
	global_store_b128 v[0:1], v[44:47], off offset:1024 th:TH_STORE_NT
	global_store_b128 v[0:1], v[48:51], off offset:1536 th:TH_STORE_NT
	s_wait_xcnt 0x0
	v_add_nc_u64_e32 v[0:1], v[0:1], v[52:53]
	v_dual_cndmask_b32 v4, v4, v6, s40 :: v_dual_cndmask_b32 v63, v63, v55, s40
	v_cndmask_b32_e64 v62, v62, v54, s40
	s_or_b32 s14, vcc_lo, s14
	s_and_not1_b32 s15, s15, exec_lo
	s_and_b32 s41, s40, exec_lo
	s_delay_alu instid0(SALU_CYCLE_1)
	s_or_b32 s15, s15, s41
	s_and_not1_b32 exec_lo, exec_lo, s14
	s_cbranch_execz .LBB12_2352
.LBB12_2089:                            ;   Parent Loop BB12_47 Depth=1
                                        ;     Parent Loop BB12_1247 Depth=2
                                        ; =>    This Inner Loop Header: Depth=3
	s_clause 0x3
	global_load_b128 v[100:103], v[4:5], off th:TH_LOAD_NT
	global_load_b128 v[84:87], v[4:5], off offset:512 th:TH_LOAD_NT
	global_load_b128 v[64:67], v[4:5], off offset:1024 th:TH_LOAD_NT
	global_load_b128 v[48:51], v[4:5], off offset:1536 th:TH_LOAD_NT
	s_clause 0x3
	global_load_b128 v[112:115], v[62:63], off th:TH_LOAD_NT
	global_load_b128 v[96:99], v[62:63], off offset:512 th:TH_LOAD_NT
	global_load_b128 v[68:71], v[62:63], off offset:1024 th:TH_LOAD_NT
	;; [unrolled: 1-line block ×3, first 2 shown]
	s_wait_xcnt 0x0
	s_and_saveexec_b32 s41, s40
	s_cbranch_execz .LBB12_2219
; %bb.2090:                             ;   in Loop: Header=BB12_2089 Depth=3
	v_lshlrev_b32_e32 v2, 16, v80
	v_lshlrev_b32_e32 v6, 16, v32
	s_mov_b32 s40, exec_lo
                                        ; implicit-def: $vgpr119
	s_delay_alu instid0(VALU_DEP_1) | instskip(NEXT) | instid1(VALU_DEP_1)
	v_mul_f32_e32 v2, v2, v6
	v_and_b32_e32 v6, 0x7f800000, v2
	s_delay_alu instid0(VALU_DEP_1)
	v_cmpx_ne_u32_e32 0x7f800000, v6
	s_xor_b32 s40, exec_lo, s40
; %bb.2091:                             ;   in Loop: Header=BB12_2089 Depth=3
	v_bfe_u32 v6, v2, 16, 1
	s_delay_alu instid0(VALU_DEP_1)
	v_add3_u32 v119, v2, v6, 0x7fff
                                        ; implicit-def: $vgpr2
; %bb.2092:                             ;   in Loop: Header=BB12_2089 Depth=3
	s_and_not1_saveexec_b32 s40, s40
; %bb.2093:                             ;   in Loop: Header=BB12_2089 Depth=3
	v_and_b32_e32 v6, 0xffff, v2
	v_or_b32_e32 v7, 0x10000, v2
	s_delay_alu instid0(VALU_DEP_2) | instskip(NEXT) | instid1(VALU_DEP_2)
	v_cmp_eq_u32_e32 vcc_lo, 0, v6
	v_cndmask_b32_e32 v119, v7, v2, vcc_lo
; %bb.2094:                             ;   in Loop: Header=BB12_2089 Depth=3
	s_or_b32 exec_lo, exec_lo, s40
	v_and_b32_e32 v7, 0xffff0000, v80
	v_and_b32_e32 v6, 0xffff0000, v32
	s_delay_alu instid0(VALU_DEP_2) | instskip(NEXT) | instid1(VALU_DEP_1)
	v_mov_b32_e32 v2, v7
	v_pk_mul_f32 v[110:111], v[2:3], v[6:7]
	s_delay_alu instid0(VALU_DEP_1) | instskip(NEXT) | instid1(VALU_DEP_1)
	v_and_b32_e32 v2, 0x7f800000, v110
	v_cmp_ne_u32_e32 vcc_lo, 0x7f800000, v2
                                        ; implicit-def: $vgpr2
	s_and_saveexec_b32 s40, vcc_lo
	s_delay_alu instid0(SALU_CYCLE_1)
	s_xor_b32 s40, exec_lo, s40
; %bb.2095:                             ;   in Loop: Header=BB12_2089 Depth=3
	v_bfe_u32 v2, v110, 16, 1
	s_delay_alu instid0(VALU_DEP_1)
	v_add3_u32 v2, v110, v2, 0x7fff
                                        ; implicit-def: $vgpr110_vgpr111
; %bb.2096:                             ;   in Loop: Header=BB12_2089 Depth=3
	s_and_not1_saveexec_b32 s40, s40
; %bb.2097:                             ;   in Loop: Header=BB12_2089 Depth=3
	v_and_b32_e32 v2, 0xffff, v110
	v_or_b32_e32 v6, 0x10000, v110
	s_delay_alu instid0(VALU_DEP_2) | instskip(NEXT) | instid1(VALU_DEP_2)
	v_cmp_eq_u32_e32 vcc_lo, 0, v2
	v_cndmask_b32_e32 v2, v6, v110, vcc_lo
; %bb.2098:                             ;   in Loop: Header=BB12_2089 Depth=3
	s_or_b32 exec_lo, exec_lo, s40
	v_lshlrev_b32_e32 v6, 16, v33
	v_lshlrev_b32_e32 v7, 16, v81
	s_mov_b32 s40, exec_lo
                                        ; implicit-def: $vgpr42
	s_delay_alu instid0(VALU_DEP_1) | instskip(NEXT) | instid1(VALU_DEP_1)
	v_mul_f32_e32 v6, v7, v6
	v_and_b32_e32 v7, 0x7f800000, v6
	s_delay_alu instid0(VALU_DEP_1)
	v_cmpx_ne_u32_e32 0x7f800000, v7
	s_xor_b32 s40, exec_lo, s40
; %bb.2099:                             ;   in Loop: Header=BB12_2089 Depth=3
	v_bfe_u32 v7, v6, 16, 1
	s_delay_alu instid0(VALU_DEP_1)
	v_add3_u32 v42, v6, v7, 0x7fff
                                        ; implicit-def: $vgpr6
; %bb.2100:                             ;   in Loop: Header=BB12_2089 Depth=3
	s_and_not1_saveexec_b32 s40, s40
; %bb.2101:                             ;   in Loop: Header=BB12_2089 Depth=3
	v_and_b32_e32 v7, 0xffff, v6
	v_or_b32_e32 v29, 0x10000, v6
	s_delay_alu instid0(VALU_DEP_2) | instskip(NEXT) | instid1(VALU_DEP_2)
	v_cmp_eq_u32_e32 vcc_lo, 0, v7
	v_cndmask_b32_e32 v42, v29, v6, vcc_lo
; %bb.2102:                             ;   in Loop: Header=BB12_2089 Depth=3
	s_or_b32 exec_lo, exec_lo, s40
	v_and_b32_e32 v7, 0xffff0000, v81
	v_and_b32_e32 v6, 0xffff0000, v33
	s_mov_b32 s40, exec_lo
                                        ; implicit-def: $vgpr43
	s_delay_alu instid0(VALU_DEP_2) | instskip(NEXT) | instid1(VALU_DEP_1)
	v_mov_b32_e32 v80, v7
	v_pk_mul_f32 v[80:81], v[80:81], v[6:7]
	s_delay_alu instid0(VALU_DEP_1) | instskip(NEXT) | instid1(VALU_DEP_1)
	v_and_b32_e32 v6, 0x7f800000, v80
	v_cmpx_ne_u32_e32 0x7f800000, v6
	s_xor_b32 s40, exec_lo, s40
; %bb.2103:                             ;   in Loop: Header=BB12_2089 Depth=3
	v_bfe_u32 v6, v80, 16, 1
	s_delay_alu instid0(VALU_DEP_1)
	v_add3_u32 v43, v80, v6, 0x7fff
                                        ; implicit-def: $vgpr80_vgpr81
; %bb.2104:                             ;   in Loop: Header=BB12_2089 Depth=3
	s_and_not1_saveexec_b32 s40, s40
; %bb.2105:                             ;   in Loop: Header=BB12_2089 Depth=3
	v_and_b32_e32 v6, 0xffff, v80
	v_or_b32_e32 v7, 0x10000, v80
	s_delay_alu instid0(VALU_DEP_2) | instskip(NEXT) | instid1(VALU_DEP_2)
	v_cmp_eq_u32_e32 vcc_lo, 0, v6
	v_cndmask_b32_e32 v43, v7, v80, vcc_lo
; %bb.2106:                             ;   in Loop: Header=BB12_2089 Depth=3
	s_or_b32 exec_lo, exec_lo, s40
	v_lshlrev_b32_e32 v6, 16, v82
	v_lshlrev_b32_e32 v7, 16, v34
	s_mov_b32 s40, exec_lo
                                        ; implicit-def: $vgpr75
	s_delay_alu instid0(VALU_DEP_1) | instskip(NEXT) | instid1(VALU_DEP_1)
	v_mul_f32_e32 v6, v6, v7
	v_and_b32_e32 v7, 0x7f800000, v6
	s_delay_alu instid0(VALU_DEP_1)
	v_cmpx_ne_u32_e32 0x7f800000, v7
	s_xor_b32 s40, exec_lo, s40
; %bb.2107:                             ;   in Loop: Header=BB12_2089 Depth=3
	v_bfe_u32 v7, v6, 16, 1
	s_delay_alu instid0(VALU_DEP_1)
	v_add3_u32 v75, v6, v7, 0x7fff
                                        ; implicit-def: $vgpr6
; %bb.2108:                             ;   in Loop: Header=BB12_2089 Depth=3
	s_and_not1_saveexec_b32 s40, s40
; %bb.2109:                             ;   in Loop: Header=BB12_2089 Depth=3
	v_and_b32_e32 v7, 0xffff, v6
	v_or_b32_e32 v29, 0x10000, v6
	s_delay_alu instid0(VALU_DEP_2) | instskip(NEXT) | instid1(VALU_DEP_2)
	v_cmp_eq_u32_e32 vcc_lo, 0, v7
	v_cndmask_b32_e32 v75, v29, v6, vcc_lo
; %bb.2110:                             ;   in Loop: Header=BB12_2089 Depth=3
	s_or_b32 exec_lo, exec_lo, s40
	v_and_b32_e32 v7, 0xffff0000, v82
	v_and_b32_e32 v6, 0xffff0000, v34
	s_mov_b32 s40, exec_lo
                                        ; implicit-def: $vgpr82
	s_delay_alu instid0(VALU_DEP_2) | instskip(NEXT) | instid1(VALU_DEP_1)
	v_mov_b32_e32 v80, v7
	v_pk_mul_f32 v[80:81], v[80:81], v[6:7]
	s_delay_alu instid0(VALU_DEP_1) | instskip(NEXT) | instid1(VALU_DEP_1)
	v_and_b32_e32 v6, 0x7f800000, v80
	v_cmpx_ne_u32_e32 0x7f800000, v6
	s_xor_b32 s40, exec_lo, s40
; %bb.2111:                             ;   in Loop: Header=BB12_2089 Depth=3
	v_bfe_u32 v6, v80, 16, 1
	s_delay_alu instid0(VALU_DEP_1)
	v_add3_u32 v82, v80, v6, 0x7fff
                                        ; implicit-def: $vgpr80_vgpr81
; %bb.2112:                             ;   in Loop: Header=BB12_2089 Depth=3
	s_and_not1_saveexec_b32 s40, s40
; %bb.2113:                             ;   in Loop: Header=BB12_2089 Depth=3
	v_and_b32_e32 v6, 0xffff, v80
	v_or_b32_e32 v7, 0x10000, v80
	s_delay_alu instid0(VALU_DEP_2) | instskip(NEXT) | instid1(VALU_DEP_2)
	v_cmp_eq_u32_e32 vcc_lo, 0, v6
	v_cndmask_b32_e32 v82, v7, v80, vcc_lo
; %bb.2114:                             ;   in Loop: Header=BB12_2089 Depth=3
	s_or_b32 exec_lo, exec_lo, s40
	v_lshlrev_b32_e32 v6, 16, v35
	v_lshlrev_b32_e32 v7, 16, v83
	s_mov_b32 s40, exec_lo
                                        ; implicit-def: $vgpr77
	s_delay_alu instid0(VALU_DEP_1) | instskip(NEXT) | instid1(VALU_DEP_1)
	v_mul_f32_e32 v6, v7, v6
	v_and_b32_e32 v7, 0x7f800000, v6
	s_delay_alu instid0(VALU_DEP_1)
	v_cmpx_ne_u32_e32 0x7f800000, v7
	s_xor_b32 s40, exec_lo, s40
; %bb.2115:                             ;   in Loop: Header=BB12_2089 Depth=3
	v_bfe_u32 v7, v6, 16, 1
	s_delay_alu instid0(VALU_DEP_1)
	v_add3_u32 v77, v6, v7, 0x7fff
                                        ; implicit-def: $vgpr6
; %bb.2116:                             ;   in Loop: Header=BB12_2089 Depth=3
	s_and_not1_saveexec_b32 s40, s40
; %bb.2117:                             ;   in Loop: Header=BB12_2089 Depth=3
	v_and_b32_e32 v7, 0xffff, v6
	v_or_b32_e32 v29, 0x10000, v6
	s_delay_alu instid0(VALU_DEP_2) | instskip(NEXT) | instid1(VALU_DEP_2)
	v_cmp_eq_u32_e32 vcc_lo, 0, v7
	v_cndmask_b32_e32 v77, v29, v6, vcc_lo
; %bb.2118:                             ;   in Loop: Header=BB12_2089 Depth=3
	s_or_b32 exec_lo, exec_lo, s40
	v_and_b32_e32 v7, 0xffff0000, v83
	v_and_b32_e32 v6, 0xffff0000, v35
	s_mov_b32 s40, exec_lo
                                        ; implicit-def: $vgpr83
	s_delay_alu instid0(VALU_DEP_2) | instskip(NEXT) | instid1(VALU_DEP_1)
	v_mov_b32_e32 v80, v7
	v_pk_mul_f32 v[80:81], v[80:81], v[6:7]
	s_delay_alu instid0(VALU_DEP_1) | instskip(NEXT) | instid1(VALU_DEP_1)
	v_and_b32_e32 v6, 0x7f800000, v80
	v_cmpx_ne_u32_e32 0x7f800000, v6
	s_xor_b32 s40, exec_lo, s40
; %bb.2119:                             ;   in Loop: Header=BB12_2089 Depth=3
	v_bfe_u32 v6, v80, 16, 1
	s_delay_alu instid0(VALU_DEP_1)
	v_add3_u32 v83, v80, v6, 0x7fff
                                        ; implicit-def: $vgpr80_vgpr81
; %bb.2120:                             ;   in Loop: Header=BB12_2089 Depth=3
	s_and_not1_saveexec_b32 s40, s40
; %bb.2121:                             ;   in Loop: Header=BB12_2089 Depth=3
	v_and_b32_e32 v6, 0xffff, v80
	v_or_b32_e32 v7, 0x10000, v80
	s_delay_alu instid0(VALU_DEP_2) | instskip(NEXT) | instid1(VALU_DEP_2)
	v_cmp_eq_u32_e32 vcc_lo, 0, v6
	v_cndmask_b32_e32 v83, v7, v80, vcc_lo
; %bb.2122:                             ;   in Loop: Header=BB12_2089 Depth=3
	s_or_b32 exec_lo, exec_lo, s40
	v_lshlrev_b32_e32 v6, 16, v36
	v_lshlrev_b32_e32 v7, 16, v20
	s_mov_b32 s40, exec_lo
                                        ; implicit-def: $vgpr110
	s_delay_alu instid0(VALU_DEP_1) | instskip(NEXT) | instid1(VALU_DEP_1)
	v_mul_f32_e32 v6, v6, v7
	v_and_b32_e32 v7, 0x7f800000, v6
	s_delay_alu instid0(VALU_DEP_1)
	v_cmpx_ne_u32_e32 0x7f800000, v7
	s_xor_b32 s40, exec_lo, s40
; %bb.2123:                             ;   in Loop: Header=BB12_2089 Depth=3
	v_bfe_u32 v7, v6, 16, 1
	s_delay_alu instid0(VALU_DEP_1)
	v_add3_u32 v110, v6, v7, 0x7fff
                                        ; implicit-def: $vgpr6
; %bb.2124:                             ;   in Loop: Header=BB12_2089 Depth=3
	s_and_not1_saveexec_b32 s40, s40
; %bb.2125:                             ;   in Loop: Header=BB12_2089 Depth=3
	v_and_b32_e32 v7, 0xffff, v6
	v_or_b32_e32 v29, 0x10000, v6
	s_delay_alu instid0(VALU_DEP_2) | instskip(NEXT) | instid1(VALU_DEP_2)
	v_cmp_eq_u32_e32 vcc_lo, 0, v7
	v_cndmask_b32_e32 v110, v29, v6, vcc_lo
; %bb.2126:                             ;   in Loop: Header=BB12_2089 Depth=3
	s_or_b32 exec_lo, exec_lo, s40
	v_and_b32_e32 v7, 0xffff0000, v36
	v_and_b32_e32 v6, 0xffff0000, v20
	s_mov_b32 s40, exec_lo
                                        ; implicit-def: $vgpr94
	s_delay_alu instid0(VALU_DEP_2) | instskip(NEXT) | instid1(VALU_DEP_1)
	v_mov_b32_e32 v36, v7
	v_pk_mul_f32 v[80:81], v[36:37], v[6:7]
	s_delay_alu instid0(VALU_DEP_1) | instskip(NEXT) | instid1(VALU_DEP_1)
	v_and_b32_e32 v6, 0x7f800000, v80
	v_cmpx_ne_u32_e32 0x7f800000, v6
	s_xor_b32 s40, exec_lo, s40
; %bb.2127:                             ;   in Loop: Header=BB12_2089 Depth=3
	v_bfe_u32 v6, v80, 16, 1
	s_delay_alu instid0(VALU_DEP_1)
	v_add3_u32 v94, v80, v6, 0x7fff
                                        ; implicit-def: $vgpr80_vgpr81
; %bb.2128:                             ;   in Loop: Header=BB12_2089 Depth=3
	s_and_not1_saveexec_b32 s40, s40
; %bb.2129:                             ;   in Loop: Header=BB12_2089 Depth=3
	v_and_b32_e32 v6, 0xffff, v80
	v_or_b32_e32 v7, 0x10000, v80
	s_delay_alu instid0(VALU_DEP_2) | instskip(NEXT) | instid1(VALU_DEP_2)
	v_cmp_eq_u32_e32 vcc_lo, 0, v6
	v_cndmask_b32_e32 v94, v7, v80, vcc_lo
; %bb.2130:                             ;   in Loop: Header=BB12_2089 Depth=3
	s_or_b32 exec_lo, exec_lo, s40
	v_lshlrev_b32_e32 v6, 16, v21
	v_lshlrev_b32_e32 v7, 16, v37
	s_mov_b32 s40, exec_lo
                                        ; implicit-def: $vgpr80
	s_delay_alu instid0(VALU_DEP_1) | instskip(NEXT) | instid1(VALU_DEP_1)
	v_mul_f32_e32 v6, v7, v6
	v_and_b32_e32 v7, 0x7f800000, v6
	s_delay_alu instid0(VALU_DEP_1)
	v_cmpx_ne_u32_e32 0x7f800000, v7
	s_xor_b32 s40, exec_lo, s40
; %bb.2131:                             ;   in Loop: Header=BB12_2089 Depth=3
	v_bfe_u32 v7, v6, 16, 1
	s_delay_alu instid0(VALU_DEP_1)
	v_add3_u32 v80, v6, v7, 0x7fff
                                        ; implicit-def: $vgpr6
; %bb.2132:                             ;   in Loop: Header=BB12_2089 Depth=3
	s_and_not1_saveexec_b32 s40, s40
; %bb.2133:                             ;   in Loop: Header=BB12_2089 Depth=3
	v_and_b32_e32 v7, 0xffff, v6
	v_or_b32_e32 v29, 0x10000, v6
	s_delay_alu instid0(VALU_DEP_2) | instskip(NEXT) | instid1(VALU_DEP_2)
	v_cmp_eq_u32_e32 vcc_lo, 0, v7
	v_cndmask_b32_e32 v80, v29, v6, vcc_lo
; %bb.2134:                             ;   in Loop: Header=BB12_2089 Depth=3
	s_or_b32 exec_lo, exec_lo, s40
	v_and_b32_e32 v7, 0xffff0000, v37
	v_and_b32_e32 v6, 0xffff0000, v21
	s_mov_b32 s40, exec_lo
                                        ; implicit-def: $vgpr81
	s_delay_alu instid0(VALU_DEP_2) | instskip(NEXT) | instid1(VALU_DEP_1)
	v_mov_b32_e32 v36, v7
	v_pk_mul_f32 v[36:37], v[36:37], v[6:7]
	s_delay_alu instid0(VALU_DEP_1) | instskip(NEXT) | instid1(VALU_DEP_1)
	v_and_b32_e32 v6, 0x7f800000, v36
	v_cmpx_ne_u32_e32 0x7f800000, v6
	s_xor_b32 s40, exec_lo, s40
; %bb.2135:                             ;   in Loop: Header=BB12_2089 Depth=3
	v_bfe_u32 v6, v36, 16, 1
	s_delay_alu instid0(VALU_DEP_1)
	v_add3_u32 v81, v36, v6, 0x7fff
                                        ; implicit-def: $vgpr36_vgpr37
; %bb.2136:                             ;   in Loop: Header=BB12_2089 Depth=3
	s_and_not1_saveexec_b32 s40, s40
; %bb.2137:                             ;   in Loop: Header=BB12_2089 Depth=3
	v_and_b32_e32 v6, 0xffff, v36
	v_or_b32_e32 v7, 0x10000, v36
	s_delay_alu instid0(VALU_DEP_2) | instskip(NEXT) | instid1(VALU_DEP_2)
	v_cmp_eq_u32_e32 vcc_lo, 0, v6
	v_cndmask_b32_e32 v81, v7, v36, vcc_lo
; %bb.2138:                             ;   in Loop: Header=BB12_2089 Depth=3
	s_or_b32 exec_lo, exec_lo, s40
	v_lshlrev_b32_e32 v6, 16, v38
	v_lshlrev_b32_e32 v7, 16, v22
	s_mov_b32 s40, exec_lo
                                        ; implicit-def: $vgpr95
	s_delay_alu instid0(VALU_DEP_1) | instskip(NEXT) | instid1(VALU_DEP_1)
	v_mul_f32_e32 v6, v6, v7
	v_and_b32_e32 v7, 0x7f800000, v6
	s_delay_alu instid0(VALU_DEP_1)
	v_cmpx_ne_u32_e32 0x7f800000, v7
	s_xor_b32 s40, exec_lo, s40
; %bb.2139:                             ;   in Loop: Header=BB12_2089 Depth=3
	v_bfe_u32 v7, v6, 16, 1
	s_delay_alu instid0(VALU_DEP_1)
	v_add3_u32 v95, v6, v7, 0x7fff
                                        ; implicit-def: $vgpr6
; %bb.2140:                             ;   in Loop: Header=BB12_2089 Depth=3
	s_and_not1_saveexec_b32 s40, s40
; %bb.2141:                             ;   in Loop: Header=BB12_2089 Depth=3
	v_and_b32_e32 v7, 0xffff, v6
	v_or_b32_e32 v29, 0x10000, v6
	s_delay_alu instid0(VALU_DEP_2) | instskip(NEXT) | instid1(VALU_DEP_2)
	v_cmp_eq_u32_e32 vcc_lo, 0, v7
	v_cndmask_b32_e32 v95, v29, v6, vcc_lo
; %bb.2142:                             ;   in Loop: Header=BB12_2089 Depth=3
	s_or_b32 exec_lo, exec_lo, s40
	v_and_b32_e32 v7, 0xffff0000, v38
	v_and_b32_e32 v6, 0xffff0000, v22
	s_mov_b32 s40, exec_lo
                                        ; implicit-def: $vgpr38
	s_delay_alu instid0(VALU_DEP_2) | instskip(NEXT) | instid1(VALU_DEP_1)
	v_mov_b32_e32 v36, v7
	v_pk_mul_f32 v[36:37], v[36:37], v[6:7]
	s_delay_alu instid0(VALU_DEP_1) | instskip(NEXT) | instid1(VALU_DEP_1)
	v_and_b32_e32 v6, 0x7f800000, v36
	v_cmpx_ne_u32_e32 0x7f800000, v6
	s_xor_b32 s40, exec_lo, s40
; %bb.2143:                             ;   in Loop: Header=BB12_2089 Depth=3
	v_bfe_u32 v6, v36, 16, 1
	s_delay_alu instid0(VALU_DEP_1)
	v_add3_u32 v38, v36, v6, 0x7fff
                                        ; implicit-def: $vgpr36_vgpr37
; %bb.2144:                             ;   in Loop: Header=BB12_2089 Depth=3
	s_and_not1_saveexec_b32 s40, s40
; %bb.2145:                             ;   in Loop: Header=BB12_2089 Depth=3
	v_and_b32_e32 v6, 0xffff, v36
	v_or_b32_e32 v7, 0x10000, v36
	s_delay_alu instid0(VALU_DEP_2) | instskip(NEXT) | instid1(VALU_DEP_2)
	v_cmp_eq_u32_e32 vcc_lo, 0, v6
	v_cndmask_b32_e32 v38, v7, v36, vcc_lo
; %bb.2146:                             ;   in Loop: Header=BB12_2089 Depth=3
	s_or_b32 exec_lo, exec_lo, s40
	v_lshlrev_b32_e32 v6, 16, v23
	v_lshlrev_b32_e32 v7, 16, v39
	s_mov_b32 s40, exec_lo
                                        ; implicit-def: $vgpr108
	s_delay_alu instid0(VALU_DEP_1) | instskip(NEXT) | instid1(VALU_DEP_1)
	v_mul_f32_e32 v6, v7, v6
	v_and_b32_e32 v7, 0x7f800000, v6
	s_delay_alu instid0(VALU_DEP_1)
	v_cmpx_ne_u32_e32 0x7f800000, v7
	s_xor_b32 s40, exec_lo, s40
; %bb.2147:                             ;   in Loop: Header=BB12_2089 Depth=3
	v_bfe_u32 v7, v6, 16, 1
	s_delay_alu instid0(VALU_DEP_1)
	v_add3_u32 v108, v6, v7, 0x7fff
                                        ; implicit-def: $vgpr6
; %bb.2148:                             ;   in Loop: Header=BB12_2089 Depth=3
	s_and_not1_saveexec_b32 s40, s40
; %bb.2149:                             ;   in Loop: Header=BB12_2089 Depth=3
	v_and_b32_e32 v7, 0xffff, v6
	v_or_b32_e32 v29, 0x10000, v6
	s_delay_alu instid0(VALU_DEP_2) | instskip(NEXT) | instid1(VALU_DEP_2)
	v_cmp_eq_u32_e32 vcc_lo, 0, v7
	v_cndmask_b32_e32 v108, v29, v6, vcc_lo
; %bb.2150:                             ;   in Loop: Header=BB12_2089 Depth=3
	s_or_b32 exec_lo, exec_lo, s40
	v_and_b32_e32 v7, 0xffff0000, v39
	v_and_b32_e32 v6, 0xffff0000, v23
	s_mov_b32 s40, exec_lo
                                        ; implicit-def: $vgpr39
	s_delay_alu instid0(VALU_DEP_2) | instskip(NEXT) | instid1(VALU_DEP_1)
	v_mov_b32_e32 v36, v7
	v_pk_mul_f32 v[36:37], v[36:37], v[6:7]
	s_delay_alu instid0(VALU_DEP_1) | instskip(NEXT) | instid1(VALU_DEP_1)
	v_and_b32_e32 v6, 0x7f800000, v36
	v_cmpx_ne_u32_e32 0x7f800000, v6
	s_xor_b32 s40, exec_lo, s40
; %bb.2151:                             ;   in Loop: Header=BB12_2089 Depth=3
	v_bfe_u32 v6, v36, 16, 1
	s_delay_alu instid0(VALU_DEP_1)
	v_add3_u32 v39, v36, v6, 0x7fff
                                        ; implicit-def: $vgpr36_vgpr37
; %bb.2152:                             ;   in Loop: Header=BB12_2089 Depth=3
	s_and_not1_saveexec_b32 s40, s40
; %bb.2153:                             ;   in Loop: Header=BB12_2089 Depth=3
	v_and_b32_e32 v6, 0xffff, v36
	v_or_b32_e32 v7, 0x10000, v36
	s_delay_alu instid0(VALU_DEP_2) | instskip(NEXT) | instid1(VALU_DEP_2)
	v_cmp_eq_u32_e32 vcc_lo, 0, v6
	v_cndmask_b32_e32 v39, v7, v36, vcc_lo
; %bb.2154:                             ;   in Loop: Header=BB12_2089 Depth=3
	s_or_b32 exec_lo, exec_lo, s40
	v_lshlrev_b32_e32 v6, 16, v24
	v_lshlrev_b32_e32 v7, 16, v16
	s_mov_b32 s40, exec_lo
                                        ; implicit-def: $vgpr109
	s_delay_alu instid0(VALU_DEP_1) | instskip(NEXT) | instid1(VALU_DEP_1)
	v_mul_f32_e32 v6, v6, v7
	v_and_b32_e32 v7, 0x7f800000, v6
	s_delay_alu instid0(VALU_DEP_1)
	v_cmpx_ne_u32_e32 0x7f800000, v7
	s_xor_b32 s40, exec_lo, s40
; %bb.2155:                             ;   in Loop: Header=BB12_2089 Depth=3
	v_bfe_u32 v7, v6, 16, 1
	s_delay_alu instid0(VALU_DEP_1)
	v_add3_u32 v109, v6, v7, 0x7fff
                                        ; implicit-def: $vgpr6
; %bb.2156:                             ;   in Loop: Header=BB12_2089 Depth=3
	s_and_not1_saveexec_b32 s40, s40
; %bb.2157:                             ;   in Loop: Header=BB12_2089 Depth=3
	v_and_b32_e32 v7, 0xffff, v6
	v_or_b32_e32 v29, 0x10000, v6
	s_delay_alu instid0(VALU_DEP_2) | instskip(NEXT) | instid1(VALU_DEP_2)
	v_cmp_eq_u32_e32 vcc_lo, 0, v7
	v_cndmask_b32_e32 v109, v29, v6, vcc_lo
; %bb.2158:                             ;   in Loop: Header=BB12_2089 Depth=3
	s_or_b32 exec_lo, exec_lo, s40
	v_and_b32_e32 v7, 0xffff0000, v24
	v_and_b32_e32 v6, 0xffff0000, v16
	s_mov_b32 s40, exec_lo
                                        ; implicit-def: $vgpr46
	s_delay_alu instid0(VALU_DEP_2) | instskip(NEXT) | instid1(VALU_DEP_1)
	v_mov_b32_e32 v24, v7
	v_pk_mul_f32 v[36:37], v[24:25], v[6:7]
	s_delay_alu instid0(VALU_DEP_1) | instskip(NEXT) | instid1(VALU_DEP_1)
	v_and_b32_e32 v6, 0x7f800000, v36
	v_cmpx_ne_u32_e32 0x7f800000, v6
	s_xor_b32 s40, exec_lo, s40
; %bb.2159:                             ;   in Loop: Header=BB12_2089 Depth=3
	v_bfe_u32 v6, v36, 16, 1
	s_delay_alu instid0(VALU_DEP_1)
	v_add3_u32 v46, v36, v6, 0x7fff
                                        ; implicit-def: $vgpr36_vgpr37
; %bb.2160:                             ;   in Loop: Header=BB12_2089 Depth=3
	s_and_not1_saveexec_b32 s40, s40
; %bb.2161:                             ;   in Loop: Header=BB12_2089 Depth=3
	v_and_b32_e32 v6, 0xffff, v36
	v_or_b32_e32 v7, 0x10000, v36
	s_delay_alu instid0(VALU_DEP_2) | instskip(NEXT) | instid1(VALU_DEP_2)
	v_cmp_eq_u32_e32 vcc_lo, 0, v6
	v_cndmask_b32_e32 v46, v7, v36, vcc_lo
; %bb.2162:                             ;   in Loop: Header=BB12_2089 Depth=3
	s_or_b32 exec_lo, exec_lo, s40
	v_lshlrev_b32_e32 v6, 16, v17
	v_lshlrev_b32_e32 v7, 16, v25
	s_mov_b32 s40, exec_lo
                                        ; implicit-def: $vgpr36
	s_delay_alu instid0(VALU_DEP_1) | instskip(NEXT) | instid1(VALU_DEP_1)
	v_mul_f32_e32 v6, v7, v6
	v_and_b32_e32 v7, 0x7f800000, v6
	s_delay_alu instid0(VALU_DEP_1)
	v_cmpx_ne_u32_e32 0x7f800000, v7
	s_xor_b32 s40, exec_lo, s40
; %bb.2163:                             ;   in Loop: Header=BB12_2089 Depth=3
	v_bfe_u32 v7, v6, 16, 1
	s_delay_alu instid0(VALU_DEP_1)
	v_add3_u32 v36, v6, v7, 0x7fff
                                        ; implicit-def: $vgpr6
; %bb.2164:                             ;   in Loop: Header=BB12_2089 Depth=3
	s_and_not1_saveexec_b32 s40, s40
; %bb.2165:                             ;   in Loop: Header=BB12_2089 Depth=3
	v_and_b32_e32 v7, 0xffff, v6
	v_or_b32_e32 v24, 0x10000, v6
	s_delay_alu instid0(VALU_DEP_2) | instskip(NEXT) | instid1(VALU_DEP_2)
	v_cmp_eq_u32_e32 vcc_lo, 0, v7
	v_cndmask_b32_e32 v36, v24, v6, vcc_lo
; %bb.2166:                             ;   in Loop: Header=BB12_2089 Depth=3
	s_or_b32 exec_lo, exec_lo, s40
	v_and_b32_e32 v7, 0xffff0000, v25
	v_and_b32_e32 v6, 0xffff0000, v17
	s_mov_b32 s40, exec_lo
                                        ; implicit-def: $vgpr37
	s_delay_alu instid0(VALU_DEP_2) | instskip(NEXT) | instid1(VALU_DEP_1)
	v_mov_b32_e32 v24, v7
	v_pk_mul_f32 v[24:25], v[24:25], v[6:7]
	s_delay_alu instid0(VALU_DEP_1) | instskip(NEXT) | instid1(VALU_DEP_1)
	v_and_b32_e32 v6, 0x7f800000, v24
	v_cmpx_ne_u32_e32 0x7f800000, v6
	s_xor_b32 s40, exec_lo, s40
; %bb.2167:                             ;   in Loop: Header=BB12_2089 Depth=3
	v_bfe_u32 v6, v24, 16, 1
	s_delay_alu instid0(VALU_DEP_1)
	v_add3_u32 v37, v24, v6, 0x7fff
                                        ; implicit-def: $vgpr24_vgpr25
; %bb.2168:                             ;   in Loop: Header=BB12_2089 Depth=3
	s_and_not1_saveexec_b32 s40, s40
; %bb.2169:                             ;   in Loop: Header=BB12_2089 Depth=3
	v_and_b32_e32 v6, 0xffff, v24
	v_or_b32_e32 v7, 0x10000, v24
	s_delay_alu instid0(VALU_DEP_2) | instskip(NEXT) | instid1(VALU_DEP_2)
	v_cmp_eq_u32_e32 vcc_lo, 0, v6
	v_cndmask_b32_e32 v37, v7, v24, vcc_lo
; %bb.2170:                             ;   in Loop: Header=BB12_2089 Depth=3
	s_or_b32 exec_lo, exec_lo, s40
	v_lshlrev_b32_e32 v6, 16, v26
	v_lshlrev_b32_e32 v7, 16, v18
	s_mov_b32 s40, exec_lo
                                        ; implicit-def: $vgpr47
	s_delay_alu instid0(VALU_DEP_1) | instskip(NEXT) | instid1(VALU_DEP_1)
	v_mul_f32_e32 v6, v6, v7
	v_and_b32_e32 v7, 0x7f800000, v6
	s_delay_alu instid0(VALU_DEP_1)
	v_cmpx_ne_u32_e32 0x7f800000, v7
	s_xor_b32 s40, exec_lo, s40
; %bb.2171:                             ;   in Loop: Header=BB12_2089 Depth=3
	v_bfe_u32 v7, v6, 16, 1
	s_delay_alu instid0(VALU_DEP_1)
	v_add3_u32 v47, v6, v7, 0x7fff
                                        ; implicit-def: $vgpr6
; %bb.2172:                             ;   in Loop: Header=BB12_2089 Depth=3
	s_and_not1_saveexec_b32 s40, s40
; %bb.2173:                             ;   in Loop: Header=BB12_2089 Depth=3
	v_and_b32_e32 v7, 0xffff, v6
	v_or_b32_e32 v24, 0x10000, v6
	s_delay_alu instid0(VALU_DEP_2) | instskip(NEXT) | instid1(VALU_DEP_2)
	v_cmp_eq_u32_e32 vcc_lo, 0, v7
	v_cndmask_b32_e32 v47, v24, v6, vcc_lo
; %bb.2174:                             ;   in Loop: Header=BB12_2089 Depth=3
	s_or_b32 exec_lo, exec_lo, s40
	v_and_b32_e32 v7, 0xffff0000, v26
	v_and_b32_e32 v6, 0xffff0000, v18
	s_delay_alu instid0(VALU_DEP_2) | instskip(NEXT) | instid1(VALU_DEP_1)
	v_mov_b32_e32 v24, v7
	v_pk_mul_f32 v[24:25], v[24:25], v[6:7]
	s_delay_alu instid0(VALU_DEP_1) | instskip(NEXT) | instid1(VALU_DEP_1)
	v_and_b32_e32 v6, 0x7f800000, v24
	v_cmp_ne_u32_e32 vcc_lo, 0x7f800000, v6
                                        ; implicit-def: $vgpr6
	s_and_saveexec_b32 s40, vcc_lo
	s_delay_alu instid0(SALU_CYCLE_1)
	s_xor_b32 s40, exec_lo, s40
; %bb.2175:                             ;   in Loop: Header=BB12_2089 Depth=3
	v_bfe_u32 v6, v24, 16, 1
	s_delay_alu instid0(VALU_DEP_1)
	v_add3_u32 v6, v24, v6, 0x7fff
                                        ; implicit-def: $vgpr24_vgpr25
; %bb.2176:                             ;   in Loop: Header=BB12_2089 Depth=3
	s_and_not1_saveexec_b32 s40, s40
; %bb.2177:                             ;   in Loop: Header=BB12_2089 Depth=3
	v_and_b32_e32 v6, 0xffff, v24
	v_or_b32_e32 v7, 0x10000, v24
	s_delay_alu instid0(VALU_DEP_2) | instskip(NEXT) | instid1(VALU_DEP_2)
	v_cmp_eq_u32_e32 vcc_lo, 0, v6
	v_cndmask_b32_e32 v6, v7, v24, vcc_lo
; %bb.2178:                             ;   in Loop: Header=BB12_2089 Depth=3
	s_or_b32 exec_lo, exec_lo, s40
	v_lshlrev_b32_e32 v7, 16, v19
	v_lshlrev_b32_e32 v24, 16, v27
	s_delay_alu instid0(VALU_DEP_1) | instskip(NEXT) | instid1(VALU_DEP_1)
	v_mul_f32_e32 v24, v24, v7
	v_and_b32_e32 v7, 0x7f800000, v24
	s_delay_alu instid0(VALU_DEP_1) | instskip(SKIP_1) | instid1(SALU_CYCLE_1)
	v_cmp_ne_u32_e32 vcc_lo, 0x7f800000, v7
                                        ; implicit-def: $vgpr7
	s_and_saveexec_b32 s40, vcc_lo
	s_xor_b32 s40, exec_lo, s40
; %bb.2179:                             ;   in Loop: Header=BB12_2089 Depth=3
	v_bfe_u32 v7, v24, 16, 1
	s_delay_alu instid0(VALU_DEP_1)
	v_add3_u32 v7, v24, v7, 0x7fff
                                        ; implicit-def: $vgpr24
; %bb.2180:                             ;   in Loop: Header=BB12_2089 Depth=3
	s_and_not1_saveexec_b32 s40, s40
; %bb.2181:                             ;   in Loop: Header=BB12_2089 Depth=3
	v_and_b32_e32 v7, 0xffff, v24
	v_or_b32_e32 v25, 0x10000, v24
	s_delay_alu instid0(VALU_DEP_2) | instskip(NEXT) | instid1(VALU_DEP_2)
	v_cmp_eq_u32_e32 vcc_lo, 0, v7
	v_cndmask_b32_e32 v7, v25, v24, vcc_lo
; %bb.2182:                             ;   in Loop: Header=BB12_2089 Depth=3
	s_or_b32 exec_lo, exec_lo, s40
	v_and_b32_e32 v25, 0xffff0000, v27
	v_and_b32_e32 v24, 0xffff0000, v19
	s_mov_b32 s40, exec_lo
	s_delay_alu instid0(VALU_DEP_2) | instskip(NEXT) | instid1(VALU_DEP_1)
	v_mov_b32_e32 v26, v25
	v_pk_mul_f32 v[24:25], v[26:27], v[24:25]
                                        ; implicit-def: $vgpr27
	s_delay_alu instid0(VALU_DEP_1) | instskip(NEXT) | instid1(VALU_DEP_1)
	v_and_b32_e32 v25, 0x7f800000, v24
	v_cmpx_ne_u32_e32 0x7f800000, v25
	s_xor_b32 s40, exec_lo, s40
; %bb.2183:                             ;   in Loop: Header=BB12_2089 Depth=3
	v_bfe_u32 v25, v24, 16, 1
	s_delay_alu instid0(VALU_DEP_1)
	v_add3_u32 v27, v24, v25, 0x7fff
                                        ; implicit-def: $vgpr24_vgpr25
; %bb.2184:                             ;   in Loop: Header=BB12_2089 Depth=3
	s_and_not1_saveexec_b32 s40, s40
; %bb.2185:                             ;   in Loop: Header=BB12_2089 Depth=3
	v_and_b32_e32 v25, 0xffff, v24
	v_or_b32_e32 v26, 0x10000, v24
	s_delay_alu instid0(VALU_DEP_2) | instskip(NEXT) | instid1(VALU_DEP_2)
	v_cmp_eq_u32_e32 vcc_lo, 0, v25
	v_cndmask_b32_e32 v27, v26, v24, vcc_lo
; %bb.2186:                             ;   in Loop: Header=BB12_2089 Depth=3
	s_or_b32 exec_lo, exec_lo, s40
	v_lshlrev_b32_e32 v24, 16, v12
	v_lshlrev_b32_e32 v25, 16, v8
	s_mov_b32 s40, exec_lo
                                        ; implicit-def: $vgpr111
	s_delay_alu instid0(VALU_DEP_1) | instskip(NEXT) | instid1(VALU_DEP_1)
	v_mul_f32_e32 v24, v24, v25
	v_and_b32_e32 v25, 0x7f800000, v24
	s_delay_alu instid0(VALU_DEP_1)
	v_cmpx_ne_u32_e32 0x7f800000, v25
	s_xor_b32 s40, exec_lo, s40
; %bb.2187:                             ;   in Loop: Header=BB12_2089 Depth=3
	v_bfe_u32 v25, v24, 16, 1
	s_delay_alu instid0(VALU_DEP_1)
	v_add3_u32 v111, v24, v25, 0x7fff
                                        ; implicit-def: $vgpr24
; %bb.2188:                             ;   in Loop: Header=BB12_2089 Depth=3
	s_and_not1_saveexec_b32 s40, s40
; %bb.2189:                             ;   in Loop: Header=BB12_2089 Depth=3
	v_and_b32_e32 v25, 0xffff, v24
	v_or_b32_e32 v26, 0x10000, v24
	s_delay_alu instid0(VALU_DEP_2) | instskip(NEXT) | instid1(VALU_DEP_2)
	v_cmp_eq_u32_e32 vcc_lo, 0, v25
	v_cndmask_b32_e32 v111, v26, v24, vcc_lo
; %bb.2190:                             ;   in Loop: Header=BB12_2089 Depth=3
	s_or_b32 exec_lo, exec_lo, s40
	v_and_b32_e32 v25, 0xffff0000, v12
	v_and_b32_e32 v24, 0xffff0000, v8
	s_mov_b32 s40, exec_lo
                                        ; implicit-def: $vgpr44
	s_delay_alu instid0(VALU_DEP_2) | instskip(NEXT) | instid1(VALU_DEP_1)
	v_mov_b32_e32 v12, v25
	v_pk_mul_f32 v[24:25], v[12:13], v[24:25]
	s_delay_alu instid0(VALU_DEP_1) | instskip(NEXT) | instid1(VALU_DEP_1)
	v_and_b32_e32 v12, 0x7f800000, v24
	v_cmpx_ne_u32_e32 0x7f800000, v12
	s_xor_b32 s40, exec_lo, s40
; %bb.2191:                             ;   in Loop: Header=BB12_2089 Depth=3
	v_bfe_u32 v12, v24, 16, 1
	s_delay_alu instid0(VALU_DEP_1)
	v_add3_u32 v44, v24, v12, 0x7fff
                                        ; implicit-def: $vgpr24_vgpr25
; %bb.2192:                             ;   in Loop: Header=BB12_2089 Depth=3
	s_and_not1_saveexec_b32 s40, s40
; %bb.2193:                             ;   in Loop: Header=BB12_2089 Depth=3
	v_and_b32_e32 v12, 0xffff, v24
	v_or_b32_e32 v25, 0x10000, v24
	s_delay_alu instid0(VALU_DEP_2) | instskip(NEXT) | instid1(VALU_DEP_2)
	v_cmp_eq_u32_e32 vcc_lo, 0, v12
	v_cndmask_b32_e32 v44, v25, v24, vcc_lo
; %bb.2194:                             ;   in Loop: Header=BB12_2089 Depth=3
	s_or_b32 exec_lo, exec_lo, s40
	v_lshlrev_b32_e32 v12, 16, v9
	v_lshlrev_b32_e32 v24, 16, v13
	s_mov_b32 s40, exec_lo
                                        ; implicit-def: $vgpr45
	s_delay_alu instid0(VALU_DEP_1) | instskip(NEXT) | instid1(VALU_DEP_1)
	v_mul_f32_e32 v12, v24, v12
	v_and_b32_e32 v24, 0x7f800000, v12
	s_delay_alu instid0(VALU_DEP_1)
	v_cmpx_ne_u32_e32 0x7f800000, v24
	s_xor_b32 s40, exec_lo, s40
; %bb.2195:                             ;   in Loop: Header=BB12_2089 Depth=3
	v_bfe_u32 v24, v12, 16, 1
	s_delay_alu instid0(VALU_DEP_1)
	v_add3_u32 v45, v12, v24, 0x7fff
                                        ; implicit-def: $vgpr12
; %bb.2196:                             ;   in Loop: Header=BB12_2089 Depth=3
	s_and_not1_saveexec_b32 s40, s40
; %bb.2197:                             ;   in Loop: Header=BB12_2089 Depth=3
	v_and_b32_e32 v24, 0xffff, v12
	v_or_b32_e32 v25, 0x10000, v12
	s_delay_alu instid0(VALU_DEP_2) | instskip(NEXT) | instid1(VALU_DEP_2)
	v_cmp_eq_u32_e32 vcc_lo, 0, v24
	v_cndmask_b32_e32 v45, v25, v12, vcc_lo
; %bb.2198:                             ;   in Loop: Header=BB12_2089 Depth=3
	s_or_b32 exec_lo, exec_lo, s40
	v_and_b32_e32 v13, 0xffff0000, v13
	v_and_b32_e32 v12, 0xffff0000, v9
	s_mov_b32 s40, exec_lo
                                        ; implicit-def: $vgpr122
	s_delay_alu instid0(VALU_DEP_2) | instskip(NEXT) | instid1(VALU_DEP_1)
	v_mov_b32_e32 v24, v13
	v_pk_mul_f32 v[12:13], v[24:25], v[12:13]
	s_delay_alu instid0(VALU_DEP_1) | instskip(NEXT) | instid1(VALU_DEP_1)
	v_and_b32_e32 v13, 0x7f800000, v12
	v_cmpx_ne_u32_e32 0x7f800000, v13
	s_xor_b32 s40, exec_lo, s40
; %bb.2199:                             ;   in Loop: Header=BB12_2089 Depth=3
	v_bfe_u32 v13, v12, 16, 1
	s_delay_alu instid0(VALU_DEP_1)
	v_add3_u32 v122, v12, v13, 0x7fff
                                        ; implicit-def: $vgpr12_vgpr13
; %bb.2200:                             ;   in Loop: Header=BB12_2089 Depth=3
	s_and_not1_saveexec_b32 s40, s40
; %bb.2201:                             ;   in Loop: Header=BB12_2089 Depth=3
	v_and_b32_e32 v13, 0xffff, v12
	v_or_b32_e32 v24, 0x10000, v12
	s_delay_alu instid0(VALU_DEP_2) | instskip(NEXT) | instid1(VALU_DEP_2)
	v_cmp_eq_u32_e32 vcc_lo, 0, v13
	v_cndmask_b32_e32 v122, v24, v12, vcc_lo
; %bb.2202:                             ;   in Loop: Header=BB12_2089 Depth=3
	s_or_b32 exec_lo, exec_lo, s40
	v_lshlrev_b32_e32 v12, 16, v14
	v_lshlrev_b32_e32 v13, 16, v10
	s_mov_b32 s40, exec_lo
                                        ; implicit-def: $vgpr29
	s_delay_alu instid0(VALU_DEP_1) | instskip(NEXT) | instid1(VALU_DEP_1)
	v_mul_f32_e32 v12, v12, v13
	v_and_b32_e32 v13, 0x7f800000, v12
	s_delay_alu instid0(VALU_DEP_1)
	v_cmpx_ne_u32_e32 0x7f800000, v13
	s_xor_b32 s40, exec_lo, s40
; %bb.2203:                             ;   in Loop: Header=BB12_2089 Depth=3
	v_bfe_u32 v13, v12, 16, 1
	s_delay_alu instid0(VALU_DEP_1)
	v_add3_u32 v29, v12, v13, 0x7fff
                                        ; implicit-def: $vgpr12
; %bb.2204:                             ;   in Loop: Header=BB12_2089 Depth=3
	s_and_not1_saveexec_b32 s40, s40
; %bb.2205:                             ;   in Loop: Header=BB12_2089 Depth=3
	v_and_b32_e32 v13, 0xffff, v12
	v_or_b32_e32 v24, 0x10000, v12
	s_delay_alu instid0(VALU_DEP_2) | instskip(NEXT) | instid1(VALU_DEP_2)
	v_cmp_eq_u32_e32 vcc_lo, 0, v13
	v_cndmask_b32_e32 v29, v24, v12, vcc_lo
; %bb.2206:                             ;   in Loop: Header=BB12_2089 Depth=3
	s_or_b32 exec_lo, exec_lo, s40
	v_and_b32_e32 v13, 0xffff0000, v14
	v_and_b32_e32 v12, 0xffff0000, v10
	s_mov_b32 s40, exec_lo
	s_delay_alu instid0(VALU_DEP_2) | instskip(NEXT) | instid1(VALU_DEP_1)
	v_mov_b32_e32 v14, v13
	v_pk_mul_f32 v[12:13], v[14:15], v[12:13]
                                        ; implicit-def: $vgpr14
	s_delay_alu instid0(VALU_DEP_1) | instskip(NEXT) | instid1(VALU_DEP_1)
	v_and_b32_e32 v13, 0x7f800000, v12
	v_cmpx_ne_u32_e32 0x7f800000, v13
	s_xor_b32 s40, exec_lo, s40
; %bb.2207:                             ;   in Loop: Header=BB12_2089 Depth=3
	v_bfe_u32 v13, v12, 16, 1
	s_delay_alu instid0(VALU_DEP_1)
	v_add3_u32 v14, v12, v13, 0x7fff
                                        ; implicit-def: $vgpr12_vgpr13
; %bb.2208:                             ;   in Loop: Header=BB12_2089 Depth=3
	s_and_not1_saveexec_b32 s40, s40
; %bb.2209:                             ;   in Loop: Header=BB12_2089 Depth=3
	v_and_b32_e32 v13, 0xffff, v12
	v_or_b32_e32 v14, 0x10000, v12
	s_delay_alu instid0(VALU_DEP_2) | instskip(NEXT) | instid1(VALU_DEP_2)
	v_cmp_eq_u32_e32 vcc_lo, 0, v13
	v_cndmask_b32_e32 v14, v14, v12, vcc_lo
; %bb.2210:                             ;   in Loop: Header=BB12_2089 Depth=3
	s_or_b32 exec_lo, exec_lo, s40
	v_lshlrev_b32_e32 v12, 16, v11
	v_lshlrev_b32_e32 v13, 16, v15
	s_mov_b32 s40, exec_lo
                                        ; implicit-def: $vgpr123
	s_delay_alu instid0(VALU_DEP_1) | instskip(NEXT) | instid1(VALU_DEP_1)
	v_mul_f32_e32 v12, v13, v12
	v_and_b32_e32 v13, 0x7f800000, v12
	s_delay_alu instid0(VALU_DEP_1)
	v_cmpx_ne_u32_e32 0x7f800000, v13
	s_xor_b32 s40, exec_lo, s40
; %bb.2211:                             ;   in Loop: Header=BB12_2089 Depth=3
	v_bfe_u32 v13, v12, 16, 1
	s_delay_alu instid0(VALU_DEP_1)
	v_add3_u32 v123, v12, v13, 0x7fff
                                        ; implicit-def: $vgpr12
; %bb.2212:                             ;   in Loop: Header=BB12_2089 Depth=3
	s_and_not1_saveexec_b32 s40, s40
; %bb.2213:                             ;   in Loop: Header=BB12_2089 Depth=3
	v_and_b32_e32 v13, 0xffff, v12
	v_or_b32_e32 v24, 0x10000, v12
	s_delay_alu instid0(VALU_DEP_2) | instskip(NEXT) | instid1(VALU_DEP_2)
	v_cmp_eq_u32_e32 vcc_lo, 0, v13
	v_cndmask_b32_e32 v123, v24, v12, vcc_lo
; %bb.2214:                             ;   in Loop: Header=BB12_2089 Depth=3
	s_or_b32 exec_lo, exec_lo, s40
	v_and_b32_e32 v13, 0xffff0000, v15
	v_and_b32_e32 v12, 0xffff0000, v11
	s_mov_b32 s40, exec_lo
                                        ; implicit-def: $vgpr15
	s_delay_alu instid0(VALU_DEP_2) | instskip(NEXT) | instid1(VALU_DEP_1)
	v_mov_b32_e32 v24, v13
	v_pk_mul_f32 v[12:13], v[24:25], v[12:13]
	s_delay_alu instid0(VALU_DEP_1) | instskip(NEXT) | instid1(VALU_DEP_1)
	v_and_b32_e32 v13, 0x7f800000, v12
	v_cmpx_ne_u32_e32 0x7f800000, v13
	s_xor_b32 s40, exec_lo, s40
; %bb.2215:                             ;   in Loop: Header=BB12_2089 Depth=3
	v_bfe_u32 v13, v12, 16, 1
	s_delay_alu instid0(VALU_DEP_1)
	v_add3_u32 v15, v12, v13, 0x7fff
                                        ; implicit-def: $vgpr12_vgpr13
; %bb.2216:                             ;   in Loop: Header=BB12_2089 Depth=3
	s_and_not1_saveexec_b32 s40, s40
; %bb.2217:                             ;   in Loop: Header=BB12_2089 Depth=3
	v_and_b32_e32 v13, 0xffff, v12
	v_or_b32_e32 v15, 0x10000, v12
	s_delay_alu instid0(VALU_DEP_2) | instskip(NEXT) | instid1(VALU_DEP_2)
	v_cmp_eq_u32_e32 vcc_lo, 0, v13
	v_cndmask_b32_e32 v15, v15, v12, vcc_lo
; %bb.2218:                             ;   in Loop: Header=BB12_2089 Depth=3
	s_or_b32 exec_lo, exec_lo, s40
	v_dual_lshrrev_b32 v12, 16, v36 :: v_dual_lshrrev_b32 v13, 16, v109
	v_dual_lshrrev_b32 v26, 16, v47 :: v_dual_lshrrev_b32 v36, 16, v80
	v_lshrrev_b32_e32 v7, 16, v7
	s_delay_alu instid0(VALU_DEP_3)
	v_and_or_b32 v25, 0xffff0000, v37, v12
	v_lshrrev_b32_e32 v12, 16, v110
	v_and_or_b32 v24, 0xffff0000, v46, v13
	v_and_or_b32 v37, 0xffff0000, v81, v36
	;; [unrolled: 1-line block ×3, first 2 shown]
	v_lshrrev_b32_e32 v13, 16, v119
	v_and_or_b32 v36, 0xffff0000, v94, v12
	v_lshrrev_b32_e32 v12, 16, v42
	v_and_or_b32 v27, 0xffff0000, v27, v7
	v_dual_lshrrev_b32 v6, 16, v95 :: v_dual_lshrrev_b32 v7, 16, v108
	v_lshrrev_b32_e32 v119, 16, v75
	v_and_or_b32 v80, 0xffff0000, v2, v13
	v_lshrrev_b32_e32 v2, 16, v77
	s_delay_alu instid0(VALU_DEP_4)
	v_and_or_b32 v38, 0xffff0000, v38, v6
	v_and_or_b32 v39, 0xffff0000, v39, v7
	;; [unrolled: 1-line block ×3, first 2 shown]
	v_dual_lshrrev_b32 v6, 16, v45 :: v_dual_lshrrev_b32 v7, 16, v111
	v_dual_lshrrev_b32 v29, 16, v29 :: v_dual_lshrrev_b32 v119, 16, v123
	v_and_or_b32 v81, 0xffff0000, v43, v12
	v_and_or_b32 v83, 0xffff0000, v83, v2
	s_delay_alu instid0(VALU_DEP_4)
	v_and_or_b32 v13, 0xffff0000, v122, v6
	v_and_or_b32 v12, 0xffff0000, v44, v7
	;; [unrolled: 1-line block ×4, first 2 shown]
	s_clause 0x3
	global_store_b128 v[0:1], v[80:83], off th:TH_STORE_NT
	global_store_b128 v[0:1], v[36:39], off offset:512 th:TH_STORE_NT
	global_store_b128 v[0:1], v[24:27], off offset:1024 th:TH_STORE_NT
	;; [unrolled: 1-line block ×3, first 2 shown]
	s_wait_xcnt 0x0
	v_add_nc_u64_e32 v[0:1], v[0:1], v[106:107]
.LBB12_2219:                            ;   in Loop: Header=BB12_2089 Depth=3
	s_or_b32 exec_lo, exec_lo, s41
	v_sub_nc_u32_e32 v118, v118, v60
	v_add_nc_u64_e32 v[4:5], v[4:5], v[106:107]
	v_add_nc_u64_e32 v[62:63], v[62:63], v[106:107]
	s_delay_alu instid0(VALU_DEP_3)
	v_cmp_lt_i32_e64 s40, 0, v118
	s_and_saveexec_b32 s41, s40
	s_cbranch_execz .LBB12_2221
; %bb.2220:                             ;   in Loop: Header=BB12_2089 Depth=3
	s_clause 0x3
	global_load_b128 v[80:83], v[4:5], off th:TH_LOAD_NT
	global_load_b128 v[36:39], v[4:5], off offset:512 th:TH_LOAD_NT
	global_load_b128 v[24:27], v[4:5], off offset:1024 th:TH_LOAD_NT
	;; [unrolled: 1-line block ×3, first 2 shown]
	s_clause 0x3
	global_load_b128 v[32:35], v[62:63], off th:TH_LOAD_NT
	global_load_b128 v[20:23], v[62:63], off offset:512 th:TH_LOAD_NT
	global_load_b128 v[16:19], v[62:63], off offset:1024 th:TH_LOAD_NT
	;; [unrolled: 1-line block ×3, first 2 shown]
	s_wait_xcnt 0x4
	v_add_nc_u64_e32 v[4:5], 0x800, v[4:5]
	s_wait_xcnt 0x0
	v_add_nc_u64_e32 v[62:63], 0x800, v[62:63]
.LBB12_2221:                            ;   in Loop: Header=BB12_2089 Depth=3
	s_or_b32 exec_lo, exec_lo, s41
	s_wait_loadcnt 0x7
	v_lshlrev_b32_e32 v2, 16, v100
	s_wait_loadcnt 0x3
	v_lshlrev_b32_e32 v6, 16, v112
	s_delay_alu instid0(VALU_DEP_1) | instskip(NEXT) | instid1(VALU_DEP_1)
	v_mul_f32_e32 v6, v6, v2
	v_and_b32_e32 v2, 0x7f800000, v6
	s_delay_alu instid0(VALU_DEP_1) | instskip(SKIP_1) | instid1(SALU_CYCLE_1)
	v_cmp_ne_u32_e32 vcc_lo, 0x7f800000, v2
                                        ; implicit-def: $vgpr2
	s_and_saveexec_b32 s41, vcc_lo
	s_xor_b32 s41, exec_lo, s41
; %bb.2222:                             ;   in Loop: Header=BB12_2089 Depth=3
	v_bfe_u32 v2, v6, 16, 1
	s_delay_alu instid0(VALU_DEP_1)
	v_add3_u32 v2, v6, v2, 0x7fff
                                        ; implicit-def: $vgpr6
; %bb.2223:                             ;   in Loop: Header=BB12_2089 Depth=3
	s_and_not1_saveexec_b32 s41, s41
; %bb.2224:                             ;   in Loop: Header=BB12_2089 Depth=3
	v_and_b32_e32 v2, 0xffff, v6
	v_or_b32_e32 v7, 0x10000, v6
	s_delay_alu instid0(VALU_DEP_2) | instskip(NEXT) | instid1(VALU_DEP_2)
	v_cmp_eq_u32_e32 vcc_lo, 0, v2
	v_cndmask_b32_e32 v2, v7, v6, vcc_lo
; %bb.2225:                             ;   in Loop: Header=BB12_2089 Depth=3
	s_or_b32 exec_lo, exec_lo, s41
	v_and_b32_e32 v7, 0xffff0000, v112
	v_and_b32_e32 v6, 0xffff0000, v100
	s_mov_b32 s41, exec_lo
                                        ; implicit-def: $vgpr112
	s_delay_alu instid0(VALU_DEP_2) | instskip(NEXT) | instid1(VALU_DEP_1)
	v_mov_b32_e32 v100, v7
	v_pk_mul_f32 v[110:111], v[100:101], v[6:7]
	s_delay_alu instid0(VALU_DEP_1) | instskip(NEXT) | instid1(VALU_DEP_1)
	v_and_b32_e32 v6, 0x7f800000, v110
	v_cmpx_ne_u32_e32 0x7f800000, v6
	s_xor_b32 s41, exec_lo, s41
; %bb.2226:                             ;   in Loop: Header=BB12_2089 Depth=3
	v_bfe_u32 v6, v110, 16, 1
	s_delay_alu instid0(VALU_DEP_1)
	v_add3_u32 v112, v110, v6, 0x7fff
                                        ; implicit-def: $vgpr110_vgpr111
; %bb.2227:                             ;   in Loop: Header=BB12_2089 Depth=3
	s_and_not1_saveexec_b32 s41, s41
; %bb.2228:                             ;   in Loop: Header=BB12_2089 Depth=3
	v_and_b32_e32 v6, 0xffff, v110
	v_or_b32_e32 v7, 0x10000, v110
	s_delay_alu instid0(VALU_DEP_2) | instskip(NEXT) | instid1(VALU_DEP_2)
	v_cmp_eq_u32_e32 vcc_lo, 0, v6
	v_cndmask_b32_e32 v112, v7, v110, vcc_lo
; %bb.2229:                             ;   in Loop: Header=BB12_2089 Depth=3
	s_or_b32 exec_lo, exec_lo, s41
	v_lshlrev_b32_e32 v6, 16, v101
	v_lshlrev_b32_e32 v7, 16, v113
	s_mov_b32 s41, exec_lo
                                        ; implicit-def: $vgpr119
	s_delay_alu instid0(VALU_DEP_1) | instskip(NEXT) | instid1(VALU_DEP_1)
	v_mul_f32_e32 v6, v7, v6
	v_and_b32_e32 v7, 0x7f800000, v6
	s_delay_alu instid0(VALU_DEP_1)
	v_cmpx_ne_u32_e32 0x7f800000, v7
	s_xor_b32 s41, exec_lo, s41
; %bb.2230:                             ;   in Loop: Header=BB12_2089 Depth=3
	v_bfe_u32 v7, v6, 16, 1
	s_delay_alu instid0(VALU_DEP_1)
	v_add3_u32 v119, v6, v7, 0x7fff
                                        ; implicit-def: $vgpr6
; %bb.2231:                             ;   in Loop: Header=BB12_2089 Depth=3
	s_and_not1_saveexec_b32 s41, s41
; %bb.2232:                             ;   in Loop: Header=BB12_2089 Depth=3
	v_and_b32_e32 v7, 0xffff, v6
	v_or_b32_e32 v29, 0x10000, v6
	s_delay_alu instid0(VALU_DEP_2) | instskip(NEXT) | instid1(VALU_DEP_2)
	v_cmp_eq_u32_e32 vcc_lo, 0, v7
	v_cndmask_b32_e32 v119, v29, v6, vcc_lo
; %bb.2233:                             ;   in Loop: Header=BB12_2089 Depth=3
	s_or_b32 exec_lo, exec_lo, s41
	v_and_b32_e32 v7, 0xffff0000, v113
	v_and_b32_e32 v6, 0xffff0000, v101
	s_mov_b32 s41, exec_lo
                                        ; implicit-def: $vgpr113
	s_delay_alu instid0(VALU_DEP_2) | instskip(NEXT) | instid1(VALU_DEP_1)
	v_mov_b32_e32 v100, v7
	v_pk_mul_f32 v[100:101], v[100:101], v[6:7]
	s_delay_alu instid0(VALU_DEP_1) | instskip(NEXT) | instid1(VALU_DEP_1)
	v_and_b32_e32 v6, 0x7f800000, v100
	v_cmpx_ne_u32_e32 0x7f800000, v6
	s_xor_b32 s41, exec_lo, s41
; %bb.2234:                             ;   in Loop: Header=BB12_2089 Depth=3
	v_bfe_u32 v6, v100, 16, 1
	s_delay_alu instid0(VALU_DEP_1)
	v_add3_u32 v113, v100, v6, 0x7fff
                                        ; implicit-def: $vgpr100_vgpr101
; %bb.2235:                             ;   in Loop: Header=BB12_2089 Depth=3
	s_and_not1_saveexec_b32 s41, s41
; %bb.2236:                             ;   in Loop: Header=BB12_2089 Depth=3
	v_and_b32_e32 v6, 0xffff, v100
	v_or_b32_e32 v7, 0x10000, v100
	s_delay_alu instid0(VALU_DEP_2) | instskip(NEXT) | instid1(VALU_DEP_2)
	v_cmp_eq_u32_e32 vcc_lo, 0, v6
	v_cndmask_b32_e32 v113, v7, v100, vcc_lo
; %bb.2237:                             ;   in Loop: Header=BB12_2089 Depth=3
	s_or_b32 exec_lo, exec_lo, s41
	v_lshlrev_b32_e32 v6, 16, v102
	v_lshlrev_b32_e32 v7, 16, v114
	s_mov_b32 s41, exec_lo
                                        ; implicit-def: $vgpr42
	s_delay_alu instid0(VALU_DEP_1) | instskip(NEXT) | instid1(VALU_DEP_1)
	v_mul_f32_e32 v6, v7, v6
	v_and_b32_e32 v7, 0x7f800000, v6
	s_delay_alu instid0(VALU_DEP_1)
	v_cmpx_ne_u32_e32 0x7f800000, v7
	s_xor_b32 s41, exec_lo, s41
; %bb.2238:                             ;   in Loop: Header=BB12_2089 Depth=3
	v_bfe_u32 v7, v6, 16, 1
	s_delay_alu instid0(VALU_DEP_1)
	v_add3_u32 v42, v6, v7, 0x7fff
                                        ; implicit-def: $vgpr6
; %bb.2239:                             ;   in Loop: Header=BB12_2089 Depth=3
	s_and_not1_saveexec_b32 s41, s41
; %bb.2240:                             ;   in Loop: Header=BB12_2089 Depth=3
	v_and_b32_e32 v7, 0xffff, v6
	v_or_b32_e32 v29, 0x10000, v6
	s_delay_alu instid0(VALU_DEP_2) | instskip(NEXT) | instid1(VALU_DEP_2)
	v_cmp_eq_u32_e32 vcc_lo, 0, v7
	v_cndmask_b32_e32 v42, v29, v6, vcc_lo
; %bb.2241:                             ;   in Loop: Header=BB12_2089 Depth=3
	s_or_b32 exec_lo, exec_lo, s41
	v_and_b32_e32 v7, 0xffff0000, v114
	v_and_b32_e32 v6, 0xffff0000, v102
	s_mov_b32 s41, exec_lo
                                        ; implicit-def: $vgpr102
	s_delay_alu instid0(VALU_DEP_2) | instskip(NEXT) | instid1(VALU_DEP_1)
	v_mov_b32_e32 v100, v7
	v_pk_mul_f32 v[100:101], v[100:101], v[6:7]
	s_delay_alu instid0(VALU_DEP_1) | instskip(NEXT) | instid1(VALU_DEP_1)
	v_and_b32_e32 v6, 0x7f800000, v100
	v_cmpx_ne_u32_e32 0x7f800000, v6
	s_xor_b32 s41, exec_lo, s41
; %bb.2242:                             ;   in Loop: Header=BB12_2089 Depth=3
	v_bfe_u32 v6, v100, 16, 1
	s_delay_alu instid0(VALU_DEP_1)
	v_add3_u32 v102, v100, v6, 0x7fff
                                        ; implicit-def: $vgpr100_vgpr101
; %bb.2243:                             ;   in Loop: Header=BB12_2089 Depth=3
	s_and_not1_saveexec_b32 s41, s41
; %bb.2244:                             ;   in Loop: Header=BB12_2089 Depth=3
	v_and_b32_e32 v6, 0xffff, v100
	v_or_b32_e32 v7, 0x10000, v100
	s_delay_alu instid0(VALU_DEP_2) | instskip(NEXT) | instid1(VALU_DEP_2)
	v_cmp_eq_u32_e32 vcc_lo, 0, v6
	v_cndmask_b32_e32 v102, v7, v100, vcc_lo
; %bb.2245:                             ;   in Loop: Header=BB12_2089 Depth=3
	s_or_b32 exec_lo, exec_lo, s41
	v_lshlrev_b32_e32 v6, 16, v103
	v_lshlrev_b32_e32 v7, 16, v115
	s_mov_b32 s41, exec_lo
                                        ; implicit-def: $vgpr114
	s_delay_alu instid0(VALU_DEP_1) | instskip(NEXT) | instid1(VALU_DEP_1)
	v_mul_f32_e32 v6, v7, v6
	v_and_b32_e32 v7, 0x7f800000, v6
	s_delay_alu instid0(VALU_DEP_1)
	v_cmpx_ne_u32_e32 0x7f800000, v7
	s_xor_b32 s41, exec_lo, s41
; %bb.2246:                             ;   in Loop: Header=BB12_2089 Depth=3
	v_bfe_u32 v7, v6, 16, 1
	s_delay_alu instid0(VALU_DEP_1)
	v_add3_u32 v114, v6, v7, 0x7fff
                                        ; implicit-def: $vgpr6
; %bb.2247:                             ;   in Loop: Header=BB12_2089 Depth=3
	s_and_not1_saveexec_b32 s41, s41
; %bb.2248:                             ;   in Loop: Header=BB12_2089 Depth=3
	v_and_b32_e32 v7, 0xffff, v6
	v_or_b32_e32 v29, 0x10000, v6
	s_delay_alu instid0(VALU_DEP_2) | instskip(NEXT) | instid1(VALU_DEP_2)
	v_cmp_eq_u32_e32 vcc_lo, 0, v7
	v_cndmask_b32_e32 v114, v29, v6, vcc_lo
; %bb.2249:                             ;   in Loop: Header=BB12_2089 Depth=3
	s_or_b32 exec_lo, exec_lo, s41
	v_and_b32_e32 v7, 0xffff0000, v115
	v_and_b32_e32 v6, 0xffff0000, v103
	s_mov_b32 s41, exec_lo
                                        ; implicit-def: $vgpr103
	s_delay_alu instid0(VALU_DEP_2) | instskip(NEXT) | instid1(VALU_DEP_1)
	v_mov_b32_e32 v100, v7
	v_pk_mul_f32 v[100:101], v[100:101], v[6:7]
	s_delay_alu instid0(VALU_DEP_1) | instskip(NEXT) | instid1(VALU_DEP_1)
	v_and_b32_e32 v6, 0x7f800000, v100
	v_cmpx_ne_u32_e32 0x7f800000, v6
	s_xor_b32 s41, exec_lo, s41
; %bb.2250:                             ;   in Loop: Header=BB12_2089 Depth=3
	v_bfe_u32 v6, v100, 16, 1
	s_delay_alu instid0(VALU_DEP_1)
	v_add3_u32 v103, v100, v6, 0x7fff
                                        ; implicit-def: $vgpr100_vgpr101
; %bb.2251:                             ;   in Loop: Header=BB12_2089 Depth=3
	s_and_not1_saveexec_b32 s41, s41
; %bb.2252:                             ;   in Loop: Header=BB12_2089 Depth=3
	v_and_b32_e32 v6, 0xffff, v100
	v_or_b32_e32 v7, 0x10000, v100
	s_delay_alu instid0(VALU_DEP_2) | instskip(NEXT) | instid1(VALU_DEP_2)
	v_cmp_eq_u32_e32 vcc_lo, 0, v6
	v_cndmask_b32_e32 v103, v7, v100, vcc_lo
; %bb.2253:                             ;   in Loop: Header=BB12_2089 Depth=3
	s_or_b32 exec_lo, exec_lo, s41
	v_lshlrev_b32_e32 v6, 16, v84
	s_wait_loadcnt 0x2
	v_lshlrev_b32_e32 v7, 16, v96
	s_mov_b32 s41, exec_lo
                                        ; implicit-def: $vgpr115
	s_delay_alu instid0(VALU_DEP_1) | instskip(NEXT) | instid1(VALU_DEP_1)
	v_mul_f32_e32 v6, v7, v6
	v_and_b32_e32 v7, 0x7f800000, v6
	s_delay_alu instid0(VALU_DEP_1)
	v_cmpx_ne_u32_e32 0x7f800000, v7
	s_xor_b32 s41, exec_lo, s41
; %bb.2254:                             ;   in Loop: Header=BB12_2089 Depth=3
	v_bfe_u32 v7, v6, 16, 1
	s_delay_alu instid0(VALU_DEP_1)
	v_add3_u32 v115, v6, v7, 0x7fff
                                        ; implicit-def: $vgpr6
; %bb.2255:                             ;   in Loop: Header=BB12_2089 Depth=3
	s_and_not1_saveexec_b32 s41, s41
; %bb.2256:                             ;   in Loop: Header=BB12_2089 Depth=3
	v_and_b32_e32 v7, 0xffff, v6
	v_or_b32_e32 v29, 0x10000, v6
	s_delay_alu instid0(VALU_DEP_2) | instskip(NEXT) | instid1(VALU_DEP_2)
	v_cmp_eq_u32_e32 vcc_lo, 0, v7
	v_cndmask_b32_e32 v115, v29, v6, vcc_lo
; %bb.2257:                             ;   in Loop: Header=BB12_2089 Depth=3
	s_or_b32 exec_lo, exec_lo, s41
	v_and_b32_e32 v7, 0xffff0000, v96
	v_and_b32_e32 v6, 0xffff0000, v84
	s_mov_b32 s41, exec_lo
                                        ; implicit-def: $vgpr96
	s_delay_alu instid0(VALU_DEP_2) | instskip(NEXT) | instid1(VALU_DEP_1)
	v_mov_b32_e32 v84, v7
	v_pk_mul_f32 v[100:101], v[84:85], v[6:7]
	s_delay_alu instid0(VALU_DEP_1) | instskip(NEXT) | instid1(VALU_DEP_1)
	v_and_b32_e32 v6, 0x7f800000, v100
	v_cmpx_ne_u32_e32 0x7f800000, v6
	s_xor_b32 s41, exec_lo, s41
; %bb.2258:                             ;   in Loop: Header=BB12_2089 Depth=3
	v_bfe_u32 v6, v100, 16, 1
	s_delay_alu instid0(VALU_DEP_1)
	v_add3_u32 v96, v100, v6, 0x7fff
                                        ; implicit-def: $vgpr100_vgpr101
; %bb.2259:                             ;   in Loop: Header=BB12_2089 Depth=3
	s_and_not1_saveexec_b32 s41, s41
; %bb.2260:                             ;   in Loop: Header=BB12_2089 Depth=3
	v_and_b32_e32 v6, 0xffff, v100
	v_or_b32_e32 v7, 0x10000, v100
	s_delay_alu instid0(VALU_DEP_2) | instskip(NEXT) | instid1(VALU_DEP_2)
	v_cmp_eq_u32_e32 vcc_lo, 0, v6
	v_cndmask_b32_e32 v96, v7, v100, vcc_lo
; %bb.2261:                             ;   in Loop: Header=BB12_2089 Depth=3
	s_or_b32 exec_lo, exec_lo, s41
	v_lshlrev_b32_e32 v6, 16, v85
	v_lshlrev_b32_e32 v7, 16, v97
	s_mov_b32 s41, exec_lo
                                        ; implicit-def: $vgpr100
	s_delay_alu instid0(VALU_DEP_1) | instskip(NEXT) | instid1(VALU_DEP_1)
	v_mul_f32_e32 v6, v7, v6
	v_and_b32_e32 v7, 0x7f800000, v6
	s_delay_alu instid0(VALU_DEP_1)
	v_cmpx_ne_u32_e32 0x7f800000, v7
	s_xor_b32 s41, exec_lo, s41
; %bb.2262:                             ;   in Loop: Header=BB12_2089 Depth=3
	v_bfe_u32 v7, v6, 16, 1
	s_delay_alu instid0(VALU_DEP_1)
	v_add3_u32 v100, v6, v7, 0x7fff
                                        ; implicit-def: $vgpr6
; %bb.2263:                             ;   in Loop: Header=BB12_2089 Depth=3
	s_and_not1_saveexec_b32 s41, s41
; %bb.2264:                             ;   in Loop: Header=BB12_2089 Depth=3
	v_and_b32_e32 v7, 0xffff, v6
	v_or_b32_e32 v29, 0x10000, v6
	s_delay_alu instid0(VALU_DEP_2) | instskip(NEXT) | instid1(VALU_DEP_2)
	v_cmp_eq_u32_e32 vcc_lo, 0, v7
	v_cndmask_b32_e32 v100, v29, v6, vcc_lo
; %bb.2265:                             ;   in Loop: Header=BB12_2089 Depth=3
	s_or_b32 exec_lo, exec_lo, s41
	v_and_b32_e32 v7, 0xffff0000, v97
	v_and_b32_e32 v6, 0xffff0000, v85
	s_mov_b32 s41, exec_lo
                                        ; implicit-def: $vgpr97
	s_delay_alu instid0(VALU_DEP_2) | instskip(NEXT) | instid1(VALU_DEP_1)
	v_mov_b32_e32 v84, v7
	v_pk_mul_f32 v[84:85], v[84:85], v[6:7]
	s_delay_alu instid0(VALU_DEP_1) | instskip(NEXT) | instid1(VALU_DEP_1)
	v_and_b32_e32 v6, 0x7f800000, v84
	v_cmpx_ne_u32_e32 0x7f800000, v6
	s_xor_b32 s41, exec_lo, s41
; %bb.2266:                             ;   in Loop: Header=BB12_2089 Depth=3
	v_bfe_u32 v6, v84, 16, 1
	s_delay_alu instid0(VALU_DEP_1)
	v_add3_u32 v97, v84, v6, 0x7fff
                                        ; implicit-def: $vgpr84_vgpr85
; %bb.2267:                             ;   in Loop: Header=BB12_2089 Depth=3
	s_and_not1_saveexec_b32 s41, s41
; %bb.2268:                             ;   in Loop: Header=BB12_2089 Depth=3
	v_and_b32_e32 v6, 0xffff, v84
	v_or_b32_e32 v7, 0x10000, v84
	s_delay_alu instid0(VALU_DEP_2) | instskip(NEXT) | instid1(VALU_DEP_2)
	v_cmp_eq_u32_e32 vcc_lo, 0, v6
	v_cndmask_b32_e32 v97, v7, v84, vcc_lo
; %bb.2269:                             ;   in Loop: Header=BB12_2089 Depth=3
	s_or_b32 exec_lo, exec_lo, s41
	v_lshlrev_b32_e32 v6, 16, v86
	v_lshlrev_b32_e32 v7, 16, v98
	s_mov_b32 s41, exec_lo
                                        ; implicit-def: $vgpr101
	s_delay_alu instid0(VALU_DEP_1) | instskip(NEXT) | instid1(VALU_DEP_1)
	v_mul_f32_e32 v6, v7, v6
	v_and_b32_e32 v7, 0x7f800000, v6
	s_delay_alu instid0(VALU_DEP_1)
	v_cmpx_ne_u32_e32 0x7f800000, v7
	s_xor_b32 s41, exec_lo, s41
; %bb.2270:                             ;   in Loop: Header=BB12_2089 Depth=3
	v_bfe_u32 v7, v6, 16, 1
	s_delay_alu instid0(VALU_DEP_1)
	v_add3_u32 v101, v6, v7, 0x7fff
                                        ; implicit-def: $vgpr6
; %bb.2271:                             ;   in Loop: Header=BB12_2089 Depth=3
	s_and_not1_saveexec_b32 s41, s41
; %bb.2272:                             ;   in Loop: Header=BB12_2089 Depth=3
	v_and_b32_e32 v7, 0xffff, v6
	v_or_b32_e32 v29, 0x10000, v6
	s_delay_alu instid0(VALU_DEP_2) | instskip(NEXT) | instid1(VALU_DEP_2)
	v_cmp_eq_u32_e32 vcc_lo, 0, v7
	v_cndmask_b32_e32 v101, v29, v6, vcc_lo
; %bb.2273:                             ;   in Loop: Header=BB12_2089 Depth=3
	s_or_b32 exec_lo, exec_lo, s41
	v_and_b32_e32 v7, 0xffff0000, v98
	v_and_b32_e32 v6, 0xffff0000, v86
	s_mov_b32 s41, exec_lo
                                        ; implicit-def: $vgpr86
	s_delay_alu instid0(VALU_DEP_2) | instskip(NEXT) | instid1(VALU_DEP_1)
	v_mov_b32_e32 v84, v7
	v_pk_mul_f32 v[84:85], v[84:85], v[6:7]
	s_delay_alu instid0(VALU_DEP_1) | instskip(NEXT) | instid1(VALU_DEP_1)
	v_and_b32_e32 v6, 0x7f800000, v84
	v_cmpx_ne_u32_e32 0x7f800000, v6
	s_xor_b32 s41, exec_lo, s41
; %bb.2274:                             ;   in Loop: Header=BB12_2089 Depth=3
	v_bfe_u32 v6, v84, 16, 1
	s_delay_alu instid0(VALU_DEP_1)
	v_add3_u32 v86, v84, v6, 0x7fff
                                        ; implicit-def: $vgpr84_vgpr85
; %bb.2275:                             ;   in Loop: Header=BB12_2089 Depth=3
	s_and_not1_saveexec_b32 s41, s41
; %bb.2276:                             ;   in Loop: Header=BB12_2089 Depth=3
	v_and_b32_e32 v6, 0xffff, v84
	v_or_b32_e32 v7, 0x10000, v84
	s_delay_alu instid0(VALU_DEP_2) | instskip(NEXT) | instid1(VALU_DEP_2)
	v_cmp_eq_u32_e32 vcc_lo, 0, v6
	v_cndmask_b32_e32 v86, v7, v84, vcc_lo
; %bb.2277:                             ;   in Loop: Header=BB12_2089 Depth=3
	s_or_b32 exec_lo, exec_lo, s41
	v_lshlrev_b32_e32 v6, 16, v87
	v_lshlrev_b32_e32 v7, 16, v99
	s_mov_b32 s41, exec_lo
                                        ; implicit-def: $vgpr98
	s_delay_alu instid0(VALU_DEP_1) | instskip(NEXT) | instid1(VALU_DEP_1)
	v_mul_f32_e32 v6, v7, v6
	v_and_b32_e32 v7, 0x7f800000, v6
	s_delay_alu instid0(VALU_DEP_1)
	v_cmpx_ne_u32_e32 0x7f800000, v7
	s_xor_b32 s41, exec_lo, s41
; %bb.2278:                             ;   in Loop: Header=BB12_2089 Depth=3
	v_bfe_u32 v7, v6, 16, 1
	s_delay_alu instid0(VALU_DEP_1)
	v_add3_u32 v98, v6, v7, 0x7fff
                                        ; implicit-def: $vgpr6
; %bb.2279:                             ;   in Loop: Header=BB12_2089 Depth=3
	s_and_not1_saveexec_b32 s41, s41
; %bb.2280:                             ;   in Loop: Header=BB12_2089 Depth=3
	v_and_b32_e32 v7, 0xffff, v6
	v_or_b32_e32 v29, 0x10000, v6
	s_delay_alu instid0(VALU_DEP_2) | instskip(NEXT) | instid1(VALU_DEP_2)
	v_cmp_eq_u32_e32 vcc_lo, 0, v7
	v_cndmask_b32_e32 v98, v29, v6, vcc_lo
; %bb.2281:                             ;   in Loop: Header=BB12_2089 Depth=3
	s_or_b32 exec_lo, exec_lo, s41
	v_and_b32_e32 v7, 0xffff0000, v99
	v_and_b32_e32 v6, 0xffff0000, v87
	s_mov_b32 s41, exec_lo
                                        ; implicit-def: $vgpr87
	s_delay_alu instid0(VALU_DEP_2) | instskip(NEXT) | instid1(VALU_DEP_1)
	v_mov_b32_e32 v84, v7
	v_pk_mul_f32 v[84:85], v[84:85], v[6:7]
	s_delay_alu instid0(VALU_DEP_1) | instskip(NEXT) | instid1(VALU_DEP_1)
	v_and_b32_e32 v6, 0x7f800000, v84
	v_cmpx_ne_u32_e32 0x7f800000, v6
	s_xor_b32 s41, exec_lo, s41
; %bb.2282:                             ;   in Loop: Header=BB12_2089 Depth=3
	v_bfe_u32 v6, v84, 16, 1
	s_delay_alu instid0(VALU_DEP_1)
	v_add3_u32 v87, v84, v6, 0x7fff
                                        ; implicit-def: $vgpr84_vgpr85
; %bb.2283:                             ;   in Loop: Header=BB12_2089 Depth=3
	s_and_not1_saveexec_b32 s41, s41
; %bb.2284:                             ;   in Loop: Header=BB12_2089 Depth=3
	v_and_b32_e32 v6, 0xffff, v84
	v_or_b32_e32 v7, 0x10000, v84
	s_delay_alu instid0(VALU_DEP_2) | instskip(NEXT) | instid1(VALU_DEP_2)
	v_cmp_eq_u32_e32 vcc_lo, 0, v6
	v_cndmask_b32_e32 v87, v7, v84, vcc_lo
; %bb.2285:                             ;   in Loop: Header=BB12_2089 Depth=3
	s_or_b32 exec_lo, exec_lo, s41
	v_lshlrev_b32_e32 v6, 16, v64
	s_wait_loadcnt 0x1
	v_lshlrev_b32_e32 v7, 16, v68
	s_mov_b32 s41, exec_lo
                                        ; implicit-def: $vgpr99
	s_delay_alu instid0(VALU_DEP_1) | instskip(NEXT) | instid1(VALU_DEP_1)
	v_mul_f32_e32 v6, v7, v6
	v_and_b32_e32 v7, 0x7f800000, v6
	s_delay_alu instid0(VALU_DEP_1)
	v_cmpx_ne_u32_e32 0x7f800000, v7
	s_xor_b32 s41, exec_lo, s41
; %bb.2286:                             ;   in Loop: Header=BB12_2089 Depth=3
	v_bfe_u32 v7, v6, 16, 1
	s_delay_alu instid0(VALU_DEP_1)
	v_add3_u32 v99, v6, v7, 0x7fff
                                        ; implicit-def: $vgpr6
; %bb.2287:                             ;   in Loop: Header=BB12_2089 Depth=3
	s_and_not1_saveexec_b32 s41, s41
; %bb.2288:                             ;   in Loop: Header=BB12_2089 Depth=3
	v_and_b32_e32 v7, 0xffff, v6
	v_or_b32_e32 v29, 0x10000, v6
	s_delay_alu instid0(VALU_DEP_2) | instskip(NEXT) | instid1(VALU_DEP_2)
	v_cmp_eq_u32_e32 vcc_lo, 0, v7
	v_cndmask_b32_e32 v99, v29, v6, vcc_lo
; %bb.2289:                             ;   in Loop: Header=BB12_2089 Depth=3
	s_or_b32 exec_lo, exec_lo, s41
	v_and_b32_e32 v7, 0xffff0000, v68
	v_and_b32_e32 v6, 0xffff0000, v64
	s_mov_b32 s41, exec_lo
                                        ; implicit-def: $vgpr68
	s_delay_alu instid0(VALU_DEP_2) | instskip(NEXT) | instid1(VALU_DEP_1)
	v_mov_b32_e32 v64, v7
	v_pk_mul_f32 v[84:85], v[64:65], v[6:7]
	s_delay_alu instid0(VALU_DEP_1) | instskip(NEXT) | instid1(VALU_DEP_1)
	v_and_b32_e32 v6, 0x7f800000, v84
	v_cmpx_ne_u32_e32 0x7f800000, v6
	s_xor_b32 s41, exec_lo, s41
; %bb.2290:                             ;   in Loop: Header=BB12_2089 Depth=3
	v_bfe_u32 v6, v84, 16, 1
	s_delay_alu instid0(VALU_DEP_1)
	v_add3_u32 v68, v84, v6, 0x7fff
                                        ; implicit-def: $vgpr84_vgpr85
; %bb.2291:                             ;   in Loop: Header=BB12_2089 Depth=3
	s_and_not1_saveexec_b32 s41, s41
; %bb.2292:                             ;   in Loop: Header=BB12_2089 Depth=3
	v_and_b32_e32 v6, 0xffff, v84
	v_or_b32_e32 v7, 0x10000, v84
	s_delay_alu instid0(VALU_DEP_2) | instskip(NEXT) | instid1(VALU_DEP_2)
	v_cmp_eq_u32_e32 vcc_lo, 0, v6
	v_cndmask_b32_e32 v68, v7, v84, vcc_lo
; %bb.2293:                             ;   in Loop: Header=BB12_2089 Depth=3
	s_or_b32 exec_lo, exec_lo, s41
	v_lshlrev_b32_e32 v6, 16, v65
	v_lshlrev_b32_e32 v7, 16, v69
	s_mov_b32 s41, exec_lo
                                        ; implicit-def: $vgpr84
	s_delay_alu instid0(VALU_DEP_1) | instskip(NEXT) | instid1(VALU_DEP_1)
	v_mul_f32_e32 v6, v7, v6
	v_and_b32_e32 v7, 0x7f800000, v6
	s_delay_alu instid0(VALU_DEP_1)
	v_cmpx_ne_u32_e32 0x7f800000, v7
	s_xor_b32 s41, exec_lo, s41
; %bb.2294:                             ;   in Loop: Header=BB12_2089 Depth=3
	v_bfe_u32 v7, v6, 16, 1
	s_delay_alu instid0(VALU_DEP_1)
	v_add3_u32 v84, v6, v7, 0x7fff
                                        ; implicit-def: $vgpr6
; %bb.2295:                             ;   in Loop: Header=BB12_2089 Depth=3
	s_and_not1_saveexec_b32 s41, s41
; %bb.2296:                             ;   in Loop: Header=BB12_2089 Depth=3
	v_and_b32_e32 v7, 0xffff, v6
	v_or_b32_e32 v29, 0x10000, v6
	s_delay_alu instid0(VALU_DEP_2) | instskip(NEXT) | instid1(VALU_DEP_2)
	v_cmp_eq_u32_e32 vcc_lo, 0, v7
	v_cndmask_b32_e32 v84, v29, v6, vcc_lo
; %bb.2297:                             ;   in Loop: Header=BB12_2089 Depth=3
	s_or_b32 exec_lo, exec_lo, s41
	v_and_b32_e32 v7, 0xffff0000, v69
	v_and_b32_e32 v6, 0xffff0000, v65
	s_mov_b32 s41, exec_lo
                                        ; implicit-def: $vgpr69
	s_delay_alu instid0(VALU_DEP_2) | instskip(NEXT) | instid1(VALU_DEP_1)
	v_mov_b32_e32 v64, v7
	v_pk_mul_f32 v[64:65], v[64:65], v[6:7]
	s_delay_alu instid0(VALU_DEP_1) | instskip(NEXT) | instid1(VALU_DEP_1)
	v_and_b32_e32 v6, 0x7f800000, v64
	v_cmpx_ne_u32_e32 0x7f800000, v6
	s_xor_b32 s41, exec_lo, s41
; %bb.2298:                             ;   in Loop: Header=BB12_2089 Depth=3
	v_bfe_u32 v6, v64, 16, 1
	s_delay_alu instid0(VALU_DEP_1)
	v_add3_u32 v69, v64, v6, 0x7fff
                                        ; implicit-def: $vgpr64_vgpr65
; %bb.2299:                             ;   in Loop: Header=BB12_2089 Depth=3
	s_and_not1_saveexec_b32 s41, s41
; %bb.2300:                             ;   in Loop: Header=BB12_2089 Depth=3
	v_and_b32_e32 v6, 0xffff, v64
	v_or_b32_e32 v7, 0x10000, v64
	s_delay_alu instid0(VALU_DEP_2) | instskip(NEXT) | instid1(VALU_DEP_2)
	v_cmp_eq_u32_e32 vcc_lo, 0, v6
	v_cndmask_b32_e32 v69, v7, v64, vcc_lo
; %bb.2301:                             ;   in Loop: Header=BB12_2089 Depth=3
	s_or_b32 exec_lo, exec_lo, s41
	v_lshlrev_b32_e32 v6, 16, v66
	v_lshlrev_b32_e32 v7, 16, v70
	s_delay_alu instid0(VALU_DEP_1) | instskip(NEXT) | instid1(VALU_DEP_1)
	v_mul_f32_e32 v7, v7, v6
	v_and_b32_e32 v6, 0x7f800000, v7
	s_delay_alu instid0(VALU_DEP_1) | instskip(SKIP_1) | instid1(SALU_CYCLE_1)
	v_cmp_ne_u32_e32 vcc_lo, 0x7f800000, v6
                                        ; implicit-def: $vgpr6
	s_and_saveexec_b32 s41, vcc_lo
	s_xor_b32 s41, exec_lo, s41
; %bb.2302:                             ;   in Loop: Header=BB12_2089 Depth=3
	v_bfe_u32 v6, v7, 16, 1
	s_delay_alu instid0(VALU_DEP_1)
	v_add3_u32 v6, v7, v6, 0x7fff
                                        ; implicit-def: $vgpr7
; %bb.2303:                             ;   in Loop: Header=BB12_2089 Depth=3
	s_and_not1_saveexec_b32 s41, s41
; %bb.2304:                             ;   in Loop: Header=BB12_2089 Depth=3
	v_and_b32_e32 v6, 0xffff, v7
	v_or_b32_e32 v29, 0x10000, v7
	s_delay_alu instid0(VALU_DEP_2) | instskip(NEXT) | instid1(VALU_DEP_2)
	v_cmp_eq_u32_e32 vcc_lo, 0, v6
	v_cndmask_b32_e32 v6, v29, v7, vcc_lo
; %bb.2305:                             ;   in Loop: Header=BB12_2089 Depth=3
	s_or_b32 exec_lo, exec_lo, s41
	v_and_b32_e32 v65, 0xffff0000, v70
	v_and_b32_e32 v64, 0xffff0000, v66
	s_delay_alu instid0(VALU_DEP_2) | instskip(NEXT) | instid1(VALU_DEP_1)
	v_mov_b32_e32 v66, v65
	v_pk_mul_f32 v[64:65], v[66:67], v[64:65]
	s_delay_alu instid0(VALU_DEP_1) | instskip(NEXT) | instid1(VALU_DEP_1)
	v_and_b32_e32 v7, 0x7f800000, v64
	v_cmp_ne_u32_e32 vcc_lo, 0x7f800000, v7
                                        ; implicit-def: $vgpr7
	s_and_saveexec_b32 s41, vcc_lo
	s_delay_alu instid0(SALU_CYCLE_1)
	s_xor_b32 s41, exec_lo, s41
; %bb.2306:                             ;   in Loop: Header=BB12_2089 Depth=3
	v_bfe_u32 v7, v64, 16, 1
	s_delay_alu instid0(VALU_DEP_1)
	v_add3_u32 v7, v64, v7, 0x7fff
                                        ; implicit-def: $vgpr64_vgpr65
; %bb.2307:                             ;   in Loop: Header=BB12_2089 Depth=3
	s_and_not1_saveexec_b32 s41, s41
; %bb.2308:                             ;   in Loop: Header=BB12_2089 Depth=3
	v_and_b32_e32 v7, 0xffff, v64
	v_or_b32_e32 v29, 0x10000, v64
	s_delay_alu instid0(VALU_DEP_2) | instskip(NEXT) | instid1(VALU_DEP_2)
	v_cmp_eq_u32_e32 vcc_lo, 0, v7
	v_cndmask_b32_e32 v7, v29, v64, vcc_lo
; %bb.2309:                             ;   in Loop: Header=BB12_2089 Depth=3
	s_or_b32 exec_lo, exec_lo, s41
	v_lshlrev_b32_e32 v29, 16, v67
	v_lshlrev_b32_e32 v64, 16, v71
	s_mov_b32 s41, exec_lo
                                        ; implicit-def: $vgpr66
	s_delay_alu instid0(VALU_DEP_1) | instskip(NEXT) | instid1(VALU_DEP_1)
	v_mul_f32_e32 v29, v64, v29
	v_and_b32_e32 v64, 0x7f800000, v29
	s_delay_alu instid0(VALU_DEP_1)
	v_cmpx_ne_u32_e32 0x7f800000, v64
	s_xor_b32 s41, exec_lo, s41
; %bb.2310:                             ;   in Loop: Header=BB12_2089 Depth=3
	v_bfe_u32 v64, v29, 16, 1
	s_delay_alu instid0(VALU_DEP_1)
	v_add3_u32 v66, v29, v64, 0x7fff
                                        ; implicit-def: $vgpr29
; %bb.2311:                             ;   in Loop: Header=BB12_2089 Depth=3
	s_and_not1_saveexec_b32 s41, s41
; %bb.2312:                             ;   in Loop: Header=BB12_2089 Depth=3
	v_and_b32_e32 v64, 0xffff, v29
	v_or_b32_e32 v65, 0x10000, v29
	s_delay_alu instid0(VALU_DEP_2) | instskip(NEXT) | instid1(VALU_DEP_2)
	v_cmp_eq_u32_e32 vcc_lo, 0, v64
	v_cndmask_b32_e32 v66, v65, v29, vcc_lo
; %bb.2313:                             ;   in Loop: Header=BB12_2089 Depth=3
	s_or_b32 exec_lo, exec_lo, s41
	v_and_b32_e32 v65, 0xffff0000, v71
	v_and_b32_e32 v64, 0xffff0000, v67
	s_mov_b32 s41, exec_lo
                                        ; implicit-def: $vgpr67
	s_delay_alu instid0(VALU_DEP_2) | instskip(NEXT) | instid1(VALU_DEP_1)
	v_mov_b32_e32 v70, v65
	v_pk_mul_f32 v[64:65], v[70:71], v[64:65]
	s_delay_alu instid0(VALU_DEP_1) | instskip(NEXT) | instid1(VALU_DEP_1)
	v_and_b32_e32 v29, 0x7f800000, v64
	v_cmpx_ne_u32_e32 0x7f800000, v29
	s_xor_b32 s41, exec_lo, s41
; %bb.2314:                             ;   in Loop: Header=BB12_2089 Depth=3
	v_bfe_u32 v29, v64, 16, 1
	s_delay_alu instid0(VALU_DEP_1)
	v_add3_u32 v67, v64, v29, 0x7fff
                                        ; implicit-def: $vgpr64_vgpr65
; %bb.2315:                             ;   in Loop: Header=BB12_2089 Depth=3
	s_and_not1_saveexec_b32 s41, s41
; %bb.2316:                             ;   in Loop: Header=BB12_2089 Depth=3
	v_and_b32_e32 v29, 0xffff, v64
	v_or_b32_e32 v65, 0x10000, v64
	s_delay_alu instid0(VALU_DEP_2) | instskip(NEXT) | instid1(VALU_DEP_2)
	v_cmp_eq_u32_e32 vcc_lo, 0, v29
	v_cndmask_b32_e32 v67, v65, v64, vcc_lo
; %bb.2317:                             ;   in Loop: Header=BB12_2089 Depth=3
	s_or_b32 exec_lo, exec_lo, s41
	v_lshlrev_b32_e32 v29, 16, v48
	s_wait_loadcnt 0x0
	v_lshlrev_b32_e32 v64, 16, v52
	s_mov_b32 s41, exec_lo
                                        ; implicit-def: $vgpr70
	s_delay_alu instid0(VALU_DEP_1) | instskip(NEXT) | instid1(VALU_DEP_1)
	v_mul_f32_e32 v29, v64, v29
	v_and_b32_e32 v64, 0x7f800000, v29
	s_delay_alu instid0(VALU_DEP_1)
	v_cmpx_ne_u32_e32 0x7f800000, v64
	s_xor_b32 s41, exec_lo, s41
; %bb.2318:                             ;   in Loop: Header=BB12_2089 Depth=3
	v_bfe_u32 v64, v29, 16, 1
	s_delay_alu instid0(VALU_DEP_1)
	v_add3_u32 v70, v29, v64, 0x7fff
                                        ; implicit-def: $vgpr29
; %bb.2319:                             ;   in Loop: Header=BB12_2089 Depth=3
	s_and_not1_saveexec_b32 s41, s41
; %bb.2320:                             ;   in Loop: Header=BB12_2089 Depth=3
	v_and_b32_e32 v64, 0xffff, v29
	v_or_b32_e32 v65, 0x10000, v29
	s_delay_alu instid0(VALU_DEP_2) | instskip(NEXT) | instid1(VALU_DEP_2)
	v_cmp_eq_u32_e32 vcc_lo, 0, v64
	v_cndmask_b32_e32 v70, v65, v29, vcc_lo
; %bb.2321:                             ;   in Loop: Header=BB12_2089 Depth=3
	s_or_b32 exec_lo, exec_lo, s41
	v_and_b32_e32 v65, 0xffff0000, v52
	v_and_b32_e32 v64, 0xffff0000, v48
	s_mov_b32 s41, exec_lo
                                        ; implicit-def: $vgpr52
	s_delay_alu instid0(VALU_DEP_2) | instskip(NEXT) | instid1(VALU_DEP_1)
	v_mov_b32_e32 v48, v65
	v_pk_mul_f32 v[64:65], v[48:49], v[64:65]
	s_delay_alu instid0(VALU_DEP_1) | instskip(NEXT) | instid1(VALU_DEP_1)
	v_and_b32_e32 v29, 0x7f800000, v64
	v_cmpx_ne_u32_e32 0x7f800000, v29
	s_xor_b32 s41, exec_lo, s41
; %bb.2322:                             ;   in Loop: Header=BB12_2089 Depth=3
	v_bfe_u32 v29, v64, 16, 1
	s_delay_alu instid0(VALU_DEP_1)
	v_add3_u32 v52, v64, v29, 0x7fff
                                        ; implicit-def: $vgpr64_vgpr65
; %bb.2323:                             ;   in Loop: Header=BB12_2089 Depth=3
	s_and_not1_saveexec_b32 s41, s41
; %bb.2324:                             ;   in Loop: Header=BB12_2089 Depth=3
	v_and_b32_e32 v29, 0xffff, v64
	v_or_b32_e32 v48, 0x10000, v64
	s_delay_alu instid0(VALU_DEP_2) | instskip(NEXT) | instid1(VALU_DEP_2)
	v_cmp_eq_u32_e32 vcc_lo, 0, v29
	v_cndmask_b32_e32 v52, v48, v64, vcc_lo
; %bb.2325:                             ;   in Loop: Header=BB12_2089 Depth=3
	s_or_b32 exec_lo, exec_lo, s41
	v_lshlrev_b32_e32 v29, 16, v49
	v_lshlrev_b32_e32 v48, 16, v53
	s_mov_b32 s41, exec_lo
                                        ; implicit-def: $vgpr64
	s_delay_alu instid0(VALU_DEP_1) | instskip(NEXT) | instid1(VALU_DEP_1)
	v_mul_f32_e32 v29, v48, v29
	v_and_b32_e32 v48, 0x7f800000, v29
	s_delay_alu instid0(VALU_DEP_1)
	v_cmpx_ne_u32_e32 0x7f800000, v48
	s_xor_b32 s41, exec_lo, s41
; %bb.2326:                             ;   in Loop: Header=BB12_2089 Depth=3
	v_bfe_u32 v48, v29, 16, 1
	s_delay_alu instid0(VALU_DEP_1)
	v_add3_u32 v64, v29, v48, 0x7fff
                                        ; implicit-def: $vgpr29
; %bb.2327:                             ;   in Loop: Header=BB12_2089 Depth=3
	s_and_not1_saveexec_b32 s41, s41
; %bb.2328:                             ;   in Loop: Header=BB12_2089 Depth=3
	v_and_b32_e32 v48, 0xffff, v29
	v_or_b32_e32 v64, 0x10000, v29
	s_delay_alu instid0(VALU_DEP_2) | instskip(NEXT) | instid1(VALU_DEP_2)
	v_cmp_eq_u32_e32 vcc_lo, 0, v48
	v_cndmask_b32_e32 v64, v64, v29, vcc_lo
; %bb.2329:                             ;   in Loop: Header=BB12_2089 Depth=3
	s_or_b32 exec_lo, exec_lo, s41
	v_and_b32_e32 v45, 0xffff0000, v53
	v_and_b32_e32 v44, 0xffff0000, v49
	s_delay_alu instid0(VALU_DEP_2) | instskip(NEXT) | instid1(VALU_DEP_1)
	v_mov_b32_e32 v48, v45
	v_pk_mul_f32 v[48:49], v[48:49], v[44:45]
	s_delay_alu instid0(VALU_DEP_1) | instskip(NEXT) | instid1(VALU_DEP_1)
	v_and_b32_e32 v29, 0x7f800000, v48
	v_cmp_ne_u32_e32 vcc_lo, 0x7f800000, v29
                                        ; implicit-def: $vgpr29
	s_and_saveexec_b32 s41, vcc_lo
	s_delay_alu instid0(SALU_CYCLE_1)
	s_xor_b32 s41, exec_lo, s41
; %bb.2330:                             ;   in Loop: Header=BB12_2089 Depth=3
	v_bfe_u32 v29, v48, 16, 1
	s_delay_alu instid0(VALU_DEP_1)
	v_add3_u32 v29, v48, v29, 0x7fff
                                        ; implicit-def: $vgpr48_vgpr49
; %bb.2331:                             ;   in Loop: Header=BB12_2089 Depth=3
	s_and_not1_saveexec_b32 s41, s41
; %bb.2332:                             ;   in Loop: Header=BB12_2089 Depth=3
	v_and_b32_e32 v29, 0xffff, v48
	v_or_b32_e32 v49, 0x10000, v48
	s_delay_alu instid0(VALU_DEP_2) | instskip(NEXT) | instid1(VALU_DEP_2)
	v_cmp_eq_u32_e32 vcc_lo, 0, v29
	v_cndmask_b32_e32 v29, v49, v48, vcc_lo
; %bb.2333:                             ;   in Loop: Header=BB12_2089 Depth=3
	s_or_b32 exec_lo, exec_lo, s41
	v_lshlrev_b32_e32 v48, 16, v50
	v_lshlrev_b32_e32 v49, 16, v54
	s_mov_b32 s41, exec_lo
                                        ; implicit-def: $vgpr53
	s_delay_alu instid0(VALU_DEP_1) | instskip(NEXT) | instid1(VALU_DEP_1)
	v_mul_f32_e32 v48, v49, v48
	v_and_b32_e32 v49, 0x7f800000, v48
	s_delay_alu instid0(VALU_DEP_1)
	v_cmpx_ne_u32_e32 0x7f800000, v49
	s_xor_b32 s41, exec_lo, s41
; %bb.2334:                             ;   in Loop: Header=BB12_2089 Depth=3
	v_bfe_u32 v49, v48, 16, 1
	s_delay_alu instid0(VALU_DEP_1)
	v_add3_u32 v53, v48, v49, 0x7fff
                                        ; implicit-def: $vgpr48
; %bb.2335:                             ;   in Loop: Header=BB12_2089 Depth=3
	s_and_not1_saveexec_b32 s41, s41
; %bb.2336:                             ;   in Loop: Header=BB12_2089 Depth=3
	v_and_b32_e32 v49, 0xffff, v48
	v_or_b32_e32 v53, 0x10000, v48
	s_delay_alu instid0(VALU_DEP_2) | instskip(NEXT) | instid1(VALU_DEP_2)
	v_cmp_eq_u32_e32 vcc_lo, 0, v49
	v_cndmask_b32_e32 v53, v53, v48, vcc_lo
; %bb.2337:                             ;   in Loop: Header=BB12_2089 Depth=3
	s_or_b32 exec_lo, exec_lo, s41
	v_and_b32_e32 v49, 0xffff0000, v54
	v_and_b32_e32 v48, 0xffff0000, v50
	s_mov_b32 s41, exec_lo
	s_delay_alu instid0(VALU_DEP_2) | instskip(NEXT) | instid1(VALU_DEP_1)
	v_mov_b32_e32 v50, v49
	v_pk_mul_f32 v[48:49], v[50:51], v[48:49]
                                        ; implicit-def: $vgpr50
	s_delay_alu instid0(VALU_DEP_1) | instskip(NEXT) | instid1(VALU_DEP_1)
	v_and_b32_e32 v49, 0x7f800000, v48
	v_cmpx_ne_u32_e32 0x7f800000, v49
	s_xor_b32 s41, exec_lo, s41
; %bb.2338:                             ;   in Loop: Header=BB12_2089 Depth=3
	v_bfe_u32 v49, v48, 16, 1
	s_delay_alu instid0(VALU_DEP_1)
	v_add3_u32 v50, v48, v49, 0x7fff
                                        ; implicit-def: $vgpr48_vgpr49
; %bb.2339:                             ;   in Loop: Header=BB12_2089 Depth=3
	s_and_not1_saveexec_b32 s41, s41
; %bb.2340:                             ;   in Loop: Header=BB12_2089 Depth=3
	v_and_b32_e32 v49, 0xffff, v48
	v_or_b32_e32 v50, 0x10000, v48
	s_delay_alu instid0(VALU_DEP_2) | instskip(NEXT) | instid1(VALU_DEP_2)
	v_cmp_eq_u32_e32 vcc_lo, 0, v49
	v_cndmask_b32_e32 v50, v50, v48, vcc_lo
; %bb.2341:                             ;   in Loop: Header=BB12_2089 Depth=3
	s_or_b32 exec_lo, exec_lo, s41
	v_lshlrev_b32_e32 v48, 16, v51
	v_lshlrev_b32_e32 v49, 16, v55
	s_mov_b32 s41, exec_lo
                                        ; implicit-def: $vgpr54
	s_delay_alu instid0(VALU_DEP_1) | instskip(NEXT) | instid1(VALU_DEP_1)
	v_mul_f32_e32 v48, v49, v48
	v_and_b32_e32 v49, 0x7f800000, v48
	s_delay_alu instid0(VALU_DEP_1)
	v_cmpx_ne_u32_e32 0x7f800000, v49
	s_xor_b32 s41, exec_lo, s41
; %bb.2342:                             ;   in Loop: Header=BB12_2089 Depth=3
	v_bfe_u32 v49, v48, 16, 1
	s_delay_alu instid0(VALU_DEP_1)
	v_add3_u32 v54, v48, v49, 0x7fff
                                        ; implicit-def: $vgpr48
; %bb.2343:                             ;   in Loop: Header=BB12_2089 Depth=3
	s_and_not1_saveexec_b32 s41, s41
; %bb.2344:                             ;   in Loop: Header=BB12_2089 Depth=3
	v_and_b32_e32 v49, 0xffff, v48
	v_or_b32_e32 v54, 0x10000, v48
	s_delay_alu instid0(VALU_DEP_2) | instskip(NEXT) | instid1(VALU_DEP_2)
	v_cmp_eq_u32_e32 vcc_lo, 0, v49
	v_cndmask_b32_e32 v54, v54, v48, vcc_lo
; %bb.2345:                             ;   in Loop: Header=BB12_2089 Depth=3
	s_or_b32 exec_lo, exec_lo, s41
	v_and_b32_e32 v49, 0xffff0000, v55
	v_and_b32_e32 v48, 0xffff0000, v51
	s_mov_b32 s41, exec_lo
                                        ; implicit-def: $vgpr51
	s_delay_alu instid0(VALU_DEP_2) | instskip(NEXT) | instid1(VALU_DEP_1)
	v_mov_b32_e32 v44, v49
	v_pk_mul_f32 v[48:49], v[44:45], v[48:49]
	s_delay_alu instid0(VALU_DEP_1) | instskip(NEXT) | instid1(VALU_DEP_1)
	v_and_b32_e32 v49, 0x7f800000, v48
	v_cmpx_ne_u32_e32 0x7f800000, v49
	s_xor_b32 s41, exec_lo, s41
; %bb.2346:                             ;   in Loop: Header=BB12_2089 Depth=3
	v_bfe_u32 v49, v48, 16, 1
	s_delay_alu instid0(VALU_DEP_1)
	v_add3_u32 v51, v48, v49, 0x7fff
                                        ; implicit-def: $vgpr48_vgpr49
; %bb.2347:                             ;   in Loop: Header=BB12_2089 Depth=3
	s_and_not1_saveexec_b32 s41, s41
	s_cbranch_execz .LBB12_2088
; %bb.2348:                             ;   in Loop: Header=BB12_2089 Depth=3
	v_and_b32_e32 v49, 0xffff, v48
	v_or_b32_e32 v51, 0x10000, v48
	s_delay_alu instid0(VALU_DEP_2) | instskip(NEXT) | instid1(VALU_DEP_2)
	v_cmp_eq_u32_e32 vcc_lo, 0, v49
	v_cndmask_b32_e32 v51, v51, v48, vcc_lo
	s_branch .LBB12_2088
.LBB12_2349:                            ;   in Loop: Header=BB12_1247 Depth=2
	v_cmp_lt_i32_e64 s13, 0, v120
	s_and_saveexec_b32 s14, s2
	s_cbranch_execnz .LBB12_2827
	s_branch .LBB12_2845
.LBB12_2350:                            ;   in Loop: Header=BB12_1247 Depth=2
	s_mov_b32 s76, 0
	v_mov_b32_e32 v10, 0
	s_and_not1_b32 vcc_lo, exec_lo, s13
	s_cbranch_vccz .LBB12_2086
.LBB12_2351:                            ;   in Loop: Header=BB12_1247 Depth=2
	s_clause 0x1
	scratch_load_b32 v11, off, s33 offset:316
	scratch_load_b32 v0, off, s33 offset:312
	s_wait_xcnt 0x0
	s_and_saveexec_b32 s15, s76
	s_cbranch_execnz .LBB12_2599
	s_branch .LBB12_2826
.LBB12_2352:                            ;   in Loop: Header=BB12_1247 Depth=2
	s_or_b32 exec_lo, exec_lo, s14
	scratch_load_b64 v[44:45], off, s33 offset:360 ; 8-byte Folded Reload
	v_lshlrev_b32_e32 v123, 1, v120
	s_and_b32 s14, s15, exec_lo
.LBB12_2353:                            ;   in Loop: Header=BB12_1247 Depth=2
	s_wait_xcnt 0x0
	s_or_b32 exec_lo, exec_lo, s13
	s_and_saveexec_b32 s13, s14
	s_cbranch_execz .LBB12_2483
; %bb.2354:                             ;   in Loop: Header=BB12_1247 Depth=2
	v_lshlrev_b32_e32 v2, 16, v80
	v_lshlrev_b32_e32 v4, 16, v32
	s_delay_alu instid0(VALU_DEP_1) | instskip(NEXT) | instid1(VALU_DEP_1)
	v_mul_f32_e32 v4, v4, v2
	v_and_b32_e32 v2, 0x7f800000, v4
	s_delay_alu instid0(VALU_DEP_1) | instskip(SKIP_1) | instid1(SALU_CYCLE_1)
	v_cmp_ne_u32_e32 vcc_lo, 0x7f800000, v2
                                        ; implicit-def: $vgpr2
	s_and_saveexec_b32 s14, vcc_lo
	s_xor_b32 s14, exec_lo, s14
; %bb.2355:                             ;   in Loop: Header=BB12_1247 Depth=2
	v_bfe_u32 v2, v4, 16, 1
	s_delay_alu instid0(VALU_DEP_1)
	v_add3_u32 v2, v4, v2, 0x7fff
                                        ; implicit-def: $vgpr4
; %bb.2356:                             ;   in Loop: Header=BB12_1247 Depth=2
	s_and_not1_saveexec_b32 s14, s14
; %bb.2357:                             ;   in Loop: Header=BB12_1247 Depth=2
	v_and_b32_e32 v2, 0xffff, v4
	v_or_b32_e32 v5, 0x10000, v4
	s_delay_alu instid0(VALU_DEP_2) | instskip(NEXT) | instid1(VALU_DEP_2)
	v_cmp_eq_u32_e32 vcc_lo, 0, v2
	v_cndmask_b32_e32 v2, v5, v4, vcc_lo
; %bb.2358:                             ;   in Loop: Header=BB12_1247 Depth=2
	s_or_b32 exec_lo, exec_lo, s14
	v_and_b32_e32 v5, 0xffff0000, v80
	v_and_b32_e32 v4, 0xffff0000, v32
	s_mov_b32 s14, exec_lo
                                        ; implicit-def: $vgpr32
	s_delay_alu instid0(VALU_DEP_2) | instskip(NEXT) | instid1(VALU_DEP_1)
	v_mov_b32_e32 v6, v5
	v_pk_mul_f32 v[4:5], v[6:7], v[4:5]
	s_delay_alu instid0(VALU_DEP_1) | instskip(NEXT) | instid1(VALU_DEP_1)
	v_and_b32_e32 v5, 0x7f800000, v4
	v_cmpx_ne_u32_e32 0x7f800000, v5
	s_xor_b32 s14, exec_lo, s14
; %bb.2359:                             ;   in Loop: Header=BB12_1247 Depth=2
	v_bfe_u32 v5, v4, 16, 1
	s_delay_alu instid0(VALU_DEP_1)
	v_add3_u32 v32, v4, v5, 0x7fff
                                        ; implicit-def: $vgpr4_vgpr5
; %bb.2360:                             ;   in Loop: Header=BB12_1247 Depth=2
	s_and_not1_saveexec_b32 s14, s14
; %bb.2361:                             ;   in Loop: Header=BB12_1247 Depth=2
	v_and_b32_e32 v5, 0xffff, v4
	v_or_b32_e32 v6, 0x10000, v4
	s_delay_alu instid0(VALU_DEP_2) | instskip(NEXT) | instid1(VALU_DEP_2)
	v_cmp_eq_u32_e32 vcc_lo, 0, v5
	v_cndmask_b32_e32 v32, v6, v4, vcc_lo
; %bb.2362:                             ;   in Loop: Header=BB12_1247 Depth=2
	s_or_b32 exec_lo, exec_lo, s14
	v_lshlrev_b32_e32 v4, 16, v33
	v_lshlrev_b32_e32 v5, 16, v81
	s_mov_b32 s14, exec_lo
                                        ; implicit-def: $vgpr48
	s_delay_alu instid0(VALU_DEP_1) | instskip(NEXT) | instid1(VALU_DEP_1)
	v_mul_f32_e32 v4, v5, v4
	v_and_b32_e32 v5, 0x7f800000, v4
	s_delay_alu instid0(VALU_DEP_1)
	v_cmpx_ne_u32_e32 0x7f800000, v5
	s_xor_b32 s14, exec_lo, s14
; %bb.2363:                             ;   in Loop: Header=BB12_1247 Depth=2
	v_bfe_u32 v5, v4, 16, 1
	s_delay_alu instid0(VALU_DEP_1)
	v_add3_u32 v48, v4, v5, 0x7fff
                                        ; implicit-def: $vgpr4
; %bb.2364:                             ;   in Loop: Header=BB12_1247 Depth=2
	s_and_not1_saveexec_b32 s14, s14
; %bb.2365:                             ;   in Loop: Header=BB12_1247 Depth=2
	v_and_b32_e32 v5, 0xffff, v4
	v_or_b32_e32 v6, 0x10000, v4
	s_delay_alu instid0(VALU_DEP_2) | instskip(NEXT) | instid1(VALU_DEP_2)
	v_cmp_eq_u32_e32 vcc_lo, 0, v5
	v_cndmask_b32_e32 v48, v6, v4, vcc_lo
; %bb.2366:                             ;   in Loop: Header=BB12_1247 Depth=2
	s_or_b32 exec_lo, exec_lo, s14
	v_and_b32_e32 v5, 0xffff0000, v81
	v_and_b32_e32 v4, 0xffff0000, v33
	s_mov_b32 s14, exec_lo
                                        ; implicit-def: $vgpr33
	s_delay_alu instid0(VALU_DEP_2) | instskip(NEXT) | instid1(VALU_DEP_1)
	v_mov_b32_e32 v6, v5
	v_pk_mul_f32 v[4:5], v[6:7], v[4:5]
	s_delay_alu instid0(VALU_DEP_1) | instskip(NEXT) | instid1(VALU_DEP_1)
	v_and_b32_e32 v5, 0x7f800000, v4
	v_cmpx_ne_u32_e32 0x7f800000, v5
	s_xor_b32 s14, exec_lo, s14
; %bb.2367:                             ;   in Loop: Header=BB12_1247 Depth=2
	v_bfe_u32 v5, v4, 16, 1
	s_delay_alu instid0(VALU_DEP_1)
	v_add3_u32 v33, v4, v5, 0x7fff
                                        ; implicit-def: $vgpr4_vgpr5
; %bb.2368:                             ;   in Loop: Header=BB12_1247 Depth=2
	s_and_not1_saveexec_b32 s14, s14
; %bb.2369:                             ;   in Loop: Header=BB12_1247 Depth=2
	v_and_b32_e32 v5, 0xffff, v4
	v_or_b32_e32 v6, 0x10000, v4
	s_delay_alu instid0(VALU_DEP_2) | instskip(NEXT) | instid1(VALU_DEP_2)
	v_cmp_eq_u32_e32 vcc_lo, 0, v5
	v_cndmask_b32_e32 v33, v6, v4, vcc_lo
; %bb.2370:                             ;   in Loop: Header=BB12_1247 Depth=2
	s_or_b32 exec_lo, exec_lo, s14
	v_lshlrev_b32_e32 v4, 16, v82
	v_lshlrev_b32_e32 v5, 16, v34
	s_mov_b32 s14, exec_lo
                                        ; implicit-def: $vgpr49
	s_delay_alu instid0(VALU_DEP_1) | instskip(NEXT) | instid1(VALU_DEP_1)
	v_mul_f32_e32 v4, v5, v4
	v_and_b32_e32 v5, 0x7f800000, v4
	s_delay_alu instid0(VALU_DEP_1)
	v_cmpx_ne_u32_e32 0x7f800000, v5
	s_xor_b32 s14, exec_lo, s14
; %bb.2371:                             ;   in Loop: Header=BB12_1247 Depth=2
	v_bfe_u32 v5, v4, 16, 1
	s_delay_alu instid0(VALU_DEP_1)
	v_add3_u32 v49, v4, v5, 0x7fff
                                        ; implicit-def: $vgpr4
; %bb.2372:                             ;   in Loop: Header=BB12_1247 Depth=2
	s_and_not1_saveexec_b32 s14, s14
; %bb.2373:                             ;   in Loop: Header=BB12_1247 Depth=2
	v_and_b32_e32 v5, 0xffff, v4
	v_or_b32_e32 v6, 0x10000, v4
	s_delay_alu instid0(VALU_DEP_2) | instskip(NEXT) | instid1(VALU_DEP_2)
	v_cmp_eq_u32_e32 vcc_lo, 0, v5
	v_cndmask_b32_e32 v49, v6, v4, vcc_lo
; %bb.2374:                             ;   in Loop: Header=BB12_1247 Depth=2
	s_or_b32 exec_lo, exec_lo, s14
	v_and_b32_e32 v5, 0xffff0000, v82
	v_and_b32_e32 v4, 0xffff0000, v34
	s_mov_b32 s14, exec_lo
                                        ; implicit-def: $vgpr34
	s_delay_alu instid0(VALU_DEP_2) | instskip(NEXT) | instid1(VALU_DEP_1)
	v_mov_b32_e32 v6, v5
	v_pk_mul_f32 v[4:5], v[6:7], v[4:5]
	s_delay_alu instid0(VALU_DEP_1) | instskip(NEXT) | instid1(VALU_DEP_1)
	v_and_b32_e32 v5, 0x7f800000, v4
	v_cmpx_ne_u32_e32 0x7f800000, v5
	s_xor_b32 s14, exec_lo, s14
; %bb.2375:                             ;   in Loop: Header=BB12_1247 Depth=2
	v_bfe_u32 v5, v4, 16, 1
	s_delay_alu instid0(VALU_DEP_1)
	v_add3_u32 v34, v4, v5, 0x7fff
                                        ; implicit-def: $vgpr4_vgpr5
; %bb.2376:                             ;   in Loop: Header=BB12_1247 Depth=2
	s_and_not1_saveexec_b32 s14, s14
; %bb.2377:                             ;   in Loop: Header=BB12_1247 Depth=2
	v_and_b32_e32 v5, 0xffff, v4
	v_or_b32_e32 v6, 0x10000, v4
	s_delay_alu instid0(VALU_DEP_2) | instskip(NEXT) | instid1(VALU_DEP_2)
	v_cmp_eq_u32_e32 vcc_lo, 0, v5
	v_cndmask_b32_e32 v34, v6, v4, vcc_lo
; %bb.2378:                             ;   in Loop: Header=BB12_1247 Depth=2
	s_or_b32 exec_lo, exec_lo, s14
	v_lshlrev_b32_e32 v4, 16, v35
	v_lshlrev_b32_e32 v5, 16, v83
	s_mov_b32 s14, exec_lo
                                        ; implicit-def: $vgpr50
	s_delay_alu instid0(VALU_DEP_1) | instskip(NEXT) | instid1(VALU_DEP_1)
	v_mul_f32_e32 v4, v5, v4
	v_and_b32_e32 v5, 0x7f800000, v4
	s_delay_alu instid0(VALU_DEP_1)
	v_cmpx_ne_u32_e32 0x7f800000, v5
	s_xor_b32 s14, exec_lo, s14
; %bb.2379:                             ;   in Loop: Header=BB12_1247 Depth=2
	v_bfe_u32 v5, v4, 16, 1
	s_delay_alu instid0(VALU_DEP_1)
	v_add3_u32 v50, v4, v5, 0x7fff
                                        ; implicit-def: $vgpr4
; %bb.2380:                             ;   in Loop: Header=BB12_1247 Depth=2
	s_and_not1_saveexec_b32 s14, s14
; %bb.2381:                             ;   in Loop: Header=BB12_1247 Depth=2
	v_and_b32_e32 v5, 0xffff, v4
	v_or_b32_e32 v6, 0x10000, v4
	s_delay_alu instid0(VALU_DEP_2) | instskip(NEXT) | instid1(VALU_DEP_2)
	v_cmp_eq_u32_e32 vcc_lo, 0, v5
	v_cndmask_b32_e32 v50, v6, v4, vcc_lo
; %bb.2382:                             ;   in Loop: Header=BB12_1247 Depth=2
	s_or_b32 exec_lo, exec_lo, s14
	v_and_b32_e32 v5, 0xffff0000, v83
	v_and_b32_e32 v4, 0xffff0000, v35
	s_mov_b32 s14, exec_lo
                                        ; implicit-def: $vgpr35
	s_delay_alu instid0(VALU_DEP_2) | instskip(NEXT) | instid1(VALU_DEP_1)
	v_mov_b32_e32 v6, v5
	v_pk_mul_f32 v[4:5], v[6:7], v[4:5]
	s_delay_alu instid0(VALU_DEP_1) | instskip(NEXT) | instid1(VALU_DEP_1)
	v_and_b32_e32 v5, 0x7f800000, v4
	v_cmpx_ne_u32_e32 0x7f800000, v5
	s_xor_b32 s14, exec_lo, s14
; %bb.2383:                             ;   in Loop: Header=BB12_1247 Depth=2
	v_bfe_u32 v5, v4, 16, 1
	s_delay_alu instid0(VALU_DEP_1)
	v_add3_u32 v35, v4, v5, 0x7fff
                                        ; implicit-def: $vgpr4_vgpr5
; %bb.2384:                             ;   in Loop: Header=BB12_1247 Depth=2
	s_and_not1_saveexec_b32 s14, s14
; %bb.2385:                             ;   in Loop: Header=BB12_1247 Depth=2
	v_and_b32_e32 v5, 0xffff, v4
	v_or_b32_e32 v6, 0x10000, v4
	s_delay_alu instid0(VALU_DEP_2) | instskip(NEXT) | instid1(VALU_DEP_2)
	v_cmp_eq_u32_e32 vcc_lo, 0, v5
	v_cndmask_b32_e32 v35, v6, v4, vcc_lo
; %bb.2386:                             ;   in Loop: Header=BB12_1247 Depth=2
	s_or_b32 exec_lo, exec_lo, s14
	v_lshlrev_b32_e32 v4, 16, v36
	v_lshlrev_b32_e32 v5, 16, v20
	s_mov_b32 s14, exec_lo
                                        ; implicit-def: $vgpr51
	s_delay_alu instid0(VALU_DEP_1) | instskip(NEXT) | instid1(VALU_DEP_1)
	v_mul_f32_e32 v4, v5, v4
	v_and_b32_e32 v5, 0x7f800000, v4
	s_delay_alu instid0(VALU_DEP_1)
	v_cmpx_ne_u32_e32 0x7f800000, v5
	s_xor_b32 s14, exec_lo, s14
; %bb.2387:                             ;   in Loop: Header=BB12_1247 Depth=2
	v_bfe_u32 v5, v4, 16, 1
	s_delay_alu instid0(VALU_DEP_1)
	v_add3_u32 v51, v4, v5, 0x7fff
                                        ; implicit-def: $vgpr4
; %bb.2388:                             ;   in Loop: Header=BB12_1247 Depth=2
	s_and_not1_saveexec_b32 s14, s14
; %bb.2389:                             ;   in Loop: Header=BB12_1247 Depth=2
	v_and_b32_e32 v5, 0xffff, v4
	v_or_b32_e32 v6, 0x10000, v4
	s_delay_alu instid0(VALU_DEP_2) | instskip(NEXT) | instid1(VALU_DEP_2)
	v_cmp_eq_u32_e32 vcc_lo, 0, v5
	v_cndmask_b32_e32 v51, v6, v4, vcc_lo
; %bb.2390:                             ;   in Loop: Header=BB12_1247 Depth=2
	s_or_b32 exec_lo, exec_lo, s14
	v_and_b32_e32 v5, 0xffff0000, v36
	v_and_b32_e32 v4, 0xffff0000, v20
	s_mov_b32 s14, exec_lo
                                        ; implicit-def: $vgpr20
	s_delay_alu instid0(VALU_DEP_2) | instskip(NEXT) | instid1(VALU_DEP_1)
	v_mov_b32_e32 v6, v5
	v_pk_mul_f32 v[4:5], v[6:7], v[4:5]
	s_delay_alu instid0(VALU_DEP_1) | instskip(NEXT) | instid1(VALU_DEP_1)
	v_and_b32_e32 v5, 0x7f800000, v4
	v_cmpx_ne_u32_e32 0x7f800000, v5
	s_xor_b32 s14, exec_lo, s14
; %bb.2391:                             ;   in Loop: Header=BB12_1247 Depth=2
	v_bfe_u32 v5, v4, 16, 1
	s_delay_alu instid0(VALU_DEP_1)
	v_add3_u32 v20, v4, v5, 0x7fff
                                        ; implicit-def: $vgpr4_vgpr5
; %bb.2392:                             ;   in Loop: Header=BB12_1247 Depth=2
	s_and_not1_saveexec_b32 s14, s14
; %bb.2393:                             ;   in Loop: Header=BB12_1247 Depth=2
	v_and_b32_e32 v5, 0xffff, v4
	v_or_b32_e32 v6, 0x10000, v4
	s_delay_alu instid0(VALU_DEP_2) | instskip(NEXT) | instid1(VALU_DEP_2)
	v_cmp_eq_u32_e32 vcc_lo, 0, v5
	v_cndmask_b32_e32 v20, v6, v4, vcc_lo
; %bb.2394:                             ;   in Loop: Header=BB12_1247 Depth=2
	s_or_b32 exec_lo, exec_lo, s14
	v_lshlrev_b32_e32 v4, 16, v21
	v_lshlrev_b32_e32 v5, 16, v37
	s_mov_b32 s14, exec_lo
                                        ; implicit-def: $vgpr36
	s_delay_alu instid0(VALU_DEP_1) | instskip(NEXT) | instid1(VALU_DEP_1)
	v_mul_f32_e32 v4, v5, v4
	v_and_b32_e32 v5, 0x7f800000, v4
	s_delay_alu instid0(VALU_DEP_1)
	v_cmpx_ne_u32_e32 0x7f800000, v5
	s_xor_b32 s14, exec_lo, s14
; %bb.2395:                             ;   in Loop: Header=BB12_1247 Depth=2
	v_bfe_u32 v5, v4, 16, 1
	s_delay_alu instid0(VALU_DEP_1)
	v_add3_u32 v36, v4, v5, 0x7fff
                                        ; implicit-def: $vgpr4
; %bb.2396:                             ;   in Loop: Header=BB12_1247 Depth=2
	s_and_not1_saveexec_b32 s14, s14
; %bb.2397:                             ;   in Loop: Header=BB12_1247 Depth=2
	v_and_b32_e32 v5, 0xffff, v4
	v_or_b32_e32 v6, 0x10000, v4
	s_delay_alu instid0(VALU_DEP_2) | instskip(NEXT) | instid1(VALU_DEP_2)
	v_cmp_eq_u32_e32 vcc_lo, 0, v5
	v_cndmask_b32_e32 v36, v6, v4, vcc_lo
; %bb.2398:                             ;   in Loop: Header=BB12_1247 Depth=2
	s_or_b32 exec_lo, exec_lo, s14
	v_and_b32_e32 v5, 0xffff0000, v37
	v_and_b32_e32 v4, 0xffff0000, v21
	s_mov_b32 s14, exec_lo
                                        ; implicit-def: $vgpr21
	s_delay_alu instid0(VALU_DEP_2) | instskip(NEXT) | instid1(VALU_DEP_1)
	v_mov_b32_e32 v6, v5
	v_pk_mul_f32 v[4:5], v[6:7], v[4:5]
	s_delay_alu instid0(VALU_DEP_1) | instskip(NEXT) | instid1(VALU_DEP_1)
	v_and_b32_e32 v5, 0x7f800000, v4
	v_cmpx_ne_u32_e32 0x7f800000, v5
	s_xor_b32 s14, exec_lo, s14
; %bb.2399:                             ;   in Loop: Header=BB12_1247 Depth=2
	v_bfe_u32 v5, v4, 16, 1
	s_delay_alu instid0(VALU_DEP_1)
	v_add3_u32 v21, v4, v5, 0x7fff
                                        ; implicit-def: $vgpr4_vgpr5
; %bb.2400:                             ;   in Loop: Header=BB12_1247 Depth=2
	s_and_not1_saveexec_b32 s14, s14
; %bb.2401:                             ;   in Loop: Header=BB12_1247 Depth=2
	v_and_b32_e32 v5, 0xffff, v4
	v_or_b32_e32 v6, 0x10000, v4
	s_delay_alu instid0(VALU_DEP_2) | instskip(NEXT) | instid1(VALU_DEP_2)
	v_cmp_eq_u32_e32 vcc_lo, 0, v5
	v_cndmask_b32_e32 v21, v6, v4, vcc_lo
; %bb.2402:                             ;   in Loop: Header=BB12_1247 Depth=2
	s_or_b32 exec_lo, exec_lo, s14
	v_lshlrev_b32_e32 v4, 16, v38
	v_lshlrev_b32_e32 v5, 16, v22
	s_mov_b32 s14, exec_lo
                                        ; implicit-def: $vgpr37
	s_delay_alu instid0(VALU_DEP_1) | instskip(NEXT) | instid1(VALU_DEP_1)
	v_mul_f32_e32 v4, v5, v4
	v_and_b32_e32 v5, 0x7f800000, v4
	s_delay_alu instid0(VALU_DEP_1)
	v_cmpx_ne_u32_e32 0x7f800000, v5
	s_xor_b32 s14, exec_lo, s14
; %bb.2403:                             ;   in Loop: Header=BB12_1247 Depth=2
	v_bfe_u32 v5, v4, 16, 1
	s_delay_alu instid0(VALU_DEP_1)
	v_add3_u32 v37, v4, v5, 0x7fff
                                        ; implicit-def: $vgpr4
; %bb.2404:                             ;   in Loop: Header=BB12_1247 Depth=2
	s_and_not1_saveexec_b32 s14, s14
; %bb.2405:                             ;   in Loop: Header=BB12_1247 Depth=2
	v_and_b32_e32 v5, 0xffff, v4
	v_or_b32_e32 v6, 0x10000, v4
	s_delay_alu instid0(VALU_DEP_2) | instskip(NEXT) | instid1(VALU_DEP_2)
	v_cmp_eq_u32_e32 vcc_lo, 0, v5
	v_cndmask_b32_e32 v37, v6, v4, vcc_lo
; %bb.2406:                             ;   in Loop: Header=BB12_1247 Depth=2
	s_or_b32 exec_lo, exec_lo, s14
	v_and_b32_e32 v5, 0xffff0000, v38
	v_and_b32_e32 v4, 0xffff0000, v22
	s_mov_b32 s14, exec_lo
                                        ; implicit-def: $vgpr22
	s_delay_alu instid0(VALU_DEP_2) | instskip(NEXT) | instid1(VALU_DEP_1)
	v_mov_b32_e32 v6, v5
	v_pk_mul_f32 v[4:5], v[6:7], v[4:5]
	s_delay_alu instid0(VALU_DEP_1) | instskip(NEXT) | instid1(VALU_DEP_1)
	v_and_b32_e32 v5, 0x7f800000, v4
	v_cmpx_ne_u32_e32 0x7f800000, v5
	s_xor_b32 s14, exec_lo, s14
; %bb.2407:                             ;   in Loop: Header=BB12_1247 Depth=2
	v_bfe_u32 v5, v4, 16, 1
	s_delay_alu instid0(VALU_DEP_1)
	v_add3_u32 v22, v4, v5, 0x7fff
                                        ; implicit-def: $vgpr4_vgpr5
; %bb.2408:                             ;   in Loop: Header=BB12_1247 Depth=2
	s_and_not1_saveexec_b32 s14, s14
; %bb.2409:                             ;   in Loop: Header=BB12_1247 Depth=2
	v_and_b32_e32 v5, 0xffff, v4
	v_or_b32_e32 v6, 0x10000, v4
	s_delay_alu instid0(VALU_DEP_2) | instskip(NEXT) | instid1(VALU_DEP_2)
	v_cmp_eq_u32_e32 vcc_lo, 0, v5
	v_cndmask_b32_e32 v22, v6, v4, vcc_lo
; %bb.2410:                             ;   in Loop: Header=BB12_1247 Depth=2
	s_or_b32 exec_lo, exec_lo, s14
	v_lshlrev_b32_e32 v4, 16, v23
	v_lshlrev_b32_e32 v5, 16, v39
	s_mov_b32 s14, exec_lo
                                        ; implicit-def: $vgpr38
	s_delay_alu instid0(VALU_DEP_1) | instskip(NEXT) | instid1(VALU_DEP_1)
	v_mul_f32_e32 v4, v5, v4
	v_and_b32_e32 v5, 0x7f800000, v4
	s_delay_alu instid0(VALU_DEP_1)
	v_cmpx_ne_u32_e32 0x7f800000, v5
	s_xor_b32 s14, exec_lo, s14
; %bb.2411:                             ;   in Loop: Header=BB12_1247 Depth=2
	v_bfe_u32 v5, v4, 16, 1
	s_delay_alu instid0(VALU_DEP_1)
	v_add3_u32 v38, v4, v5, 0x7fff
                                        ; implicit-def: $vgpr4
; %bb.2412:                             ;   in Loop: Header=BB12_1247 Depth=2
	s_and_not1_saveexec_b32 s14, s14
; %bb.2413:                             ;   in Loop: Header=BB12_1247 Depth=2
	v_and_b32_e32 v5, 0xffff, v4
	v_or_b32_e32 v6, 0x10000, v4
	s_delay_alu instid0(VALU_DEP_2) | instskip(NEXT) | instid1(VALU_DEP_2)
	v_cmp_eq_u32_e32 vcc_lo, 0, v5
	v_cndmask_b32_e32 v38, v6, v4, vcc_lo
; %bb.2414:                             ;   in Loop: Header=BB12_1247 Depth=2
	s_or_b32 exec_lo, exec_lo, s14
	v_and_b32_e32 v5, 0xffff0000, v39
	v_and_b32_e32 v4, 0xffff0000, v23
	s_mov_b32 s14, exec_lo
                                        ; implicit-def: $vgpr23
	s_delay_alu instid0(VALU_DEP_2) | instskip(NEXT) | instid1(VALU_DEP_1)
	v_mov_b32_e32 v6, v5
	v_pk_mul_f32 v[4:5], v[6:7], v[4:5]
	s_delay_alu instid0(VALU_DEP_1) | instskip(NEXT) | instid1(VALU_DEP_1)
	v_and_b32_e32 v5, 0x7f800000, v4
	v_cmpx_ne_u32_e32 0x7f800000, v5
	s_xor_b32 s14, exec_lo, s14
; %bb.2415:                             ;   in Loop: Header=BB12_1247 Depth=2
	v_bfe_u32 v5, v4, 16, 1
	s_delay_alu instid0(VALU_DEP_1)
	v_add3_u32 v23, v4, v5, 0x7fff
                                        ; implicit-def: $vgpr4_vgpr5
; %bb.2416:                             ;   in Loop: Header=BB12_1247 Depth=2
	s_and_not1_saveexec_b32 s14, s14
; %bb.2417:                             ;   in Loop: Header=BB12_1247 Depth=2
	v_and_b32_e32 v5, 0xffff, v4
	v_or_b32_e32 v6, 0x10000, v4
	s_delay_alu instid0(VALU_DEP_2) | instskip(NEXT) | instid1(VALU_DEP_2)
	v_cmp_eq_u32_e32 vcc_lo, 0, v5
	v_cndmask_b32_e32 v23, v6, v4, vcc_lo
; %bb.2418:                             ;   in Loop: Header=BB12_1247 Depth=2
	s_or_b32 exec_lo, exec_lo, s14
	v_lshlrev_b32_e32 v4, 16, v24
	v_lshlrev_b32_e32 v5, 16, v16
	s_mov_b32 s14, exec_lo
                                        ; implicit-def: $vgpr39
	s_delay_alu instid0(VALU_DEP_1) | instskip(NEXT) | instid1(VALU_DEP_1)
	v_mul_f32_e32 v4, v5, v4
	v_and_b32_e32 v5, 0x7f800000, v4
	s_delay_alu instid0(VALU_DEP_1)
	v_cmpx_ne_u32_e32 0x7f800000, v5
	s_xor_b32 s14, exec_lo, s14
; %bb.2419:                             ;   in Loop: Header=BB12_1247 Depth=2
	v_bfe_u32 v5, v4, 16, 1
	s_delay_alu instid0(VALU_DEP_1)
	v_add3_u32 v39, v4, v5, 0x7fff
                                        ; implicit-def: $vgpr4
; %bb.2420:                             ;   in Loop: Header=BB12_1247 Depth=2
	s_and_not1_saveexec_b32 s14, s14
; %bb.2421:                             ;   in Loop: Header=BB12_1247 Depth=2
	v_and_b32_e32 v5, 0xffff, v4
	v_or_b32_e32 v6, 0x10000, v4
	s_delay_alu instid0(VALU_DEP_2) | instskip(NEXT) | instid1(VALU_DEP_2)
	v_cmp_eq_u32_e32 vcc_lo, 0, v5
	v_cndmask_b32_e32 v39, v6, v4, vcc_lo
; %bb.2422:                             ;   in Loop: Header=BB12_1247 Depth=2
	s_or_b32 exec_lo, exec_lo, s14
	v_and_b32_e32 v5, 0xffff0000, v24
	v_and_b32_e32 v4, 0xffff0000, v16
	s_mov_b32 s14, exec_lo
                                        ; implicit-def: $vgpr16
	s_delay_alu instid0(VALU_DEP_2) | instskip(NEXT) | instid1(VALU_DEP_1)
	v_mov_b32_e32 v6, v5
	v_pk_mul_f32 v[4:5], v[6:7], v[4:5]
	s_delay_alu instid0(VALU_DEP_1) | instskip(NEXT) | instid1(VALU_DEP_1)
	v_and_b32_e32 v5, 0x7f800000, v4
	v_cmpx_ne_u32_e32 0x7f800000, v5
	s_xor_b32 s14, exec_lo, s14
; %bb.2423:                             ;   in Loop: Header=BB12_1247 Depth=2
	v_bfe_u32 v5, v4, 16, 1
	s_delay_alu instid0(VALU_DEP_1)
	v_add3_u32 v16, v4, v5, 0x7fff
                                        ; implicit-def: $vgpr4_vgpr5
; %bb.2424:                             ;   in Loop: Header=BB12_1247 Depth=2
	s_and_not1_saveexec_b32 s14, s14
; %bb.2425:                             ;   in Loop: Header=BB12_1247 Depth=2
	v_and_b32_e32 v5, 0xffff, v4
	v_or_b32_e32 v6, 0x10000, v4
	s_delay_alu instid0(VALU_DEP_2) | instskip(NEXT) | instid1(VALU_DEP_2)
	v_cmp_eq_u32_e32 vcc_lo, 0, v5
	v_cndmask_b32_e32 v16, v6, v4, vcc_lo
; %bb.2426:                             ;   in Loop: Header=BB12_1247 Depth=2
	s_or_b32 exec_lo, exec_lo, s14
	v_lshlrev_b32_e32 v4, 16, v17
	v_lshlrev_b32_e32 v5, 16, v25
	s_mov_b32 s14, exec_lo
                                        ; implicit-def: $vgpr24
	s_delay_alu instid0(VALU_DEP_1) | instskip(NEXT) | instid1(VALU_DEP_1)
	v_mul_f32_e32 v4, v5, v4
	v_and_b32_e32 v5, 0x7f800000, v4
	s_delay_alu instid0(VALU_DEP_1)
	v_cmpx_ne_u32_e32 0x7f800000, v5
	s_xor_b32 s14, exec_lo, s14
; %bb.2427:                             ;   in Loop: Header=BB12_1247 Depth=2
	v_bfe_u32 v5, v4, 16, 1
	s_delay_alu instid0(VALU_DEP_1)
	v_add3_u32 v24, v4, v5, 0x7fff
                                        ; implicit-def: $vgpr4
; %bb.2428:                             ;   in Loop: Header=BB12_1247 Depth=2
	s_and_not1_saveexec_b32 s14, s14
; %bb.2429:                             ;   in Loop: Header=BB12_1247 Depth=2
	v_and_b32_e32 v5, 0xffff, v4
	v_or_b32_e32 v6, 0x10000, v4
	s_delay_alu instid0(VALU_DEP_2) | instskip(NEXT) | instid1(VALU_DEP_2)
	v_cmp_eq_u32_e32 vcc_lo, 0, v5
	v_cndmask_b32_e32 v24, v6, v4, vcc_lo
; %bb.2430:                             ;   in Loop: Header=BB12_1247 Depth=2
	s_or_b32 exec_lo, exec_lo, s14
	v_and_b32_e32 v5, 0xffff0000, v25
	v_and_b32_e32 v4, 0xffff0000, v17
	s_mov_b32 s14, exec_lo
                                        ; implicit-def: $vgpr17
	s_delay_alu instid0(VALU_DEP_2) | instskip(NEXT) | instid1(VALU_DEP_1)
	v_mov_b32_e32 v6, v5
	v_pk_mul_f32 v[4:5], v[6:7], v[4:5]
	s_delay_alu instid0(VALU_DEP_1) | instskip(NEXT) | instid1(VALU_DEP_1)
	v_and_b32_e32 v5, 0x7f800000, v4
	v_cmpx_ne_u32_e32 0x7f800000, v5
	s_xor_b32 s14, exec_lo, s14
; %bb.2431:                             ;   in Loop: Header=BB12_1247 Depth=2
	v_bfe_u32 v5, v4, 16, 1
	s_delay_alu instid0(VALU_DEP_1)
	v_add3_u32 v17, v4, v5, 0x7fff
                                        ; implicit-def: $vgpr4_vgpr5
; %bb.2432:                             ;   in Loop: Header=BB12_1247 Depth=2
	s_and_not1_saveexec_b32 s14, s14
; %bb.2433:                             ;   in Loop: Header=BB12_1247 Depth=2
	v_and_b32_e32 v5, 0xffff, v4
	v_or_b32_e32 v6, 0x10000, v4
	s_delay_alu instid0(VALU_DEP_2) | instskip(NEXT) | instid1(VALU_DEP_2)
	v_cmp_eq_u32_e32 vcc_lo, 0, v5
	v_cndmask_b32_e32 v17, v6, v4, vcc_lo
; %bb.2434:                             ;   in Loop: Header=BB12_1247 Depth=2
	s_or_b32 exec_lo, exec_lo, s14
	v_lshlrev_b32_e32 v4, 16, v26
	v_lshlrev_b32_e32 v5, 16, v18
	s_mov_b32 s14, exec_lo
                                        ; implicit-def: $vgpr6
	s_delay_alu instid0(VALU_DEP_1) | instskip(NEXT) | instid1(VALU_DEP_1)
	v_mul_f32_e32 v4, v5, v4
	v_and_b32_e32 v5, 0x7f800000, v4
	s_delay_alu instid0(VALU_DEP_1)
	v_cmpx_ne_u32_e32 0x7f800000, v5
	s_xor_b32 s14, exec_lo, s14
; %bb.2435:                             ;   in Loop: Header=BB12_1247 Depth=2
	v_bfe_u32 v5, v4, 16, 1
	s_delay_alu instid0(VALU_DEP_1)
	v_add3_u32 v6, v4, v5, 0x7fff
                                        ; implicit-def: $vgpr4
; %bb.2436:                             ;   in Loop: Header=BB12_1247 Depth=2
	s_and_not1_saveexec_b32 s14, s14
; %bb.2437:                             ;   in Loop: Header=BB12_1247 Depth=2
	v_and_b32_e32 v5, 0xffff, v4
	v_or_b32_e32 v6, 0x10000, v4
	s_delay_alu instid0(VALU_DEP_2) | instskip(NEXT) | instid1(VALU_DEP_2)
	v_cmp_eq_u32_e32 vcc_lo, 0, v5
	v_cndmask_b32_e32 v6, v6, v4, vcc_lo
; %bb.2438:                             ;   in Loop: Header=BB12_1247 Depth=2
	s_or_b32 exec_lo, exec_lo, s14
	v_and_b32_e32 v5, 0xffff0000, v26
	v_and_b32_e32 v4, 0xffff0000, v18
	s_mov_b32 s14, exec_lo
                                        ; implicit-def: $vgpr7
	s_delay_alu instid0(VALU_DEP_2) | instskip(NEXT) | instid1(VALU_DEP_1)
	v_mov_b32_e32 v18, v5
	v_pk_mul_f32 v[4:5], v[18:19], v[4:5]
	s_delay_alu instid0(VALU_DEP_1) | instskip(NEXT) | instid1(VALU_DEP_1)
	v_and_b32_e32 v5, 0x7f800000, v4
	v_cmpx_ne_u32_e32 0x7f800000, v5
	s_xor_b32 s14, exec_lo, s14
; %bb.2439:                             ;   in Loop: Header=BB12_1247 Depth=2
	v_bfe_u32 v5, v4, 16, 1
	s_delay_alu instid0(VALU_DEP_1)
	v_add3_u32 v7, v4, v5, 0x7fff
                                        ; implicit-def: $vgpr4_vgpr5
; %bb.2440:                             ;   in Loop: Header=BB12_1247 Depth=2
	s_and_not1_saveexec_b32 s14, s14
; %bb.2441:                             ;   in Loop: Header=BB12_1247 Depth=2
	v_and_b32_e32 v5, 0xffff, v4
	v_or_b32_e32 v7, 0x10000, v4
	s_delay_alu instid0(VALU_DEP_2) | instskip(NEXT) | instid1(VALU_DEP_2)
	v_cmp_eq_u32_e32 vcc_lo, 0, v5
	v_cndmask_b32_e32 v7, v7, v4, vcc_lo
; %bb.2442:                             ;   in Loop: Header=BB12_1247 Depth=2
	s_or_b32 exec_lo, exec_lo, s14
	v_lshlrev_b32_e32 v4, 16, v19
	v_lshlrev_b32_e32 v5, 16, v27
	s_mov_b32 s14, exec_lo
                                        ; implicit-def: $vgpr18
	s_delay_alu instid0(VALU_DEP_1) | instskip(NEXT) | instid1(VALU_DEP_1)
	v_mul_f32_e32 v4, v5, v4
	v_and_b32_e32 v5, 0x7f800000, v4
	s_delay_alu instid0(VALU_DEP_1)
	v_cmpx_ne_u32_e32 0x7f800000, v5
	s_xor_b32 s14, exec_lo, s14
; %bb.2443:                             ;   in Loop: Header=BB12_1247 Depth=2
	v_bfe_u32 v5, v4, 16, 1
	s_delay_alu instid0(VALU_DEP_1)
	v_add3_u32 v18, v4, v5, 0x7fff
                                        ; implicit-def: $vgpr4
; %bb.2444:                             ;   in Loop: Header=BB12_1247 Depth=2
	s_and_not1_saveexec_b32 s14, s14
; %bb.2445:                             ;   in Loop: Header=BB12_1247 Depth=2
	v_and_b32_e32 v5, 0xffff, v4
	v_or_b32_e32 v18, 0x10000, v4
	s_delay_alu instid0(VALU_DEP_2) | instskip(NEXT) | instid1(VALU_DEP_2)
	v_cmp_eq_u32_e32 vcc_lo, 0, v5
	v_cndmask_b32_e32 v18, v18, v4, vcc_lo
; %bb.2446:                             ;   in Loop: Header=BB12_1247 Depth=2
	s_or_b32 exec_lo, exec_lo, s14
	v_and_b32_e32 v5, 0xffff0000, v27
	v_and_b32_e32 v4, 0xffff0000, v19
	s_mov_b32 s14, exec_lo
                                        ; implicit-def: $vgpr19
	s_delay_alu instid0(VALU_DEP_2) | instskip(NEXT) | instid1(VALU_DEP_1)
	v_mov_b32_e32 v26, v5
	v_pk_mul_f32 v[4:5], v[26:27], v[4:5]
	s_delay_alu instid0(VALU_DEP_1) | instskip(NEXT) | instid1(VALU_DEP_1)
	v_and_b32_e32 v5, 0x7f800000, v4
	v_cmpx_ne_u32_e32 0x7f800000, v5
	s_xor_b32 s14, exec_lo, s14
; %bb.2447:                             ;   in Loop: Header=BB12_1247 Depth=2
	v_bfe_u32 v5, v4, 16, 1
	s_delay_alu instid0(VALU_DEP_1)
	v_add3_u32 v19, v4, v5, 0x7fff
                                        ; implicit-def: $vgpr4_vgpr5
; %bb.2448:                             ;   in Loop: Header=BB12_1247 Depth=2
	s_and_not1_saveexec_b32 s14, s14
; %bb.2449:                             ;   in Loop: Header=BB12_1247 Depth=2
	v_and_b32_e32 v5, 0xffff, v4
	v_or_b32_e32 v19, 0x10000, v4
	s_delay_alu instid0(VALU_DEP_2) | instskip(NEXT) | instid1(VALU_DEP_2)
	v_cmp_eq_u32_e32 vcc_lo, 0, v5
	v_cndmask_b32_e32 v19, v19, v4, vcc_lo
; %bb.2450:                             ;   in Loop: Header=BB12_1247 Depth=2
	s_or_b32 exec_lo, exec_lo, s14
	v_lshlrev_b32_e32 v4, 16, v12
	v_lshlrev_b32_e32 v5, 16, v8
	s_mov_b32 s14, exec_lo
                                        ; implicit-def: $vgpr25
	s_delay_alu instid0(VALU_DEP_1) | instskip(NEXT) | instid1(VALU_DEP_1)
	v_mul_f32_e32 v4, v5, v4
	v_and_b32_e32 v5, 0x7f800000, v4
	s_delay_alu instid0(VALU_DEP_1)
	v_cmpx_ne_u32_e32 0x7f800000, v5
	s_xor_b32 s14, exec_lo, s14
; %bb.2451:                             ;   in Loop: Header=BB12_1247 Depth=2
	v_bfe_u32 v5, v4, 16, 1
	s_delay_alu instid0(VALU_DEP_1)
	v_add3_u32 v25, v4, v5, 0x7fff
                                        ; implicit-def: $vgpr4
; %bb.2452:                             ;   in Loop: Header=BB12_1247 Depth=2
	s_and_not1_saveexec_b32 s14, s14
; %bb.2453:                             ;   in Loop: Header=BB12_1247 Depth=2
	v_and_b32_e32 v5, 0xffff, v4
	v_or_b32_e32 v25, 0x10000, v4
	s_delay_alu instid0(VALU_DEP_2) | instskip(NEXT) | instid1(VALU_DEP_2)
	v_cmp_eq_u32_e32 vcc_lo, 0, v5
	v_cndmask_b32_e32 v25, v25, v4, vcc_lo
; %bb.2454:                             ;   in Loop: Header=BB12_1247 Depth=2
	s_or_b32 exec_lo, exec_lo, s14
	v_and_b32_e32 v5, 0xffff0000, v12
	v_and_b32_e32 v4, 0xffff0000, v8
	s_mov_b32 s14, exec_lo
	s_delay_alu instid0(VALU_DEP_2) | instskip(NEXT) | instid1(VALU_DEP_1)
	v_mov_b32_e32 v8, v5
	v_pk_mul_f32 v[4:5], v[8:9], v[4:5]
                                        ; implicit-def: $vgpr8
	s_delay_alu instid0(VALU_DEP_1) | instskip(NEXT) | instid1(VALU_DEP_1)
	v_and_b32_e32 v5, 0x7f800000, v4
	v_cmpx_ne_u32_e32 0x7f800000, v5
	s_xor_b32 s14, exec_lo, s14
; %bb.2455:                             ;   in Loop: Header=BB12_1247 Depth=2
	v_bfe_u32 v5, v4, 16, 1
	s_delay_alu instid0(VALU_DEP_1)
	v_add3_u32 v8, v4, v5, 0x7fff
                                        ; implicit-def: $vgpr4_vgpr5
; %bb.2456:                             ;   in Loop: Header=BB12_1247 Depth=2
	s_and_not1_saveexec_b32 s14, s14
; %bb.2457:                             ;   in Loop: Header=BB12_1247 Depth=2
	v_and_b32_e32 v5, 0xffff, v4
	v_or_b32_e32 v8, 0x10000, v4
	s_delay_alu instid0(VALU_DEP_2) | instskip(NEXT) | instid1(VALU_DEP_2)
	v_cmp_eq_u32_e32 vcc_lo, 0, v5
	v_cndmask_b32_e32 v8, v8, v4, vcc_lo
; %bb.2458:                             ;   in Loop: Header=BB12_1247 Depth=2
	s_or_b32 exec_lo, exec_lo, s14
	v_lshlrev_b32_e32 v4, 16, v9
	v_lshlrev_b32_e32 v5, 16, v13
	s_mov_b32 s14, exec_lo
                                        ; implicit-def: $vgpr12
	s_delay_alu instid0(VALU_DEP_1) | instskip(NEXT) | instid1(VALU_DEP_1)
	v_mul_f32_e32 v4, v5, v4
	v_and_b32_e32 v5, 0x7f800000, v4
	s_delay_alu instid0(VALU_DEP_1)
	v_cmpx_ne_u32_e32 0x7f800000, v5
	s_xor_b32 s14, exec_lo, s14
; %bb.2459:                             ;   in Loop: Header=BB12_1247 Depth=2
	v_bfe_u32 v5, v4, 16, 1
	s_delay_alu instid0(VALU_DEP_1)
	v_add3_u32 v12, v4, v5, 0x7fff
                                        ; implicit-def: $vgpr4
; %bb.2460:                             ;   in Loop: Header=BB12_1247 Depth=2
	s_and_not1_saveexec_b32 s14, s14
; %bb.2461:                             ;   in Loop: Header=BB12_1247 Depth=2
	v_and_b32_e32 v5, 0xffff, v4
	v_or_b32_e32 v12, 0x10000, v4
	s_delay_alu instid0(VALU_DEP_2) | instskip(NEXT) | instid1(VALU_DEP_2)
	v_cmp_eq_u32_e32 vcc_lo, 0, v5
	v_cndmask_b32_e32 v12, v12, v4, vcc_lo
; %bb.2462:                             ;   in Loop: Header=BB12_1247 Depth=2
	s_or_b32 exec_lo, exec_lo, s14
	v_and_b32_e32 v5, 0xffff0000, v13
	v_and_b32_e32 v4, 0xffff0000, v9
	s_mov_b32 s14, exec_lo
                                        ; implicit-def: $vgpr9
	s_delay_alu instid0(VALU_DEP_2) | instskip(NEXT) | instid1(VALU_DEP_1)
	v_mov_b32_e32 v26, v5
	v_pk_mul_f32 v[4:5], v[26:27], v[4:5]
	s_delay_alu instid0(VALU_DEP_1) | instskip(NEXT) | instid1(VALU_DEP_1)
	v_and_b32_e32 v5, 0x7f800000, v4
	v_cmpx_ne_u32_e32 0x7f800000, v5
	s_xor_b32 s14, exec_lo, s14
; %bb.2463:                             ;   in Loop: Header=BB12_1247 Depth=2
	v_bfe_u32 v5, v4, 16, 1
	s_delay_alu instid0(VALU_DEP_1)
	v_add3_u32 v9, v4, v5, 0x7fff
                                        ; implicit-def: $vgpr4_vgpr5
; %bb.2464:                             ;   in Loop: Header=BB12_1247 Depth=2
	s_and_not1_saveexec_b32 s14, s14
; %bb.2465:                             ;   in Loop: Header=BB12_1247 Depth=2
	v_and_b32_e32 v5, 0xffff, v4
	v_or_b32_e32 v9, 0x10000, v4
	s_delay_alu instid0(VALU_DEP_2) | instskip(NEXT) | instid1(VALU_DEP_2)
	v_cmp_eq_u32_e32 vcc_lo, 0, v5
	v_cndmask_b32_e32 v9, v9, v4, vcc_lo
; %bb.2466:                             ;   in Loop: Header=BB12_1247 Depth=2
	s_or_b32 exec_lo, exec_lo, s14
	v_lshlrev_b32_e32 v4, 16, v14
	v_lshlrev_b32_e32 v5, 16, v10
	s_mov_b32 s14, exec_lo
                                        ; implicit-def: $vgpr13
	s_delay_alu instid0(VALU_DEP_1) | instskip(NEXT) | instid1(VALU_DEP_1)
	v_mul_f32_e32 v4, v5, v4
	v_and_b32_e32 v5, 0x7f800000, v4
	s_delay_alu instid0(VALU_DEP_1)
	v_cmpx_ne_u32_e32 0x7f800000, v5
	s_xor_b32 s14, exec_lo, s14
; %bb.2467:                             ;   in Loop: Header=BB12_1247 Depth=2
	v_bfe_u32 v5, v4, 16, 1
	s_delay_alu instid0(VALU_DEP_1)
	v_add3_u32 v13, v4, v5, 0x7fff
                                        ; implicit-def: $vgpr4
; %bb.2468:                             ;   in Loop: Header=BB12_1247 Depth=2
	s_and_not1_saveexec_b32 s14, s14
; %bb.2469:                             ;   in Loop: Header=BB12_1247 Depth=2
	v_and_b32_e32 v5, 0xffff, v4
	v_or_b32_e32 v13, 0x10000, v4
	s_delay_alu instid0(VALU_DEP_2) | instskip(NEXT) | instid1(VALU_DEP_2)
	v_cmp_eq_u32_e32 vcc_lo, 0, v5
	v_cndmask_b32_e32 v13, v13, v4, vcc_lo
; %bb.2470:                             ;   in Loop: Header=BB12_1247 Depth=2
	s_or_b32 exec_lo, exec_lo, s14
	v_and_b32_e32 v5, 0xffff0000, v14
	v_and_b32_e32 v4, 0xffff0000, v10
	s_mov_b32 s14, exec_lo
	s_delay_alu instid0(VALU_DEP_2) | instskip(NEXT) | instid1(VALU_DEP_1)
	v_mov_b32_e32 v10, v5
	v_pk_mul_f32 v[4:5], v[10:11], v[4:5]
                                        ; implicit-def: $vgpr10
	s_delay_alu instid0(VALU_DEP_1) | instskip(NEXT) | instid1(VALU_DEP_1)
	v_and_b32_e32 v5, 0x7f800000, v4
	v_cmpx_ne_u32_e32 0x7f800000, v5
	s_xor_b32 s14, exec_lo, s14
; %bb.2471:                             ;   in Loop: Header=BB12_1247 Depth=2
	v_bfe_u32 v5, v4, 16, 1
	s_delay_alu instid0(VALU_DEP_1)
	v_add3_u32 v10, v4, v5, 0x7fff
                                        ; implicit-def: $vgpr4_vgpr5
; %bb.2472:                             ;   in Loop: Header=BB12_1247 Depth=2
	s_and_not1_saveexec_b32 s14, s14
; %bb.2473:                             ;   in Loop: Header=BB12_1247 Depth=2
	v_and_b32_e32 v5, 0xffff, v4
	v_or_b32_e32 v10, 0x10000, v4
	s_delay_alu instid0(VALU_DEP_2) | instskip(NEXT) | instid1(VALU_DEP_2)
	v_cmp_eq_u32_e32 vcc_lo, 0, v5
	v_cndmask_b32_e32 v10, v10, v4, vcc_lo
; %bb.2474:                             ;   in Loop: Header=BB12_1247 Depth=2
	s_or_b32 exec_lo, exec_lo, s14
	v_lshlrev_b32_e32 v4, 16, v11
	v_lshlrev_b32_e32 v5, 16, v15
	s_mov_b32 s14, exec_lo
                                        ; implicit-def: $vgpr14
	s_delay_alu instid0(VALU_DEP_1) | instskip(NEXT) | instid1(VALU_DEP_1)
	v_mul_f32_e32 v4, v5, v4
	v_and_b32_e32 v5, 0x7f800000, v4
	s_delay_alu instid0(VALU_DEP_1)
	v_cmpx_ne_u32_e32 0x7f800000, v5
	s_xor_b32 s14, exec_lo, s14
; %bb.2475:                             ;   in Loop: Header=BB12_1247 Depth=2
	v_bfe_u32 v5, v4, 16, 1
	s_delay_alu instid0(VALU_DEP_1)
	v_add3_u32 v14, v4, v5, 0x7fff
                                        ; implicit-def: $vgpr4
; %bb.2476:                             ;   in Loop: Header=BB12_1247 Depth=2
	s_and_not1_saveexec_b32 s14, s14
; %bb.2477:                             ;   in Loop: Header=BB12_1247 Depth=2
	v_and_b32_e32 v5, 0xffff, v4
	v_or_b32_e32 v14, 0x10000, v4
	s_delay_alu instid0(VALU_DEP_2) | instskip(NEXT) | instid1(VALU_DEP_2)
	v_cmp_eq_u32_e32 vcc_lo, 0, v5
	v_cndmask_b32_e32 v14, v14, v4, vcc_lo
; %bb.2478:                             ;   in Loop: Header=BB12_1247 Depth=2
	s_or_b32 exec_lo, exec_lo, s14
	v_and_b32_e32 v5, 0xffff0000, v15
	v_and_b32_e32 v4, 0xffff0000, v11
	s_mov_b32 s14, exec_lo
                                        ; implicit-def: $vgpr11
	s_delay_alu instid0(VALU_DEP_2) | instskip(NEXT) | instid1(VALU_DEP_1)
	v_mov_b32_e32 v26, v5
	v_pk_mul_f32 v[4:5], v[26:27], v[4:5]
	s_delay_alu instid0(VALU_DEP_1) | instskip(NEXT) | instid1(VALU_DEP_1)
	v_and_b32_e32 v5, 0x7f800000, v4
	v_cmpx_ne_u32_e32 0x7f800000, v5
	s_xor_b32 s14, exec_lo, s14
; %bb.2479:                             ;   in Loop: Header=BB12_1247 Depth=2
	v_bfe_u32 v5, v4, 16, 1
	s_delay_alu instid0(VALU_DEP_1)
	v_add3_u32 v11, v4, v5, 0x7fff
                                        ; implicit-def: $vgpr4_vgpr5
; %bb.2480:                             ;   in Loop: Header=BB12_1247 Depth=2
	s_and_not1_saveexec_b32 s14, s14
; %bb.2481:                             ;   in Loop: Header=BB12_1247 Depth=2
	v_and_b32_e32 v5, 0xffff, v4
	v_or_b32_e32 v11, 0x10000, v4
	s_delay_alu instid0(VALU_DEP_2) | instskip(NEXT) | instid1(VALU_DEP_2)
	v_cmp_eq_u32_e32 vcc_lo, 0, v5
	v_cndmask_b32_e32 v11, v11, v4, vcc_lo
; %bb.2482:                             ;   in Loop: Header=BB12_1247 Depth=2
	s_or_b32 exec_lo, exec_lo, s14
	v_dual_lshrrev_b32 v4, 16, v24 :: v_dual_lshrrev_b32 v15, 16, v39
	v_dual_lshrrev_b32 v18, 16, v18 :: v_dual_lshrrev_b32 v26, 16, v51
	;; [unrolled: 1-line block ×3, first 2 shown]
	s_delay_alu instid0(VALU_DEP_3) | instskip(NEXT) | instid1(VALU_DEP_4)
	v_and_or_b32 v5, 0xffff0000, v17, v4
	v_and_or_b32 v4, 0xffff0000, v16, v15
	s_delay_alu instid0(VALU_DEP_4)
	v_and_or_b32 v16, 0xffff0000, v20, v26
	v_dual_lshrrev_b32 v20, 16, v48 :: v_dual_lshrrev_b32 v2, 16, v2
	v_lshrrev_b32_e32 v15, 16, v37
	v_and_or_b32 v6, 0xffff0000, v7, v6
	v_and_or_b32 v7, 0xffff0000, v19, v18
	;; [unrolled: 1-line block ×3, first 2 shown]
	v_dual_lshrrev_b32 v19, 16, v38 :: v_dual_lshrrev_b32 v24, 16, v49
	v_and_or_b32 v21, 0xffff0000, v33, v20
	v_and_or_b32 v20, 0xffff0000, v32, v2
	v_lshrrev_b32_e32 v2, 16, v50
	v_and_or_b32 v18, 0xffff0000, v22, v15
	v_dual_lshrrev_b32 v12, 16, v12 :: v_dual_lshrrev_b32 v15, 16, v25
	v_dual_lshrrev_b32 v13, 16, v13 :: v_dual_lshrrev_b32 v14, 16, v14
	v_and_or_b32 v19, 0xffff0000, v23, v19
	v_and_or_b32 v22, 0xffff0000, v34, v24
	;; [unrolled: 1-line block ×7, first 2 shown]
	s_clause 0x3
	global_store_b128 v[0:1], v[20:23], off th:TH_STORE_NT
	global_store_b128 v[0:1], v[16:19], off offset:512 th:TH_STORE_NT
	global_store_b128 v[0:1], v[4:7], off offset:1024 th:TH_STORE_NT
	;; [unrolled: 1-line block ×3, first 2 shown]
.LBB12_2483:                            ;   in Loop: Header=BB12_1247 Depth=2
	s_wait_xcnt 0x0
	s_or_b32 exec_lo, exec_lo, s13
	v_lshlrev_b32_e32 v20, 11, v31
	s_mov_b32 s77, exec_lo
                                        ; implicit-def: $vgpr10
                                        ; implicit-def: $vgpr11
                                        ; implicit-def: $vgpr0
	s_delay_alu instid0(VALU_DEP_1)
	v_cmpx_ne_u32_e64 v123, v20
	s_cbranch_execz .LBB12_2598
; %bb.2484:                             ;   in Loop: Header=BB12_1247 Depth=2
	scratch_load_b32 v1, off, s33 offset:316 ; 4-byte Folded Reload
	v_dual_lshlrev_b32 v0, 5, v118 :: v_dual_sub_nc_u32 v2, v123, v20
	s_mov_b32 s15, 0
	s_mov_b32 s78, exec_lo
	s_wait_loadcnt 0x0
	s_delay_alu instid0(VALU_DEP_1) | instskip(NEXT) | instid1(VALU_DEP_1)
	v_dual_ashrrev_i32 v5, 31, v2 :: v_dual_sub_nc_u32 v0, v1, v0
	v_ashrrev_i32_e32 v1, 31, v0
	s_delay_alu instid0(VALU_DEP_1) | instskip(NEXT) | instid1(VALU_DEP_1)
	v_lshrrev_b32_e32 v1, 27, v1
	v_add_nc_u32_e32 v1, v0, v1
	s_delay_alu instid0(VALU_DEP_1) | instskip(NEXT) | instid1(VALU_DEP_1)
	v_and_b32_e32 v4, 0xffffffe0, v1
	v_dual_sub_nc_u32 v22, v0, v4 :: v_dual_lshrrev_b32 v0, 23, v5
	s_delay_alu instid0(VALU_DEP_1) | instskip(NEXT) | instid1(VALU_DEP_2)
	v_dual_ashrrev_i32 v4, 5, v1 :: v_dual_lshlrev_b32 v1, 4, v22
	v_add_nc_u32_e32 v0, v2, v0
	s_delay_alu instid0(VALU_DEP_2) | instskip(NEXT) | instid1(VALU_DEP_2)
	v_lshl_add_u32 v1, v4, 9, v1
	v_and_b32_e32 v21, 0xfffffe00, v0
	v_ashrrev_i32_e32 v0, 9, v0
	s_delay_alu instid0(VALU_DEP_2) | instskip(NEXT) | instid1(VALU_DEP_1)
	v_dual_add_nc_u32 v8, v1, v20 :: v_dual_sub_nc_u32 v23, v2, v21
	v_dual_sub_nc_u32 v2, v2, v1 :: v_dual_ashrrev_i32 v9, 31, v8
	s_delay_alu instid0(VALU_DEP_2) | instskip(NEXT) | instid1(VALU_DEP_1)
	v_cmp_lt_i32_e64 s13, 15, v23
	v_add_co_ci_u32_e64 v5, null, 0, v0, s13
	s_delay_alu instid0(VALU_DEP_3) | instskip(NEXT) | instid1(VALU_DEP_2)
	v_add_nc_u64_e32 v[0:1], v[8:9], v[44:45]
	v_sub_nc_u32_e32 v24, v5, v4
	s_wait_xcnt 0x0
	v_cmpx_lt_i32_e32 15, v2
	s_cbranch_execz .LBB12_2561
; %bb.2485:                             ;   in Loop: Header=BB12_1247 Depth=2
	s_trap 2
	ds_load_b64 v[6:7], v0
	v_add_nc_u64_e32 v[4:5], v[8:9], v[72:73]
	s_mov_b32 s89, 0
	s_mov_b32 s79, 0
                                        ; implicit-def: $sgpr88
	s_wait_dscnt 0x0
	v_add_nc_u64_e32 v[16:17], v[6:7], v[8:9]
	s_branch .LBB12_2487
.LBB12_2486:                            ;   in Loop: Header=BB12_2487 Depth=3
	s_or_b32 exec_lo, exec_lo, s14
	s_delay_alu instid0(VALU_DEP_1) | instskip(SKIP_3) | instid1(SALU_CYCLE_1)
	v_cmp_gt_i32_e32 vcc_lo, 16, v2
	s_or_b32 s79, vcc_lo, s79
	s_and_not1_b32 s14, s88, exec_lo
	s_and_b32 s15, s89, exec_lo
	s_or_b32 s88, s14, s15
	s_and_not1_b32 exec_lo, exec_lo, s79
	s_cbranch_execz .LBB12_2560
.LBB12_2487:                            ;   Parent Loop BB12_47 Depth=1
                                        ;     Parent Loop BB12_1247 Depth=2
                                        ; =>    This Loop Header: Depth=3
                                        ;         Child Loop BB12_2488 Depth 4
                                        ;         Child Loop BB12_2525 Depth 4
	s_add_co_i32 s14, s33, 0xc0
	s_mov_b64 s[40:41], 0
	s_mov_b32 s90, s14
	s_mov_b32 s91, -1
.LBB12_2488:                            ;   Parent Loop BB12_47 Depth=1
                                        ;     Parent Loop BB12_1247 Depth=2
                                        ;       Parent Loop BB12_2487 Depth=3
                                        ; =>      This Inner Loop Header: Depth=4
	s_cmp_eq_u32 s40, 1
	s_cselect_b32 vcc_lo, -1, 0
	s_cmp_eq_u32 s40, 0
	v_dual_cndmask_b32 v11, v5, v17 :: v_dual_cndmask_b32 v10, v4, v16
	s_cselect_b32 s14, -1, 0
	s_and_b32 s15, exec_lo, s91
	s_mov_b64 s[40:41], 1
	s_mov_b32 s91, 0
	global_load_b128 v[6:9], v[10:11], off th:TH_LOAD_NT
	s_wait_xcnt 0x0
	v_add_nc_u64_e32 v[10:11], 0x200, v[10:11]
	s_delay_alu instid0(VALU_DEP_1)
	v_dual_cndmask_b32 v5, v5, v11, s14 :: v_dual_cndmask_b32 v4, v4, v10, s14
	v_dual_cndmask_b32 v17, v17, v11 :: v_dual_cndmask_b32 v16, v16, v10
	s_mov_b32 vcc_lo, s15
	s_wait_loadcnt 0x0
	scratch_store_b128 off, v[6:9], s90
	s_wait_xcnt 0x0
	s_mov_b32 s90, s60
	s_cbranch_vccnz .LBB12_2488
; %bb.2489:                             ;   in Loop: Header=BB12_2487 Depth=3
	s_and_saveexec_b32 s14, s89
	s_cbranch_execz .LBB12_2523
; %bb.2490:                             ;   in Loop: Header=BB12_2487 Depth=3
	s_clause 0x1
	scratch_load_b128 v[8:11], off, s33 offset:224
	scratch_load_b128 v[12:15], off, s33 offset:240
	s_wait_loadcnt 0x1
	v_lshlrev_b32_e32 v6, 16, v8
	s_wait_loadcnt 0x0
	v_lshlrev_b32_e32 v7, 16, v12
	s_delay_alu instid0(VALU_DEP_1) | instskip(NEXT) | instid1(VALU_DEP_1)
	v_mul_f32_e32 v7, v6, v7
	v_and_b32_e32 v6, 0x7f800000, v7
	s_delay_alu instid0(VALU_DEP_1) | instskip(SKIP_2) | instid1(SALU_CYCLE_1)
	v_cmp_ne_u32_e32 vcc_lo, 0x7f800000, v6
                                        ; implicit-def: $vgpr6
	s_wait_xcnt 0x0
	s_and_saveexec_b32 s15, vcc_lo
	s_xor_b32 s15, exec_lo, s15
; %bb.2491:                             ;   in Loop: Header=BB12_2487 Depth=3
	v_bfe_u32 v6, v7, 16, 1
	s_delay_alu instid0(VALU_DEP_1)
	v_add3_u32 v6, v7, v6, 0x7fff
                                        ; implicit-def: $vgpr7
; %bb.2492:                             ;   in Loop: Header=BB12_2487 Depth=3
	s_and_not1_saveexec_b32 s15, s15
; %bb.2493:                             ;   in Loop: Header=BB12_2487 Depth=3
	v_and_b32_e32 v6, 0xffff, v7
	v_or_b32_e32 v18, 0x10000, v7
	s_delay_alu instid0(VALU_DEP_2) | instskip(NEXT) | instid1(VALU_DEP_2)
	v_cmp_eq_u32_e32 vcc_lo, 0, v6
	v_cndmask_b32_e32 v6, v18, v7, vcc_lo
; %bb.2494:                             ;   in Loop: Header=BB12_2487 Depth=3
	s_or_b32 exec_lo, exec_lo, s15
	v_and_b32_e32 v19, 0xffff0000, v12
	v_and_b32_e32 v18, 0xffff0000, v8
	s_delay_alu instid0(VALU_DEP_2) | instskip(NEXT) | instid1(VALU_DEP_1)
	v_mov_b32_e32 v8, v19
	v_pk_mul_f32 v[18:19], v[8:9], v[18:19]
	s_delay_alu instid0(VALU_DEP_1) | instskip(NEXT) | instid1(VALU_DEP_1)
	v_and_b32_e32 v7, 0x7f800000, v18
	v_cmp_ne_u32_e32 vcc_lo, 0x7f800000, v7
                                        ; implicit-def: $vgpr7
	s_and_saveexec_b32 s15, vcc_lo
	s_delay_alu instid0(SALU_CYCLE_1)
	s_xor_b32 s15, exec_lo, s15
; %bb.2495:                             ;   in Loop: Header=BB12_2487 Depth=3
	v_bfe_u32 v7, v18, 16, 1
	s_delay_alu instid0(VALU_DEP_1)
	v_add3_u32 v7, v18, v7, 0x7fff
                                        ; implicit-def: $vgpr18_vgpr19
; %bb.2496:                             ;   in Loop: Header=BB12_2487 Depth=3
	s_and_not1_saveexec_b32 s15, s15
; %bb.2497:                             ;   in Loop: Header=BB12_2487 Depth=3
	v_and_b32_e32 v7, 0xffff, v18
	v_or_b32_e32 v8, 0x10000, v18
	s_delay_alu instid0(VALU_DEP_2) | instskip(NEXT) | instid1(VALU_DEP_2)
	v_cmp_eq_u32_e32 vcc_lo, 0, v7
	v_cndmask_b32_e32 v7, v8, v18, vcc_lo
; %bb.2498:                             ;   in Loop: Header=BB12_2487 Depth=3
	s_or_b32 exec_lo, exec_lo, s15
	v_lshlrev_b32_e32 v8, 16, v9
	v_lshlrev_b32_e32 v12, 16, v13
	s_delay_alu instid0(VALU_DEP_1) | instskip(NEXT) | instid1(VALU_DEP_1)
	v_mul_f32_e32 v8, v12, v8
	v_and_b32_e32 v12, 0x7f800000, v8
	s_delay_alu instid0(VALU_DEP_1) | instskip(SKIP_1) | instid1(SALU_CYCLE_1)
	v_cmp_ne_u32_e32 vcc_lo, 0x7f800000, v12
                                        ; implicit-def: $vgpr12
	s_and_saveexec_b32 s15, vcc_lo
	s_xor_b32 s15, exec_lo, s15
; %bb.2499:                             ;   in Loop: Header=BB12_2487 Depth=3
	v_bfe_u32 v12, v8, 16, 1
	s_delay_alu instid0(VALU_DEP_1)
	v_add3_u32 v12, v8, v12, 0x7fff
                                        ; implicit-def: $vgpr8
; %bb.2500:                             ;   in Loop: Header=BB12_2487 Depth=3
	s_and_not1_saveexec_b32 s15, s15
; %bb.2501:                             ;   in Loop: Header=BB12_2487 Depth=3
	v_and_b32_e32 v12, 0xffff, v8
	v_or_b32_e32 v18, 0x10000, v8
	s_delay_alu instid0(VALU_DEP_2) | instskip(NEXT) | instid1(VALU_DEP_2)
	v_cmp_eq_u32_e32 vcc_lo, 0, v12
	v_cndmask_b32_e32 v12, v18, v8, vcc_lo
; %bb.2502:                             ;   in Loop: Header=BB12_2487 Depth=3
	s_or_b32 exec_lo, exec_lo, s15
	v_and_b32_e32 v19, 0xffff0000, v13
	v_and_b32_e32 v18, 0xffff0000, v9
	s_mov_b32 s15, exec_lo
                                        ; implicit-def: $vgpr13
	s_delay_alu instid0(VALU_DEP_2) | instskip(NEXT) | instid1(VALU_DEP_1)
	v_mov_b32_e32 v8, v19
	v_pk_mul_f32 v[8:9], v[8:9], v[18:19]
	s_delay_alu instid0(VALU_DEP_1) | instskip(NEXT) | instid1(VALU_DEP_1)
	v_and_b32_e32 v9, 0x7f800000, v8
	v_cmpx_ne_u32_e32 0x7f800000, v9
	s_xor_b32 s15, exec_lo, s15
; %bb.2503:                             ;   in Loop: Header=BB12_2487 Depth=3
	v_bfe_u32 v9, v8, 16, 1
	s_delay_alu instid0(VALU_DEP_1)
	v_add3_u32 v13, v8, v9, 0x7fff
                                        ; implicit-def: $vgpr8_vgpr9
; %bb.2504:                             ;   in Loop: Header=BB12_2487 Depth=3
	s_and_not1_saveexec_b32 s15, s15
; %bb.2505:                             ;   in Loop: Header=BB12_2487 Depth=3
	v_and_b32_e32 v9, 0xffff, v8
	v_or_b32_e32 v13, 0x10000, v8
	s_delay_alu instid0(VALU_DEP_2) | instskip(NEXT) | instid1(VALU_DEP_2)
	v_cmp_eq_u32_e32 vcc_lo, 0, v9
	v_cndmask_b32_e32 v13, v13, v8, vcc_lo
; %bb.2506:                             ;   in Loop: Header=BB12_2487 Depth=3
	s_or_b32 exec_lo, exec_lo, s15
	v_lshlrev_b32_e32 v8, 16, v10
	v_lshlrev_b32_e32 v9, 16, v14
	s_mov_b32 s15, exec_lo
                                        ; implicit-def: $vgpr18
	s_delay_alu instid0(VALU_DEP_1) | instskip(NEXT) | instid1(VALU_DEP_1)
	v_mul_f32_e32 v8, v9, v8
	v_and_b32_e32 v9, 0x7f800000, v8
	s_delay_alu instid0(VALU_DEP_1)
	v_cmpx_ne_u32_e32 0x7f800000, v9
	s_xor_b32 s15, exec_lo, s15
; %bb.2507:                             ;   in Loop: Header=BB12_2487 Depth=3
	v_bfe_u32 v9, v8, 16, 1
	s_delay_alu instid0(VALU_DEP_1)
	v_add3_u32 v18, v8, v9, 0x7fff
                                        ; implicit-def: $vgpr8
; %bb.2508:                             ;   in Loop: Header=BB12_2487 Depth=3
	s_and_not1_saveexec_b32 s15, s15
; %bb.2509:                             ;   in Loop: Header=BB12_2487 Depth=3
	v_and_b32_e32 v9, 0xffff, v8
	v_or_b32_e32 v18, 0x10000, v8
	s_delay_alu instid0(VALU_DEP_2) | instskip(NEXT) | instid1(VALU_DEP_2)
	v_cmp_eq_u32_e32 vcc_lo, 0, v9
	v_cndmask_b32_e32 v18, v18, v8, vcc_lo
; %bb.2510:                             ;   in Loop: Header=BB12_2487 Depth=3
	s_or_b32 exec_lo, exec_lo, s15
	v_and_b32_e32 v9, 0xffff0000, v14
	v_and_b32_e32 v8, 0xffff0000, v10
	s_mov_b32 s15, exec_lo
	s_delay_alu instid0(VALU_DEP_2) | instskip(NEXT) | instid1(VALU_DEP_1)
	v_mov_b32_e32 v10, v9
	v_pk_mul_f32 v[8:9], v[10:11], v[8:9]
                                        ; implicit-def: $vgpr10
	s_delay_alu instid0(VALU_DEP_1) | instskip(NEXT) | instid1(VALU_DEP_1)
	v_and_b32_e32 v9, 0x7f800000, v8
	v_cmpx_ne_u32_e32 0x7f800000, v9
	s_xor_b32 s15, exec_lo, s15
; %bb.2511:                             ;   in Loop: Header=BB12_2487 Depth=3
	v_bfe_u32 v9, v8, 16, 1
	s_delay_alu instid0(VALU_DEP_1)
	v_add3_u32 v10, v8, v9, 0x7fff
                                        ; implicit-def: $vgpr8_vgpr9
; %bb.2512:                             ;   in Loop: Header=BB12_2487 Depth=3
	s_and_not1_saveexec_b32 s15, s15
; %bb.2513:                             ;   in Loop: Header=BB12_2487 Depth=3
	v_and_b32_e32 v9, 0xffff, v8
	v_or_b32_e32 v10, 0x10000, v8
	s_delay_alu instid0(VALU_DEP_2) | instskip(NEXT) | instid1(VALU_DEP_2)
	v_cmp_eq_u32_e32 vcc_lo, 0, v9
	v_cndmask_b32_e32 v10, v10, v8, vcc_lo
; %bb.2514:                             ;   in Loop: Header=BB12_2487 Depth=3
	s_or_b32 exec_lo, exec_lo, s15
	v_lshlrev_b32_e32 v8, 16, v11
	v_lshlrev_b32_e32 v9, 16, v15
	s_mov_b32 s15, exec_lo
                                        ; implicit-def: $vgpr14
	s_delay_alu instid0(VALU_DEP_1) | instskip(NEXT) | instid1(VALU_DEP_1)
	v_mul_f32_e32 v8, v9, v8
	v_and_b32_e32 v9, 0x7f800000, v8
	s_delay_alu instid0(VALU_DEP_1)
	v_cmpx_ne_u32_e32 0x7f800000, v9
	s_xor_b32 s15, exec_lo, s15
; %bb.2515:                             ;   in Loop: Header=BB12_2487 Depth=3
	v_bfe_u32 v9, v8, 16, 1
	s_delay_alu instid0(VALU_DEP_1)
	v_add3_u32 v14, v8, v9, 0x7fff
                                        ; implicit-def: $vgpr8
; %bb.2516:                             ;   in Loop: Header=BB12_2487 Depth=3
	s_and_not1_saveexec_b32 s15, s15
; %bb.2517:                             ;   in Loop: Header=BB12_2487 Depth=3
	v_and_b32_e32 v9, 0xffff, v8
	v_or_b32_e32 v14, 0x10000, v8
	s_delay_alu instid0(VALU_DEP_2) | instskip(NEXT) | instid1(VALU_DEP_2)
	v_cmp_eq_u32_e32 vcc_lo, 0, v9
	v_cndmask_b32_e32 v14, v14, v8, vcc_lo
; %bb.2518:                             ;   in Loop: Header=BB12_2487 Depth=3
	s_or_b32 exec_lo, exec_lo, s15
	v_and_b32_e32 v9, 0xffff0000, v15
	v_and_b32_e32 v8, 0xffff0000, v11
	s_mov_b32 s15, exec_lo
                                        ; implicit-def: $vgpr11
	s_delay_alu instid0(VALU_DEP_2) | instskip(NEXT) | instid1(VALU_DEP_1)
	v_mov_b32_e32 v26, v9
	v_pk_mul_f32 v[8:9], v[26:27], v[8:9]
	s_delay_alu instid0(VALU_DEP_1) | instskip(NEXT) | instid1(VALU_DEP_1)
	v_and_b32_e32 v9, 0x7f800000, v8
	v_cmpx_ne_u32_e32 0x7f800000, v9
	s_xor_b32 s15, exec_lo, s15
; %bb.2519:                             ;   in Loop: Header=BB12_2487 Depth=3
	v_bfe_u32 v9, v8, 16, 1
	s_delay_alu instid0(VALU_DEP_1)
	v_add3_u32 v11, v8, v9, 0x7fff
                                        ; implicit-def: $vgpr8_vgpr9
; %bb.2520:                             ;   in Loop: Header=BB12_2487 Depth=3
	s_and_not1_saveexec_b32 s15, s15
; %bb.2521:                             ;   in Loop: Header=BB12_2487 Depth=3
	v_and_b32_e32 v9, 0xffff, v8
	v_or_b32_e32 v11, 0x10000, v8
	s_delay_alu instid0(VALU_DEP_2) | instskip(NEXT) | instid1(VALU_DEP_2)
	v_cmp_eq_u32_e32 vcc_lo, 0, v9
	v_cndmask_b32_e32 v11, v11, v8, vcc_lo
; %bb.2522:                             ;   in Loop: Header=BB12_2487 Depth=3
	s_or_b32 exec_lo, exec_lo, s15
	v_dual_lshrrev_b32 v8, 16, v12 :: v_dual_lshrrev_b32 v6, 16, v6
	v_lshrrev_b32_e32 v12, 16, v18
	v_lshrrev_b32_e32 v14, 16, v14
	s_delay_alu instid0(VALU_DEP_3) | instskip(NEXT) | instid1(VALU_DEP_4)
	v_and_or_b32 v9, 0xffff0000, v13, v8
	v_and_or_b32 v8, 0xffff0000, v7, v6
	v_add_nc_u64_e32 v[6:7], 0x200, v[90:91]
	v_and_or_b32 v10, 0xffff0000, v10, v12
	v_and_or_b32 v11, 0xffff0000, v11, v14
	global_store_b128 v[0:1], v[8:11], off th:TH_STORE_NT
	s_wait_xcnt 0x0
	v_add_nc_u64_e32 v[0:1], v[6:7], v[0:1]
	scratch_store_b128 off, v[8:11], s33 offset:224
.LBB12_2523:                            ;   in Loop: Header=BB12_2487 Depth=3
	s_wait_xcnt 0x0
	s_or_b32 exec_lo, exec_lo, s14
	v_sub_nc_u32_e32 v2, v2, v121
	v_add_nc_u64_e32 v[4:5], v[4:5], v[90:91]
	v_add_nc_u64_e32 v[16:17], v[16:17], v[90:91]
	s_delay_alu instid0(VALU_DEP_3)
	v_cmp_lt_i32_e64 s89, 15, v2
	s_and_saveexec_b32 s90, s89
	s_cbranch_execz .LBB12_2526
; %bb.2524:                             ;   in Loop: Header=BB12_2487 Depth=3
	s_add_co_i32 s14, s33, 0xe0
	s_mov_b64 s[40:41], 0
	s_mov_b32 s91, s14
	s_mov_b32 s92, -1
.LBB12_2525:                            ;   Parent Loop BB12_47 Depth=1
                                        ;     Parent Loop BB12_1247 Depth=2
                                        ;       Parent Loop BB12_2487 Depth=3
                                        ; =>      This Inner Loop Header: Depth=4
	s_cmp_eq_u32 s40, 1
	s_cselect_b32 vcc_lo, -1, 0
	s_cmp_eq_u32 s40, 0
	v_dual_cndmask_b32 v11, v5, v17 :: v_dual_cndmask_b32 v10, v4, v16
	s_cselect_b32 s14, -1, 0
	s_and_b32 s15, exec_lo, s92
	s_mov_b64 s[40:41], 1
	s_mov_b32 s92, 0
	global_load_b128 v[6:9], v[10:11], off th:TH_LOAD_NT
	s_wait_xcnt 0x0
	v_add_nc_u64_e32 v[10:11], 0x200, v[10:11]
	s_delay_alu instid0(VALU_DEP_1)
	v_dual_cndmask_b32 v5, v5, v11, s14 :: v_dual_cndmask_b32 v4, v4, v10, s14
	v_dual_cndmask_b32 v17, v17, v11 :: v_dual_cndmask_b32 v16, v16, v10
	s_mov_b32 vcc_lo, s15
	s_wait_loadcnt 0x0
	scratch_store_b128 off, v[6:9], s91
	s_wait_xcnt 0x0
	s_mov_b32 s91, s59
	s_cbranch_vccnz .LBB12_2525
.LBB12_2526:                            ;   in Loop: Header=BB12_2487 Depth=3
	s_or_b32 exec_lo, exec_lo, s90
	s_clause 0x1
	scratch_load_b128 v[8:11], off, s33 offset:192
	scratch_load_b128 v[12:15], off, s33 offset:208
	s_wait_loadcnt 0x1
	v_lshlrev_b32_e32 v6, 16, v8
	s_wait_loadcnt 0x0
	v_lshlrev_b32_e32 v7, 16, v12
	s_delay_alu instid0(VALU_DEP_1) | instskip(NEXT) | instid1(VALU_DEP_1)
	v_mul_f32_e32 v7, v6, v7
	v_and_b32_e32 v6, 0x7f800000, v7
	s_delay_alu instid0(VALU_DEP_1) | instskip(SKIP_2) | instid1(SALU_CYCLE_1)
	v_cmp_ne_u32_e32 vcc_lo, 0x7f800000, v6
                                        ; implicit-def: $vgpr6
	s_wait_xcnt 0x0
	s_and_saveexec_b32 s14, vcc_lo
	s_xor_b32 s14, exec_lo, s14
; %bb.2527:                             ;   in Loop: Header=BB12_2487 Depth=3
	v_bfe_u32 v6, v7, 16, 1
	s_delay_alu instid0(VALU_DEP_1)
	v_add3_u32 v6, v7, v6, 0x7fff
                                        ; implicit-def: $vgpr7
; %bb.2528:                             ;   in Loop: Header=BB12_2487 Depth=3
	s_and_not1_saveexec_b32 s14, s14
; %bb.2529:                             ;   in Loop: Header=BB12_2487 Depth=3
	v_and_b32_e32 v6, 0xffff, v7
	v_or_b32_e32 v18, 0x10000, v7
	s_delay_alu instid0(VALU_DEP_2) | instskip(NEXT) | instid1(VALU_DEP_2)
	v_cmp_eq_u32_e32 vcc_lo, 0, v6
	v_cndmask_b32_e32 v6, v18, v7, vcc_lo
; %bb.2530:                             ;   in Loop: Header=BB12_2487 Depth=3
	s_or_b32 exec_lo, exec_lo, s14
	v_and_b32_e32 v19, 0xffff0000, v12
	v_and_b32_e32 v18, 0xffff0000, v8
	s_delay_alu instid0(VALU_DEP_2) | instskip(NEXT) | instid1(VALU_DEP_1)
	v_mov_b32_e32 v8, v19
	v_pk_mul_f32 v[18:19], v[8:9], v[18:19]
	s_delay_alu instid0(VALU_DEP_1) | instskip(NEXT) | instid1(VALU_DEP_1)
	v_and_b32_e32 v7, 0x7f800000, v18
	v_cmp_ne_u32_e32 vcc_lo, 0x7f800000, v7
                                        ; implicit-def: $vgpr7
	s_and_saveexec_b32 s14, vcc_lo
	s_delay_alu instid0(SALU_CYCLE_1)
	s_xor_b32 s14, exec_lo, s14
; %bb.2531:                             ;   in Loop: Header=BB12_2487 Depth=3
	v_bfe_u32 v7, v18, 16, 1
	s_delay_alu instid0(VALU_DEP_1)
	v_add3_u32 v7, v18, v7, 0x7fff
                                        ; implicit-def: $vgpr18_vgpr19
; %bb.2532:                             ;   in Loop: Header=BB12_2487 Depth=3
	s_and_not1_saveexec_b32 s14, s14
; %bb.2533:                             ;   in Loop: Header=BB12_2487 Depth=3
	v_and_b32_e32 v7, 0xffff, v18
	v_or_b32_e32 v8, 0x10000, v18
	s_delay_alu instid0(VALU_DEP_2) | instskip(NEXT) | instid1(VALU_DEP_2)
	v_cmp_eq_u32_e32 vcc_lo, 0, v7
	v_cndmask_b32_e32 v7, v8, v18, vcc_lo
; %bb.2534:                             ;   in Loop: Header=BB12_2487 Depth=3
	s_or_b32 exec_lo, exec_lo, s14
	v_lshlrev_b32_e32 v8, 16, v9
	v_lshlrev_b32_e32 v12, 16, v13
	s_delay_alu instid0(VALU_DEP_1) | instskip(NEXT) | instid1(VALU_DEP_1)
	v_mul_f32_e32 v8, v12, v8
	v_and_b32_e32 v12, 0x7f800000, v8
	s_delay_alu instid0(VALU_DEP_1) | instskip(SKIP_1) | instid1(SALU_CYCLE_1)
	v_cmp_ne_u32_e32 vcc_lo, 0x7f800000, v12
                                        ; implicit-def: $vgpr12
	s_and_saveexec_b32 s14, vcc_lo
	s_xor_b32 s14, exec_lo, s14
; %bb.2535:                             ;   in Loop: Header=BB12_2487 Depth=3
	v_bfe_u32 v12, v8, 16, 1
	s_delay_alu instid0(VALU_DEP_1)
	v_add3_u32 v12, v8, v12, 0x7fff
                                        ; implicit-def: $vgpr8
; %bb.2536:                             ;   in Loop: Header=BB12_2487 Depth=3
	s_and_not1_saveexec_b32 s14, s14
; %bb.2537:                             ;   in Loop: Header=BB12_2487 Depth=3
	v_and_b32_e32 v12, 0xffff, v8
	v_or_b32_e32 v18, 0x10000, v8
	s_delay_alu instid0(VALU_DEP_2) | instskip(NEXT) | instid1(VALU_DEP_2)
	v_cmp_eq_u32_e32 vcc_lo, 0, v12
	v_cndmask_b32_e32 v12, v18, v8, vcc_lo
; %bb.2538:                             ;   in Loop: Header=BB12_2487 Depth=3
	s_or_b32 exec_lo, exec_lo, s14
	v_and_b32_e32 v19, 0xffff0000, v13
	v_and_b32_e32 v18, 0xffff0000, v9
	s_mov_b32 s14, exec_lo
                                        ; implicit-def: $vgpr13
	s_delay_alu instid0(VALU_DEP_2) | instskip(NEXT) | instid1(VALU_DEP_1)
	v_mov_b32_e32 v8, v19
	v_pk_mul_f32 v[8:9], v[8:9], v[18:19]
	s_delay_alu instid0(VALU_DEP_1) | instskip(NEXT) | instid1(VALU_DEP_1)
	v_and_b32_e32 v9, 0x7f800000, v8
	v_cmpx_ne_u32_e32 0x7f800000, v9
	s_xor_b32 s14, exec_lo, s14
; %bb.2539:                             ;   in Loop: Header=BB12_2487 Depth=3
	v_bfe_u32 v9, v8, 16, 1
	s_delay_alu instid0(VALU_DEP_1)
	v_add3_u32 v13, v8, v9, 0x7fff
                                        ; implicit-def: $vgpr8_vgpr9
; %bb.2540:                             ;   in Loop: Header=BB12_2487 Depth=3
	s_and_not1_saveexec_b32 s14, s14
; %bb.2541:                             ;   in Loop: Header=BB12_2487 Depth=3
	v_and_b32_e32 v9, 0xffff, v8
	v_or_b32_e32 v13, 0x10000, v8
	s_delay_alu instid0(VALU_DEP_2) | instskip(NEXT) | instid1(VALU_DEP_2)
	v_cmp_eq_u32_e32 vcc_lo, 0, v9
	v_cndmask_b32_e32 v13, v13, v8, vcc_lo
; %bb.2542:                             ;   in Loop: Header=BB12_2487 Depth=3
	s_or_b32 exec_lo, exec_lo, s14
	v_lshlrev_b32_e32 v8, 16, v10
	v_lshlrev_b32_e32 v9, 16, v14
	s_mov_b32 s14, exec_lo
                                        ; implicit-def: $vgpr18
	s_delay_alu instid0(VALU_DEP_1) | instskip(NEXT) | instid1(VALU_DEP_1)
	v_mul_f32_e32 v8, v9, v8
	v_and_b32_e32 v9, 0x7f800000, v8
	s_delay_alu instid0(VALU_DEP_1)
	v_cmpx_ne_u32_e32 0x7f800000, v9
	s_xor_b32 s14, exec_lo, s14
; %bb.2543:                             ;   in Loop: Header=BB12_2487 Depth=3
	v_bfe_u32 v9, v8, 16, 1
	s_delay_alu instid0(VALU_DEP_1)
	v_add3_u32 v18, v8, v9, 0x7fff
                                        ; implicit-def: $vgpr8
; %bb.2544:                             ;   in Loop: Header=BB12_2487 Depth=3
	s_and_not1_saveexec_b32 s14, s14
; %bb.2545:                             ;   in Loop: Header=BB12_2487 Depth=3
	v_and_b32_e32 v9, 0xffff, v8
	v_or_b32_e32 v18, 0x10000, v8
	s_delay_alu instid0(VALU_DEP_2) | instskip(NEXT) | instid1(VALU_DEP_2)
	v_cmp_eq_u32_e32 vcc_lo, 0, v9
	v_cndmask_b32_e32 v18, v18, v8, vcc_lo
; %bb.2546:                             ;   in Loop: Header=BB12_2487 Depth=3
	s_or_b32 exec_lo, exec_lo, s14
	v_and_b32_e32 v9, 0xffff0000, v14
	v_and_b32_e32 v8, 0xffff0000, v10
	s_mov_b32 s14, exec_lo
	s_delay_alu instid0(VALU_DEP_2) | instskip(NEXT) | instid1(VALU_DEP_1)
	v_mov_b32_e32 v10, v9
	v_pk_mul_f32 v[8:9], v[10:11], v[8:9]
                                        ; implicit-def: $vgpr10
	s_delay_alu instid0(VALU_DEP_1) | instskip(NEXT) | instid1(VALU_DEP_1)
	v_and_b32_e32 v9, 0x7f800000, v8
	v_cmpx_ne_u32_e32 0x7f800000, v9
	s_xor_b32 s14, exec_lo, s14
; %bb.2547:                             ;   in Loop: Header=BB12_2487 Depth=3
	v_bfe_u32 v9, v8, 16, 1
	s_delay_alu instid0(VALU_DEP_1)
	v_add3_u32 v10, v8, v9, 0x7fff
                                        ; implicit-def: $vgpr8_vgpr9
; %bb.2548:                             ;   in Loop: Header=BB12_2487 Depth=3
	s_and_not1_saveexec_b32 s14, s14
; %bb.2549:                             ;   in Loop: Header=BB12_2487 Depth=3
	v_and_b32_e32 v9, 0xffff, v8
	v_or_b32_e32 v10, 0x10000, v8
	s_delay_alu instid0(VALU_DEP_2) | instskip(NEXT) | instid1(VALU_DEP_2)
	v_cmp_eq_u32_e32 vcc_lo, 0, v9
	v_cndmask_b32_e32 v10, v10, v8, vcc_lo
; %bb.2550:                             ;   in Loop: Header=BB12_2487 Depth=3
	s_or_b32 exec_lo, exec_lo, s14
	v_lshlrev_b32_e32 v8, 16, v11
	v_lshlrev_b32_e32 v9, 16, v15
	s_mov_b32 s14, exec_lo
                                        ; implicit-def: $vgpr14
	s_delay_alu instid0(VALU_DEP_1) | instskip(NEXT) | instid1(VALU_DEP_1)
	v_mul_f32_e32 v8, v9, v8
	v_and_b32_e32 v9, 0x7f800000, v8
	s_delay_alu instid0(VALU_DEP_1)
	v_cmpx_ne_u32_e32 0x7f800000, v9
	s_xor_b32 s14, exec_lo, s14
; %bb.2551:                             ;   in Loop: Header=BB12_2487 Depth=3
	v_bfe_u32 v9, v8, 16, 1
	s_delay_alu instid0(VALU_DEP_1)
	v_add3_u32 v14, v8, v9, 0x7fff
                                        ; implicit-def: $vgpr8
; %bb.2552:                             ;   in Loop: Header=BB12_2487 Depth=3
	s_and_not1_saveexec_b32 s14, s14
; %bb.2553:                             ;   in Loop: Header=BB12_2487 Depth=3
	v_and_b32_e32 v9, 0xffff, v8
	v_or_b32_e32 v14, 0x10000, v8
	s_delay_alu instid0(VALU_DEP_2) | instskip(NEXT) | instid1(VALU_DEP_2)
	v_cmp_eq_u32_e32 vcc_lo, 0, v9
	v_cndmask_b32_e32 v14, v14, v8, vcc_lo
; %bb.2554:                             ;   in Loop: Header=BB12_2487 Depth=3
	s_or_b32 exec_lo, exec_lo, s14
	v_and_b32_e32 v9, 0xffff0000, v15
	v_and_b32_e32 v8, 0xffff0000, v11
	s_mov_b32 s14, exec_lo
                                        ; implicit-def: $vgpr11
	s_delay_alu instid0(VALU_DEP_2) | instskip(NEXT) | instid1(VALU_DEP_1)
	v_mov_b32_e32 v26, v9
	v_pk_mul_f32 v[8:9], v[26:27], v[8:9]
	s_delay_alu instid0(VALU_DEP_1) | instskip(NEXT) | instid1(VALU_DEP_1)
	v_and_b32_e32 v9, 0x7f800000, v8
	v_cmpx_ne_u32_e32 0x7f800000, v9
	s_xor_b32 s14, exec_lo, s14
; %bb.2555:                             ;   in Loop: Header=BB12_2487 Depth=3
	v_bfe_u32 v9, v8, 16, 1
	s_delay_alu instid0(VALU_DEP_1)
	v_add3_u32 v11, v8, v9, 0x7fff
                                        ; implicit-def: $vgpr8_vgpr9
; %bb.2556:                             ;   in Loop: Header=BB12_2487 Depth=3
	s_and_not1_saveexec_b32 s14, s14
; %bb.2557:                             ;   in Loop: Header=BB12_2487 Depth=3
	v_and_b32_e32 v9, 0xffff, v8
	v_or_b32_e32 v11, 0x10000, v8
	s_delay_alu instid0(VALU_DEP_2) | instskip(NEXT) | instid1(VALU_DEP_2)
	v_cmp_eq_u32_e32 vcc_lo, 0, v9
	v_cndmask_b32_e32 v11, v11, v8, vcc_lo
; %bb.2558:                             ;   in Loop: Header=BB12_2487 Depth=3
	s_or_b32 exec_lo, exec_lo, s14
	v_dual_lshrrev_b32 v8, 16, v12 :: v_dual_lshrrev_b32 v6, 16, v6
	v_dual_lshrrev_b32 v12, 16, v18 :: v_dual_sub_nc_u32 v24, v24, v60
	v_lshrrev_b32_e32 v14, 16, v14
	s_delay_alu instid0(VALU_DEP_3) | instskip(NEXT) | instid1(VALU_DEP_4)
	v_and_or_b32 v9, 0xffff0000, v13, v8
	v_and_or_b32 v8, 0xffff0000, v7, v6
	s_delay_alu instid0(VALU_DEP_4) | instskip(NEXT) | instid1(VALU_DEP_4)
	v_and_or_b32 v10, 0xffff0000, v10, v12
	v_and_or_b32 v11, 0xffff0000, v11, v14
	global_store_b128 v[0:1], v[8:11], off th:TH_STORE_NT
	s_wait_xcnt 0x0
	v_add_nc_u64_e32 v[0:1], 0x200, v[0:1]
	scratch_store_b128 off, v[8:11], s33 offset:192
	s_wait_xcnt 0x0
	s_and_saveexec_b32 s14, s89
	s_cbranch_execz .LBB12_2486
; %bb.2559:                             ;   in Loop: Header=BB12_2487 Depth=3
	v_add_nc_u64_e32 v[4:5], v[4:5], v[90:91]
	v_add_nc_u64_e32 v[16:17], v[16:17], v[90:91]
	;; [unrolled: 1-line block ×3, first 2 shown]
	v_dual_sub_nc_u32 v2, v2, v121 :: v_dual_sub_nc_u32 v24, v24, v60
	s_branch .LBB12_2486
.LBB12_2560:                            ;   in Loop: Header=BB12_1247 Depth=2
	s_or_b32 exec_lo, exec_lo, s79
	s_delay_alu instid0(SALU_CYCLE_1)
	s_and_b32 s15, s88, exec_lo
.LBB12_2561:                            ;   in Loop: Header=BB12_1247 Depth=2
	s_or_b32 exec_lo, exec_lo, s78
	s_and_saveexec_b32 s14, s15
	s_cbranch_execz .LBB12_2595
; %bb.2562:                             ;   in Loop: Header=BB12_1247 Depth=2
	s_clause 0x1
	scratch_load_b128 v[8:11], off, s33 offset:224
	scratch_load_b128 v[12:15], off, s33 offset:240
	s_wait_loadcnt 0x1
	v_lshlrev_b32_e32 v2, 16, v8
	s_wait_loadcnt 0x0
	v_lshlrev_b32_e32 v4, 16, v12
	s_delay_alu instid0(VALU_DEP_1) | instskip(NEXT) | instid1(VALU_DEP_1)
	v_mul_f32_e32 v4, v2, v4
	v_and_b32_e32 v2, 0x7f800000, v4
	s_delay_alu instid0(VALU_DEP_1) | instskip(SKIP_2) | instid1(SALU_CYCLE_1)
	v_cmp_ne_u32_e32 vcc_lo, 0x7f800000, v2
                                        ; implicit-def: $vgpr2
	s_wait_xcnt 0x0
	s_and_saveexec_b32 s15, vcc_lo
	s_xor_b32 s15, exec_lo, s15
; %bb.2563:                             ;   in Loop: Header=BB12_1247 Depth=2
	v_bfe_u32 v2, v4, 16, 1
	s_delay_alu instid0(VALU_DEP_1)
	v_add3_u32 v2, v4, v2, 0x7fff
                                        ; implicit-def: $vgpr4
; %bb.2564:                             ;   in Loop: Header=BB12_1247 Depth=2
	s_and_not1_saveexec_b32 s15, s15
; %bb.2565:                             ;   in Loop: Header=BB12_1247 Depth=2
	v_and_b32_e32 v2, 0xffff, v4
	v_or_b32_e32 v5, 0x10000, v4
	s_delay_alu instid0(VALU_DEP_2) | instskip(NEXT) | instid1(VALU_DEP_2)
	v_cmp_eq_u32_e32 vcc_lo, 0, v2
	v_cndmask_b32_e32 v2, v5, v4, vcc_lo
; %bb.2566:                             ;   in Loop: Header=BB12_1247 Depth=2
	s_or_b32 exec_lo, exec_lo, s15
	v_and_b32_e32 v5, 0xffff0000, v12
	v_and_b32_e32 v4, 0xffff0000, v8
	s_mov_b32 s15, exec_lo
	s_delay_alu instid0(VALU_DEP_2) | instskip(NEXT) | instid1(VALU_DEP_1)
	v_mov_b32_e32 v6, v5
	v_pk_mul_f32 v[4:5], v[6:7], v[4:5]
                                        ; implicit-def: $vgpr6
	s_delay_alu instid0(VALU_DEP_1) | instskip(NEXT) | instid1(VALU_DEP_1)
	v_and_b32_e32 v5, 0x7f800000, v4
	v_cmpx_ne_u32_e32 0x7f800000, v5
	s_xor_b32 s15, exec_lo, s15
; %bb.2567:                             ;   in Loop: Header=BB12_1247 Depth=2
	v_bfe_u32 v5, v4, 16, 1
	s_delay_alu instid0(VALU_DEP_1)
	v_add3_u32 v6, v4, v5, 0x7fff
                                        ; implicit-def: $vgpr4_vgpr5
; %bb.2568:                             ;   in Loop: Header=BB12_1247 Depth=2
	s_and_not1_saveexec_b32 s15, s15
; %bb.2569:                             ;   in Loop: Header=BB12_1247 Depth=2
	v_and_b32_e32 v5, 0xffff, v4
	v_or_b32_e32 v6, 0x10000, v4
	s_delay_alu instid0(VALU_DEP_2) | instskip(NEXT) | instid1(VALU_DEP_2)
	v_cmp_eq_u32_e32 vcc_lo, 0, v5
	v_cndmask_b32_e32 v6, v6, v4, vcc_lo
; %bb.2570:                             ;   in Loop: Header=BB12_1247 Depth=2
	s_or_b32 exec_lo, exec_lo, s15
	v_lshlrev_b32_e32 v4, 16, v9
	v_lshlrev_b32_e32 v5, 16, v13
	s_mov_b32 s15, exec_lo
                                        ; implicit-def: $vgpr7
	s_delay_alu instid0(VALU_DEP_1) | instskip(NEXT) | instid1(VALU_DEP_1)
	v_mul_f32_e32 v4, v5, v4
	v_and_b32_e32 v5, 0x7f800000, v4
	s_delay_alu instid0(VALU_DEP_1)
	v_cmpx_ne_u32_e32 0x7f800000, v5
	s_xor_b32 s15, exec_lo, s15
; %bb.2571:                             ;   in Loop: Header=BB12_1247 Depth=2
	v_bfe_u32 v5, v4, 16, 1
	s_delay_alu instid0(VALU_DEP_1)
	v_add3_u32 v7, v4, v5, 0x7fff
                                        ; implicit-def: $vgpr4
; %bb.2572:                             ;   in Loop: Header=BB12_1247 Depth=2
	s_and_not1_saveexec_b32 s15, s15
; %bb.2573:                             ;   in Loop: Header=BB12_1247 Depth=2
	v_and_b32_e32 v5, 0xffff, v4
	v_or_b32_e32 v7, 0x10000, v4
	s_delay_alu instid0(VALU_DEP_2) | instskip(NEXT) | instid1(VALU_DEP_2)
	v_cmp_eq_u32_e32 vcc_lo, 0, v5
	v_cndmask_b32_e32 v7, v7, v4, vcc_lo
; %bb.2574:                             ;   in Loop: Header=BB12_1247 Depth=2
	s_or_b32 exec_lo, exec_lo, s15
	v_and_b32_e32 v5, 0xffff0000, v13
	v_and_b32_e32 v4, 0xffff0000, v9
	s_mov_b32 s15, exec_lo
	s_delay_alu instid0(VALU_DEP_2) | instskip(NEXT) | instid1(VALU_DEP_1)
	v_mov_b32_e32 v8, v5
	v_pk_mul_f32 v[4:5], v[8:9], v[4:5]
                                        ; implicit-def: $vgpr8
	s_delay_alu instid0(VALU_DEP_1) | instskip(NEXT) | instid1(VALU_DEP_1)
	v_and_b32_e32 v5, 0x7f800000, v4
	v_cmpx_ne_u32_e32 0x7f800000, v5
	s_xor_b32 s15, exec_lo, s15
; %bb.2575:                             ;   in Loop: Header=BB12_1247 Depth=2
	v_bfe_u32 v5, v4, 16, 1
	s_delay_alu instid0(VALU_DEP_1)
	v_add3_u32 v8, v4, v5, 0x7fff
                                        ; implicit-def: $vgpr4_vgpr5
; %bb.2576:                             ;   in Loop: Header=BB12_1247 Depth=2
	s_and_not1_saveexec_b32 s15, s15
; %bb.2577:                             ;   in Loop: Header=BB12_1247 Depth=2
	v_and_b32_e32 v5, 0xffff, v4
	v_or_b32_e32 v8, 0x10000, v4
	s_delay_alu instid0(VALU_DEP_2) | instskip(NEXT) | instid1(VALU_DEP_2)
	v_cmp_eq_u32_e32 vcc_lo, 0, v5
	v_cndmask_b32_e32 v8, v8, v4, vcc_lo
; %bb.2578:                             ;   in Loop: Header=BB12_1247 Depth=2
	s_or_b32 exec_lo, exec_lo, s15
	v_lshlrev_b32_e32 v4, 16, v10
	v_lshlrev_b32_e32 v5, 16, v14
	s_mov_b32 s15, exec_lo
                                        ; implicit-def: $vgpr9
	s_delay_alu instid0(VALU_DEP_1) | instskip(NEXT) | instid1(VALU_DEP_1)
	v_mul_f32_e32 v4, v5, v4
	v_and_b32_e32 v5, 0x7f800000, v4
	s_delay_alu instid0(VALU_DEP_1)
	v_cmpx_ne_u32_e32 0x7f800000, v5
	s_xor_b32 s15, exec_lo, s15
; %bb.2579:                             ;   in Loop: Header=BB12_1247 Depth=2
	v_bfe_u32 v5, v4, 16, 1
	s_delay_alu instid0(VALU_DEP_1)
	v_add3_u32 v9, v4, v5, 0x7fff
                                        ; implicit-def: $vgpr4
; %bb.2580:                             ;   in Loop: Header=BB12_1247 Depth=2
	s_and_not1_saveexec_b32 s15, s15
; %bb.2581:                             ;   in Loop: Header=BB12_1247 Depth=2
	v_and_b32_e32 v5, 0xffff, v4
	v_or_b32_e32 v9, 0x10000, v4
	s_delay_alu instid0(VALU_DEP_2) | instskip(NEXT) | instid1(VALU_DEP_2)
	v_cmp_eq_u32_e32 vcc_lo, 0, v5
	v_cndmask_b32_e32 v9, v9, v4, vcc_lo
; %bb.2582:                             ;   in Loop: Header=BB12_1247 Depth=2
	s_or_b32 exec_lo, exec_lo, s15
	v_and_b32_e32 v5, 0xffff0000, v14
	v_and_b32_e32 v4, 0xffff0000, v10
	s_mov_b32 s15, exec_lo
	s_delay_alu instid0(VALU_DEP_2) | instskip(NEXT) | instid1(VALU_DEP_1)
	v_mov_b32_e32 v10, v5
	v_pk_mul_f32 v[4:5], v[10:11], v[4:5]
                                        ; implicit-def: $vgpr10
	s_delay_alu instid0(VALU_DEP_1) | instskip(NEXT) | instid1(VALU_DEP_1)
	v_and_b32_e32 v5, 0x7f800000, v4
	v_cmpx_ne_u32_e32 0x7f800000, v5
	s_xor_b32 s15, exec_lo, s15
; %bb.2583:                             ;   in Loop: Header=BB12_1247 Depth=2
	v_bfe_u32 v5, v4, 16, 1
	s_delay_alu instid0(VALU_DEP_1)
	v_add3_u32 v10, v4, v5, 0x7fff
                                        ; implicit-def: $vgpr4_vgpr5
; %bb.2584:                             ;   in Loop: Header=BB12_1247 Depth=2
	s_and_not1_saveexec_b32 s15, s15
; %bb.2585:                             ;   in Loop: Header=BB12_1247 Depth=2
	v_and_b32_e32 v5, 0xffff, v4
	v_or_b32_e32 v10, 0x10000, v4
	s_delay_alu instid0(VALU_DEP_2) | instskip(NEXT) | instid1(VALU_DEP_2)
	v_cmp_eq_u32_e32 vcc_lo, 0, v5
	v_cndmask_b32_e32 v10, v10, v4, vcc_lo
; %bb.2586:                             ;   in Loop: Header=BB12_1247 Depth=2
	s_or_b32 exec_lo, exec_lo, s15
	v_lshlrev_b32_e32 v4, 16, v11
	v_lshlrev_b32_e32 v5, 16, v15
	s_mov_b32 s15, exec_lo
                                        ; implicit-def: $vgpr12
	s_delay_alu instid0(VALU_DEP_1) | instskip(NEXT) | instid1(VALU_DEP_1)
	v_mul_f32_e32 v4, v5, v4
	v_and_b32_e32 v5, 0x7f800000, v4
	s_delay_alu instid0(VALU_DEP_1)
	v_cmpx_ne_u32_e32 0x7f800000, v5
	s_xor_b32 s15, exec_lo, s15
; %bb.2587:                             ;   in Loop: Header=BB12_1247 Depth=2
	v_bfe_u32 v5, v4, 16, 1
	s_delay_alu instid0(VALU_DEP_1)
	v_add3_u32 v12, v4, v5, 0x7fff
                                        ; implicit-def: $vgpr4
; %bb.2588:                             ;   in Loop: Header=BB12_1247 Depth=2
	s_and_not1_saveexec_b32 s15, s15
; %bb.2589:                             ;   in Loop: Header=BB12_1247 Depth=2
	v_and_b32_e32 v5, 0xffff, v4
	v_or_b32_e32 v12, 0x10000, v4
	s_delay_alu instid0(VALU_DEP_2) | instskip(NEXT) | instid1(VALU_DEP_2)
	v_cmp_eq_u32_e32 vcc_lo, 0, v5
	v_cndmask_b32_e32 v12, v12, v4, vcc_lo
; %bb.2590:                             ;   in Loop: Header=BB12_1247 Depth=2
	s_or_b32 exec_lo, exec_lo, s15
	v_and_b32_e32 v5, 0xffff0000, v15
	v_and_b32_e32 v4, 0xffff0000, v11
	s_mov_b32 s15, exec_lo
                                        ; implicit-def: $vgpr11
	s_delay_alu instid0(VALU_DEP_2) | instskip(NEXT) | instid1(VALU_DEP_1)
	v_mov_b32_e32 v14, v5
	v_pk_mul_f32 v[4:5], v[14:15], v[4:5]
	s_delay_alu instid0(VALU_DEP_1) | instskip(NEXT) | instid1(VALU_DEP_1)
	v_and_b32_e32 v5, 0x7f800000, v4
	v_cmpx_ne_u32_e32 0x7f800000, v5
	s_xor_b32 s15, exec_lo, s15
; %bb.2591:                             ;   in Loop: Header=BB12_1247 Depth=2
	v_bfe_u32 v5, v4, 16, 1
	s_delay_alu instid0(VALU_DEP_1)
	v_add3_u32 v11, v4, v5, 0x7fff
                                        ; implicit-def: $vgpr4_vgpr5
; %bb.2592:                             ;   in Loop: Header=BB12_1247 Depth=2
	s_and_not1_saveexec_b32 s15, s15
; %bb.2593:                             ;   in Loop: Header=BB12_1247 Depth=2
	v_and_b32_e32 v5, 0xffff, v4
	v_or_b32_e32 v11, 0x10000, v4
	s_delay_alu instid0(VALU_DEP_2) | instskip(NEXT) | instid1(VALU_DEP_2)
	v_cmp_eq_u32_e32 vcc_lo, 0, v5
	v_cndmask_b32_e32 v11, v11, v4, vcc_lo
; %bb.2594:                             ;   in Loop: Header=BB12_1247 Depth=2
	s_or_b32 exec_lo, exec_lo, s15
	v_dual_lshrrev_b32 v4, 16, v7 :: v_dual_lshrrev_b32 v2, 16, v2
	v_dual_lshrrev_b32 v7, 16, v9 :: v_dual_lshrrev_b32 v9, 16, v12
	s_delay_alu instid0(VALU_DEP_2) | instskip(NEXT) | instid1(VALU_DEP_3)
	v_and_or_b32 v5, 0xffff0000, v8, v4
	v_and_or_b32 v4, 0xffff0000, v6, v2
	s_delay_alu instid0(VALU_DEP_3) | instskip(NEXT) | instid1(VALU_DEP_4)
	v_and_or_b32 v6, 0xffff0000, v10, v7
	v_and_or_b32 v7, 0xffff0000, v11, v9
	global_store_b128 v[0:1], v[4:7], off th:TH_STORE_NT
.LBB12_2595:                            ;   in Loop: Header=BB12_1247 Depth=2
	s_wait_xcnt 0x0
	s_or_b32 exec_lo, exec_lo, s14
	v_and_b32_e32 v1, 14, v123
	s_mov_b32 s15, s76
	s_mov_b32 s14, exec_lo
                                        ; implicit-def: $vgpr10
                                        ; implicit-def: $vgpr11
                                        ; implicit-def: $vgpr0
	s_delay_alu instid0(VALU_DEP_1) | instskip(NEXT) | instid1(VALU_DEP_1)
	v_cndmask_b32_e64 v123, v23, v1, s13
	v_cmpx_ne_u32_e32 0, v123
	s_cbranch_execz .LBB12_2597
; %bb.2596:                             ;   in Loop: Header=BB12_1247 Depth=2
	v_cmp_lt_i32_e32 vcc_lo, 0, v24
	s_or_b32 s15, s76, exec_lo
	v_dual_cndmask_b32 v0, 0, v60 :: v_dual_sub_nc_u32 v1, v23, v1
	s_delay_alu instid0(VALU_DEP_1) | instskip(NEXT) | instid1(VALU_DEP_1)
	v_dual_cndmask_b32 v1, 0, v1, s13 :: v_dual_sub_nc_u32 v0, v0, v24
	v_add3_u32 v10, v21, v20, v1
	s_delay_alu instid0(VALU_DEP_2) | instskip(NEXT) | instid1(VALU_DEP_1)
	v_lshl_add_u32 v2, v0, 5, v22
	v_ashrrev_i32_e32 v0, 31, v2
	s_delay_alu instid0(VALU_DEP_1) | instskip(NEXT) | instid1(VALU_DEP_1)
	v_lshrrev_b32_e32 v0, 27, v0
	v_add_nc_u32_e32 v0, v2, v0
	s_delay_alu instid0(VALU_DEP_1) | instskip(SKIP_1) | instid1(VALU_DEP_2)
	v_and_b32_e32 v4, 0xffffffe0, v0
	v_ashrrev_i32_e32 v0, 5, v0
	v_sub_nc_u32_e32 v11, v2, v4
.LBB12_2597:                            ;   in Loop: Header=BB12_1247 Depth=2
	s_or_b32 exec_lo, exec_lo, s14
	s_delay_alu instid0(SALU_CYCLE_1) | instskip(SKIP_1) | instid1(SALU_CYCLE_1)
	s_and_not1_b32 s13, s76, exec_lo
	s_and_b32 s14, s15, exec_lo
	s_or_b32 s76, s13, s14
.LBB12_2598:                            ;   in Loop: Header=BB12_1247 Depth=2
	s_or_b32 exec_lo, exec_lo, s77
	s_and_saveexec_b32 s15, s76
	s_cbranch_execz .LBB12_2826
.LBB12_2599:                            ;   in Loop: Header=BB12_1247 Depth=2
	s_wait_loadcnt 0x0
	v_dual_ashrrev_i32 v1, 31, v123 :: v_dual_lshlrev_b32 v2, 10, v0
	v_dual_mov_b32 v85, 0 :: v_dual_lshlrev_b32 v4, 1, v11
	s_delay_alu instid0(VALU_DEP_2) | instskip(SKIP_1) | instid1(VALU_DEP_3)
	v_dual_mov_b32 v82, 0 :: v_dual_lshrrev_b32 v1, 22, v1
	v_dual_mov_b32 v71, 0 :: v_dual_mov_b32 v6, 0
	v_add3_u32 v8, v10, v4, v2
	v_dual_mov_b32 v67, 0 :: v_dual_mov_b32 v65, 0
	s_delay_alu instid0(VALU_DEP_4) | instskip(NEXT) | instid1(VALU_DEP_3)
	v_dual_mov_b32 v54, 0 :: v_dual_add_nc_u32 v1, v123, v1
	v_dual_mov_b32 v16, 0 :: v_dual_ashrrev_i32 v9, 31, v8
	s_delay_alu instid0(VALU_DEP_2) | instskip(SKIP_2) | instid1(VALU_DEP_3)
	v_dual_mov_b32 v7, 0 :: v_dual_ashrrev_i32 v12, 10, v1
	v_dual_mov_b32 v51, 0 :: v_dual_mov_b32 v48, 0
	v_dual_mov_b32 v21, 0 :: v_dual_mov_b32 v18, 0
	v_dual_sub_nc_u32 v32, v12, v0 :: v_dual_mov_b32 v14, 0
	v_add_nc_u64_e32 v[0:1], v[44:45], v[8:9]
	v_dual_mov_b32 v5, 0 :: v_dual_mov_b32 v2, 0
	v_dual_mov_b32 v86, 0 :: v_dual_mov_b32 v83, 0
	;; [unrolled: 1-line block ×9, first 2 shown]
	s_mov_b32 s14, 0
	s_mov_b32 s13, exec_lo
	v_cmpx_lt_i32_e32 0, v32
	s_cbranch_execz .LBB12_2735
; %bb.2600:                             ;   in Loop: Header=BB12_1247 Depth=2
	s_trap 2
	ds_load_b64 v[6:7], v0
	v_add_nc_u64_e32 v[4:5], v[8:9], v[72:73]
	s_mov_b32 s41, 0
	s_mov_b32 s40, 0
                                        ; implicit-def: $sgpr14
                                        ; implicit-def: $vgpr102
                                        ; implicit-def: $vgpr98
                                        ; implicit-def: $vgpr87
                                        ; implicit-def: $vgpr84
                                        ; implicit-def: $vgpr81
                                        ; implicit-def: $vgpr70
                                        ; implicit-def: $vgpr68
                                        ; implicit-def: $vgpr64
                                        ; implicit-def: $vgpr53
                                        ; implicit-def: $vgpr50
                                        ; implicit-def: $vgpr39
                                        ; implicit-def: $vgpr37
                                        ; implicit-def: $vgpr36
                                        ; implicit-def: $vgpr35
                                        ; implicit-def: $vgpr34
                                        ; implicit-def: $vgpr33
                                        ; implicit-def: $vgpr13
                                        ; implicit-def: $vgpr14
                                        ; implicit-def: $vgpr15
                                        ; implicit-def: $vgpr16
                                        ; implicit-def: $vgpr17
                                        ; implicit-def: $vgpr18
                                        ; implicit-def: $vgpr19
                                        ; implicit-def: $vgpr20
                                        ; implicit-def: $vgpr21
                                        ; implicit-def: $vgpr22
                                        ; implicit-def: $vgpr23
                                        ; implicit-def: $vgpr24
                                        ; implicit-def: $vgpr25
                                        ; implicit-def: $vgpr26
                                        ; implicit-def: $vgpr27
                                        ; implicit-def: $vgpr31
	s_wait_dscnt 0x0
	v_add_nc_u64_e32 v[8:9], v[6:7], v[8:9]
	s_branch .LBB12_2602
.LBB12_2601:                            ;   in Loop: Header=BB12_2602 Depth=3
	s_or_b32 exec_lo, exec_lo, s76
	v_dual_cndmask_b32 v48, 0, v60, s41 :: v_dual_cndmask_b32 v97, 0, v105, s41
	s_clause 0x7
	flat_store_d16_hi_b16 v[0:1], v42 th:TH_STORE_NT
	flat_store_d16_hi_b16 v[0:1], v118 offset:64 th:TH_STORE_NT
	flat_store_d16_hi_b16 v[0:1], v114 offset:128 th:TH_STORE_NT
	;; [unrolled: 1-line block ×7, first 2 shown]
	s_wait_xcnt 0x2
	v_add_nc_u64_e32 v[6:7], v[4:5], v[78:79]
	v_add_nc_u64_e32 v[66:67], v[8:9], v[78:79]
	v_sub_nc_u32_e32 v32, v32, v48
	s_wait_xcnt 0x1
	v_cndmask_b32_e64 v96, 0x400, v104, s41
	s_clause 0x7
	flat_store_d16_hi_b16 v[0:1], v82 offset:512 th:TH_STORE_NT
	flat_store_d16_hi_b16 v[0:1], v71 offset:576 th:TH_STORE_NT
	;; [unrolled: 1-line block ×8, first 2 shown]
	v_cndmask_b32_e64 v5, v5, v7, s41
	v_cmp_gt_i32_e32 vcc_lo, 1, v32
	s_wait_xcnt 0x0
	v_add_nc_u64_e32 v[0:1], v[0:1], v[96:97]
	v_dual_cndmask_b32 v4, v4, v6, s41 :: v_dual_cndmask_b32 v9, v9, v67, s41
	v_cndmask_b32_e64 v8, v8, v66, s41
	s_or_b32 s40, vcc_lo, s40
	s_and_not1_b32 s14, s14, exec_lo
	s_and_b32 s76, s41, exec_lo
	s_delay_alu instid0(SALU_CYCLE_1)
	s_or_b32 s14, s14, s76
	s_and_not1_b32 exec_lo, exec_lo, s40
	s_cbranch_execz .LBB12_2734
.LBB12_2602:                            ;   Parent Loop BB12_47 Depth=1
                                        ;     Parent Loop BB12_1247 Depth=2
                                        ; =>    This Inner Loop Header: Depth=3
	s_clause 0xf
	flat_load_u16 v42, v[4:5] th:TH_LOAD_NT
	flat_load_u16 v118, v[4:5] offset:64 th:TH_LOAD_NT
	flat_load_u16 v114, v[4:5] offset:128 th:TH_LOAD_NT
	flat_load_u16 v112, v[4:5] offset:192 th:TH_LOAD_NT
	flat_load_u16 v101, v[4:5] offset:256 th:TH_LOAD_NT
	flat_load_u16 v99, v[4:5] offset:320 th:TH_LOAD_NT
	flat_load_u16 v96, v[4:5] offset:384 th:TH_LOAD_NT
	flat_load_u16 v85, v[4:5] offset:448 th:TH_LOAD_NT
	flat_load_u16 v82, v[4:5] offset:512 th:TH_LOAD_NT
	flat_load_u16 v71, v[4:5] offset:576 th:TH_LOAD_NT
	flat_load_u16 v69, v[4:5] offset:640 th:TH_LOAD_NT
	flat_load_u16 v66, v[4:5] offset:704 th:TH_LOAD_NT
	flat_load_u16 v55, v[4:5] offset:768 th:TH_LOAD_NT
	flat_load_u16 v52, v[4:5] offset:832 th:TH_LOAD_NT
	flat_load_u16 v49, v[4:5] offset:896 th:TH_LOAD_NT
	flat_load_u16 v38, v[4:5] offset:960 th:TH_LOAD_NT
	s_clause 0xf
	flat_load_u16 v43, v[8:9] th:TH_LOAD_NT
	flat_load_u16 v119, v[8:9] offset:64 th:TH_LOAD_NT
	flat_load_u16 v115, v[8:9] offset:128 th:TH_LOAD_NT
	;; [unrolled: 1-line block ×15, first 2 shown]
	s_wait_xcnt 0x0
	s_and_saveexec_b32 s76, s41
	s_cbranch_execz .LBB12_2668
; %bb.2603:                             ;   in Loop: Header=BB12_2602 Depth=3
	v_dual_lshlrev_b32 v6, 16, v102 :: v_dual_lshlrev_b32 v7, 16, v13
	s_mov_b32 s41, exec_lo
                                        ; implicit-def: $vgpr102
	s_delay_alu instid0(VALU_DEP_1) | instskip(NEXT) | instid1(VALU_DEP_1)
	v_mul_f32_e32 v6, v6, v7
	v_and_b32_e32 v7, 0x7f800000, v6
	s_delay_alu instid0(VALU_DEP_1)
	v_cmpx_ne_u32_e32 0x7f800000, v7
	s_xor_b32 s41, exec_lo, s41
; %bb.2604:                             ;   in Loop: Header=BB12_2602 Depth=3
	v_bfe_u32 v7, v6, 16, 1
	s_delay_alu instid0(VALU_DEP_1)
	v_add3_u32 v102, v6, v7, 0x7fff
                                        ; implicit-def: $vgpr6
; %bb.2605:                             ;   in Loop: Header=BB12_2602 Depth=3
	s_and_not1_saveexec_b32 s41, s41
; %bb.2606:                             ;   in Loop: Header=BB12_2602 Depth=3
	v_and_b32_e32 v7, 0xffff, v6
	v_or_b32_e32 v29, 0x10000, v6
	s_delay_alu instid0(VALU_DEP_2) | instskip(NEXT) | instid1(VALU_DEP_2)
	v_cmp_eq_u32_e32 vcc_lo, 0, v7
	v_cndmask_b32_e32 v102, v29, v6, vcc_lo
; %bb.2607:                             ;   in Loop: Header=BB12_2602 Depth=3
	s_or_b32 exec_lo, exec_lo, s41
	v_lshlrev_b32_e32 v6, 16, v98
	v_lshlrev_b32_e32 v7, 16, v14
	s_mov_b32 s41, exec_lo
                                        ; implicit-def: $vgpr98
	s_delay_alu instid0(VALU_DEP_1) | instskip(NEXT) | instid1(VALU_DEP_1)
	v_mul_f32_e32 v6, v6, v7
	v_and_b32_e32 v7, 0x7f800000, v6
	s_delay_alu instid0(VALU_DEP_1)
	v_cmpx_ne_u32_e32 0x7f800000, v7
	s_xor_b32 s41, exec_lo, s41
; %bb.2608:                             ;   in Loop: Header=BB12_2602 Depth=3
	v_bfe_u32 v7, v6, 16, 1
	s_delay_alu instid0(VALU_DEP_1)
	v_add3_u32 v98, v6, v7, 0x7fff
                                        ; implicit-def: $vgpr6
; %bb.2609:                             ;   in Loop: Header=BB12_2602 Depth=3
	s_and_not1_saveexec_b32 s41, s41
; %bb.2610:                             ;   in Loop: Header=BB12_2602 Depth=3
	v_and_b32_e32 v7, 0xffff, v6
	v_or_b32_e32 v29, 0x10000, v6
	s_delay_alu instid0(VALU_DEP_2) | instskip(NEXT) | instid1(VALU_DEP_2)
	v_cmp_eq_u32_e32 vcc_lo, 0, v7
	v_cndmask_b32_e32 v98, v29, v6, vcc_lo
; %bb.2611:                             ;   in Loop: Header=BB12_2602 Depth=3
	s_or_b32 exec_lo, exec_lo, s41
	v_lshlrev_b32_e32 v6, 16, v87
	v_lshlrev_b32_e32 v7, 16, v15
	s_mov_b32 s41, exec_lo
                                        ; implicit-def: $vgpr87
	s_delay_alu instid0(VALU_DEP_1) | instskip(NEXT) | instid1(VALU_DEP_1)
	v_mul_f32_e32 v6, v6, v7
	v_and_b32_e32 v7, 0x7f800000, v6
	s_delay_alu instid0(VALU_DEP_1)
	v_cmpx_ne_u32_e32 0x7f800000, v7
	s_xor_b32 s41, exec_lo, s41
; %bb.2612:                             ;   in Loop: Header=BB12_2602 Depth=3
	v_bfe_u32 v7, v6, 16, 1
	s_delay_alu instid0(VALU_DEP_1)
	v_add3_u32 v87, v6, v7, 0x7fff
                                        ; implicit-def: $vgpr6
; %bb.2613:                             ;   in Loop: Header=BB12_2602 Depth=3
	s_and_not1_saveexec_b32 s41, s41
; %bb.2614:                             ;   in Loop: Header=BB12_2602 Depth=3
	v_and_b32_e32 v7, 0xffff, v6
	v_or_b32_e32 v29, 0x10000, v6
	s_delay_alu instid0(VALU_DEP_2) | instskip(NEXT) | instid1(VALU_DEP_2)
	v_cmp_eq_u32_e32 vcc_lo, 0, v7
	v_cndmask_b32_e32 v87, v29, v6, vcc_lo
; %bb.2615:                             ;   in Loop: Header=BB12_2602 Depth=3
	s_or_b32 exec_lo, exec_lo, s41
	v_lshlrev_b32_e32 v6, 16, v84
	v_lshlrev_b32_e32 v7, 16, v16
	s_mov_b32 s41, exec_lo
                                        ; implicit-def: $vgpr84
	s_delay_alu instid0(VALU_DEP_1) | instskip(NEXT) | instid1(VALU_DEP_1)
	v_mul_f32_e32 v6, v6, v7
	v_and_b32_e32 v7, 0x7f800000, v6
	s_delay_alu instid0(VALU_DEP_1)
	v_cmpx_ne_u32_e32 0x7f800000, v7
	s_xor_b32 s41, exec_lo, s41
; %bb.2616:                             ;   in Loop: Header=BB12_2602 Depth=3
	v_bfe_u32 v7, v6, 16, 1
	s_delay_alu instid0(VALU_DEP_1)
	v_add3_u32 v84, v6, v7, 0x7fff
                                        ; implicit-def: $vgpr6
; %bb.2617:                             ;   in Loop: Header=BB12_2602 Depth=3
	s_and_not1_saveexec_b32 s41, s41
; %bb.2618:                             ;   in Loop: Header=BB12_2602 Depth=3
	v_and_b32_e32 v7, 0xffff, v6
	v_or_b32_e32 v29, 0x10000, v6
	s_delay_alu instid0(VALU_DEP_2) | instskip(NEXT) | instid1(VALU_DEP_2)
	v_cmp_eq_u32_e32 vcc_lo, 0, v7
	v_cndmask_b32_e32 v84, v29, v6, vcc_lo
; %bb.2619:                             ;   in Loop: Header=BB12_2602 Depth=3
	s_or_b32 exec_lo, exec_lo, s41
	v_lshlrev_b32_e32 v6, 16, v81
	v_lshlrev_b32_e32 v7, 16, v17
	s_delay_alu instid0(VALU_DEP_1) | instskip(NEXT) | instid1(VALU_DEP_1)
	v_mul_f32_e32 v7, v6, v7
	v_and_b32_e32 v6, 0x7f800000, v7
	s_delay_alu instid0(VALU_DEP_1) | instskip(SKIP_1) | instid1(SALU_CYCLE_1)
	v_cmp_ne_u32_e32 vcc_lo, 0x7f800000, v6
                                        ; implicit-def: $vgpr6
	s_and_saveexec_b32 s41, vcc_lo
	s_xor_b32 s41, exec_lo, s41
; %bb.2620:                             ;   in Loop: Header=BB12_2602 Depth=3
	v_bfe_u32 v6, v7, 16, 1
	s_delay_alu instid0(VALU_DEP_1)
	v_add3_u32 v6, v7, v6, 0x7fff
                                        ; implicit-def: $vgpr7
; %bb.2621:                             ;   in Loop: Header=BB12_2602 Depth=3
	s_and_not1_saveexec_b32 s41, s41
; %bb.2622:                             ;   in Loop: Header=BB12_2602 Depth=3
	v_and_b32_e32 v6, 0xffff, v7
	v_or_b32_e32 v29, 0x10000, v7
	s_delay_alu instid0(VALU_DEP_2) | instskip(NEXT) | instid1(VALU_DEP_2)
	v_cmp_eq_u32_e32 vcc_lo, 0, v6
	v_cndmask_b32_e32 v6, v29, v7, vcc_lo
; %bb.2623:                             ;   in Loop: Header=BB12_2602 Depth=3
	s_or_b32 exec_lo, exec_lo, s41
	v_lshlrev_b32_e32 v7, 16, v70
	v_lshlrev_b32_e32 v29, 16, v18
	s_delay_alu instid0(VALU_DEP_1) | instskip(NEXT) | instid1(VALU_DEP_1)
	v_mul_f32_e32 v29, v7, v29
	v_and_b32_e32 v7, 0x7f800000, v29
	s_delay_alu instid0(VALU_DEP_1) | instskip(SKIP_1) | instid1(SALU_CYCLE_1)
	v_cmp_ne_u32_e32 vcc_lo, 0x7f800000, v7
                                        ; implicit-def: $vgpr7
	s_and_saveexec_b32 s41, vcc_lo
	s_xor_b32 s41, exec_lo, s41
; %bb.2624:                             ;   in Loop: Header=BB12_2602 Depth=3
	v_bfe_u32 v7, v29, 16, 1
	s_delay_alu instid0(VALU_DEP_1)
	v_add3_u32 v7, v29, v7, 0x7fff
                                        ; implicit-def: $vgpr29
; %bb.2625:                             ;   in Loop: Header=BB12_2602 Depth=3
	s_and_not1_saveexec_b32 s41, s41
; %bb.2626:                             ;   in Loop: Header=BB12_2602 Depth=3
	v_and_b32_e32 v7, 0xffff, v29
	v_or_b32_e32 v70, 0x10000, v29
	s_delay_alu instid0(VALU_DEP_2) | instskip(NEXT) | instid1(VALU_DEP_2)
	v_cmp_eq_u32_e32 vcc_lo, 0, v7
	v_cndmask_b32_e32 v7, v70, v29, vcc_lo
; %bb.2627:                             ;   in Loop: Header=BB12_2602 Depth=3
	s_or_b32 exec_lo, exec_lo, s41
	v_dual_lshlrev_b32 v29, 16, v68 :: v_dual_lshlrev_b32 v68, 16, v19
	s_delay_alu instid0(VALU_DEP_1) | instskip(NEXT) | instid1(VALU_DEP_1)
	v_mul_f32_e32 v29, v29, v68
	v_and_b32_e32 v68, 0x7f800000, v29
	s_delay_alu instid0(VALU_DEP_1) | instskip(SKIP_1) | instid1(SALU_CYCLE_1)
	v_cmp_ne_u32_e32 vcc_lo, 0x7f800000, v68
                                        ; implicit-def: $vgpr68
	s_and_saveexec_b32 s41, vcc_lo
	s_xor_b32 s41, exec_lo, s41
; %bb.2628:                             ;   in Loop: Header=BB12_2602 Depth=3
	v_bfe_u32 v68, v29, 16, 1
	s_delay_alu instid0(VALU_DEP_1)
	v_add3_u32 v68, v29, v68, 0x7fff
                                        ; implicit-def: $vgpr29
; %bb.2629:                             ;   in Loop: Header=BB12_2602 Depth=3
	s_and_not1_saveexec_b32 s41, s41
; %bb.2630:                             ;   in Loop: Header=BB12_2602 Depth=3
	v_and_b32_e32 v68, 0xffff, v29
	v_or_b32_e32 v70, 0x10000, v29
	s_delay_alu instid0(VALU_DEP_2) | instskip(NEXT) | instid1(VALU_DEP_2)
	v_cmp_eq_u32_e32 vcc_lo, 0, v68
	v_cndmask_b32_e32 v68, v70, v29, vcc_lo
; %bb.2631:                             ;   in Loop: Header=BB12_2602 Depth=3
	s_or_b32 exec_lo, exec_lo, s41
	v_lshlrev_b32_e32 v29, 16, v64
	v_lshlrev_b32_e32 v64, 16, v20
	s_delay_alu instid0(VALU_DEP_1) | instskip(NEXT) | instid1(VALU_DEP_1)
	v_mul_f32_e32 v29, v29, v64
	v_and_b32_e32 v64, 0x7f800000, v29
	s_delay_alu instid0(VALU_DEP_1) | instskip(SKIP_1) | instid1(SALU_CYCLE_1)
	v_cmp_ne_u32_e32 vcc_lo, 0x7f800000, v64
                                        ; implicit-def: $vgpr64
	s_and_saveexec_b32 s41, vcc_lo
	s_xor_b32 s41, exec_lo, s41
; %bb.2632:                             ;   in Loop: Header=BB12_2602 Depth=3
	v_bfe_u32 v64, v29, 16, 1
	s_delay_alu instid0(VALU_DEP_1)
	v_add3_u32 v64, v29, v64, 0x7fff
                                        ; implicit-def: $vgpr29
; %bb.2633:                             ;   in Loop: Header=BB12_2602 Depth=3
	s_and_not1_saveexec_b32 s41, s41
; %bb.2634:                             ;   in Loop: Header=BB12_2602 Depth=3
	v_and_b32_e32 v64, 0xffff, v29
	v_or_b32_e32 v70, 0x10000, v29
	s_delay_alu instid0(VALU_DEP_2) | instskip(NEXT) | instid1(VALU_DEP_2)
	v_cmp_eq_u32_e32 vcc_lo, 0, v64
	v_cndmask_b32_e32 v64, v70, v29, vcc_lo
; %bb.2635:                             ;   in Loop: Header=BB12_2602 Depth=3
	s_or_b32 exec_lo, exec_lo, s41
	v_lshlrev_b32_e32 v29, 16, v53
	v_lshlrev_b32_e32 v53, 16, v21
	s_delay_alu instid0(VALU_DEP_1) | instskip(NEXT) | instid1(VALU_DEP_1)
	v_mul_f32_e32 v29, v29, v53
	v_and_b32_e32 v53, 0x7f800000, v29
	s_delay_alu instid0(VALU_DEP_1) | instskip(SKIP_1) | instid1(SALU_CYCLE_1)
	v_cmp_ne_u32_e32 vcc_lo, 0x7f800000, v53
                                        ; implicit-def: $vgpr53
	s_and_saveexec_b32 s41, vcc_lo
	s_xor_b32 s41, exec_lo, s41
; %bb.2636:                             ;   in Loop: Header=BB12_2602 Depth=3
	v_bfe_u32 v53, v29, 16, 1
	s_delay_alu instid0(VALU_DEP_1)
	v_add3_u32 v53, v29, v53, 0x7fff
                                        ; implicit-def: $vgpr29
; %bb.2637:                             ;   in Loop: Header=BB12_2602 Depth=3
	s_and_not1_saveexec_b32 s41, s41
; %bb.2638:                             ;   in Loop: Header=BB12_2602 Depth=3
	v_and_b32_e32 v53, 0xffff, v29
	v_or_b32_e32 v70, 0x10000, v29
	s_delay_alu instid0(VALU_DEP_2) | instskip(NEXT) | instid1(VALU_DEP_2)
	v_cmp_eq_u32_e32 vcc_lo, 0, v53
	v_cndmask_b32_e32 v53, v70, v29, vcc_lo
; %bb.2639:                             ;   in Loop: Header=BB12_2602 Depth=3
	s_or_b32 exec_lo, exec_lo, s41
	v_lshlrev_b32_e32 v29, 16, v50
	v_lshlrev_b32_e32 v50, 16, v22
	s_delay_alu instid0(VALU_DEP_1) | instskip(NEXT) | instid1(VALU_DEP_1)
	v_mul_f32_e32 v29, v29, v50
	v_and_b32_e32 v50, 0x7f800000, v29
	s_delay_alu instid0(VALU_DEP_1) | instskip(SKIP_1) | instid1(SALU_CYCLE_1)
	v_cmp_ne_u32_e32 vcc_lo, 0x7f800000, v50
                                        ; implicit-def: $vgpr50
	s_and_saveexec_b32 s41, vcc_lo
	s_xor_b32 s41, exec_lo, s41
; %bb.2640:                             ;   in Loop: Header=BB12_2602 Depth=3
	v_bfe_u32 v50, v29, 16, 1
	s_delay_alu instid0(VALU_DEP_1)
	v_add3_u32 v50, v29, v50, 0x7fff
                                        ; implicit-def: $vgpr29
; %bb.2641:                             ;   in Loop: Header=BB12_2602 Depth=3
	s_and_not1_saveexec_b32 s41, s41
; %bb.2642:                             ;   in Loop: Header=BB12_2602 Depth=3
	v_and_b32_e32 v50, 0xffff, v29
	v_or_b32_e32 v70, 0x10000, v29
	s_delay_alu instid0(VALU_DEP_2) | instskip(NEXT) | instid1(VALU_DEP_2)
	v_cmp_eq_u32_e32 vcc_lo, 0, v50
	v_cndmask_b32_e32 v50, v70, v29, vcc_lo
; %bb.2643:                             ;   in Loop: Header=BB12_2602 Depth=3
	s_or_b32 exec_lo, exec_lo, s41
	v_lshlrev_b32_e32 v29, 16, v39
	v_lshlrev_b32_e32 v39, 16, v23
	s_delay_alu instid0(VALU_DEP_1) | instskip(NEXT) | instid1(VALU_DEP_1)
	v_mul_f32_e32 v39, v29, v39
	v_and_b32_e32 v29, 0x7f800000, v39
	s_delay_alu instid0(VALU_DEP_1) | instskip(SKIP_1) | instid1(SALU_CYCLE_1)
	v_cmp_ne_u32_e32 vcc_lo, 0x7f800000, v29
                                        ; implicit-def: $vgpr29
	s_and_saveexec_b32 s41, vcc_lo
	s_xor_b32 s41, exec_lo, s41
; %bb.2644:                             ;   in Loop: Header=BB12_2602 Depth=3
	v_bfe_u32 v29, v39, 16, 1
	s_delay_alu instid0(VALU_DEP_1)
	v_add3_u32 v29, v39, v29, 0x7fff
                                        ; implicit-def: $vgpr39
; %bb.2645:                             ;   in Loop: Header=BB12_2602 Depth=3
	s_and_not1_saveexec_b32 s41, s41
; %bb.2646:                             ;   in Loop: Header=BB12_2602 Depth=3
	v_and_b32_e32 v29, 0xffff, v39
	v_or_b32_e32 v70, 0x10000, v39
	s_delay_alu instid0(VALU_DEP_2) | instskip(NEXT) | instid1(VALU_DEP_2)
	v_cmp_eq_u32_e32 vcc_lo, 0, v29
	v_cndmask_b32_e32 v29, v70, v39, vcc_lo
; %bb.2647:                             ;   in Loop: Header=BB12_2602 Depth=3
	s_or_b32 exec_lo, exec_lo, s41
	v_dual_lshlrev_b32 v37, 16, v37 :: v_dual_lshlrev_b32 v39, 16, v24
	s_delay_alu instid0(VALU_DEP_1) | instskip(NEXT) | instid1(VALU_DEP_1)
	v_mul_f32_e32 v39, v37, v39
	v_and_b32_e32 v37, 0x7f800000, v39
	s_delay_alu instid0(VALU_DEP_1) | instskip(SKIP_1) | instid1(SALU_CYCLE_1)
	v_cmp_ne_u32_e32 vcc_lo, 0x7f800000, v37
                                        ; implicit-def: $vgpr37
	s_and_saveexec_b32 s41, vcc_lo
	s_xor_b32 s41, exec_lo, s41
; %bb.2648:                             ;   in Loop: Header=BB12_2602 Depth=3
	v_bfe_u32 v37, v39, 16, 1
	s_delay_alu instid0(VALU_DEP_1)
	v_add3_u32 v37, v39, v37, 0x7fff
                                        ; implicit-def: $vgpr39
; %bb.2649:                             ;   in Loop: Header=BB12_2602 Depth=3
	s_and_not1_saveexec_b32 s41, s41
; %bb.2650:                             ;   in Loop: Header=BB12_2602 Depth=3
	v_and_b32_e32 v37, 0xffff, v39
	v_or_b32_e32 v70, 0x10000, v39
	s_delay_alu instid0(VALU_DEP_2) | instskip(NEXT) | instid1(VALU_DEP_2)
	v_cmp_eq_u32_e32 vcc_lo, 0, v37
	v_cndmask_b32_e32 v37, v70, v39, vcc_lo
; %bb.2651:                             ;   in Loop: Header=BB12_2602 Depth=3
	s_or_b32 exec_lo, exec_lo, s41
	v_dual_lshlrev_b32 v36, 16, v36 :: v_dual_lshlrev_b32 v39, 16, v25
	s_delay_alu instid0(VALU_DEP_1) | instskip(NEXT) | instid1(VALU_DEP_1)
	v_mul_f32_e32 v39, v36, v39
	v_and_b32_e32 v36, 0x7f800000, v39
	s_delay_alu instid0(VALU_DEP_1) | instskip(SKIP_1) | instid1(SALU_CYCLE_1)
	v_cmp_ne_u32_e32 vcc_lo, 0x7f800000, v36
                                        ; implicit-def: $vgpr36
	s_and_saveexec_b32 s41, vcc_lo
	s_xor_b32 s41, exec_lo, s41
; %bb.2652:                             ;   in Loop: Header=BB12_2602 Depth=3
	v_bfe_u32 v36, v39, 16, 1
	s_delay_alu instid0(VALU_DEP_1)
	v_add3_u32 v36, v39, v36, 0x7fff
                                        ; implicit-def: $vgpr39
; %bb.2653:                             ;   in Loop: Header=BB12_2602 Depth=3
	s_and_not1_saveexec_b32 s41, s41
; %bb.2654:                             ;   in Loop: Header=BB12_2602 Depth=3
	v_and_b32_e32 v36, 0xffff, v39
	v_or_b32_e32 v70, 0x10000, v39
	s_delay_alu instid0(VALU_DEP_2) | instskip(NEXT) | instid1(VALU_DEP_2)
	v_cmp_eq_u32_e32 vcc_lo, 0, v36
	v_cndmask_b32_e32 v36, v70, v39, vcc_lo
; %bb.2655:                             ;   in Loop: Header=BB12_2602 Depth=3
	s_or_b32 exec_lo, exec_lo, s41
	v_dual_lshlrev_b32 v35, 16, v35 :: v_dual_lshlrev_b32 v39, 16, v26
	s_delay_alu instid0(VALU_DEP_1) | instskip(NEXT) | instid1(VALU_DEP_1)
	v_mul_f32_e32 v39, v35, v39
	v_and_b32_e32 v35, 0x7f800000, v39
	s_delay_alu instid0(VALU_DEP_1) | instskip(SKIP_1) | instid1(SALU_CYCLE_1)
	v_cmp_ne_u32_e32 vcc_lo, 0x7f800000, v35
                                        ; implicit-def: $vgpr35
	s_and_saveexec_b32 s41, vcc_lo
	s_xor_b32 s41, exec_lo, s41
; %bb.2656:                             ;   in Loop: Header=BB12_2602 Depth=3
	v_bfe_u32 v35, v39, 16, 1
	s_delay_alu instid0(VALU_DEP_1)
	v_add3_u32 v35, v39, v35, 0x7fff
                                        ; implicit-def: $vgpr39
; %bb.2657:                             ;   in Loop: Header=BB12_2602 Depth=3
	s_and_not1_saveexec_b32 s41, s41
; %bb.2658:                             ;   in Loop: Header=BB12_2602 Depth=3
	v_and_b32_e32 v35, 0xffff, v39
	v_or_b32_e32 v70, 0x10000, v39
	s_delay_alu instid0(VALU_DEP_2) | instskip(NEXT) | instid1(VALU_DEP_2)
	v_cmp_eq_u32_e32 vcc_lo, 0, v35
	v_cndmask_b32_e32 v35, v70, v39, vcc_lo
; %bb.2659:                             ;   in Loop: Header=BB12_2602 Depth=3
	s_or_b32 exec_lo, exec_lo, s41
	v_dual_lshlrev_b32 v34, 16, v34 :: v_dual_lshlrev_b32 v39, 16, v27
	s_delay_alu instid0(VALU_DEP_1) | instskip(NEXT) | instid1(VALU_DEP_1)
	v_mul_f32_e32 v39, v34, v39
	v_and_b32_e32 v34, 0x7f800000, v39
	s_delay_alu instid0(VALU_DEP_1) | instskip(SKIP_1) | instid1(SALU_CYCLE_1)
	v_cmp_ne_u32_e32 vcc_lo, 0x7f800000, v34
                                        ; implicit-def: $vgpr34
	s_and_saveexec_b32 s41, vcc_lo
	s_xor_b32 s41, exec_lo, s41
; %bb.2660:                             ;   in Loop: Header=BB12_2602 Depth=3
	v_bfe_u32 v34, v39, 16, 1
	s_delay_alu instid0(VALU_DEP_1)
	v_add3_u32 v34, v39, v34, 0x7fff
                                        ; implicit-def: $vgpr39
; %bb.2661:                             ;   in Loop: Header=BB12_2602 Depth=3
	s_and_not1_saveexec_b32 s41, s41
; %bb.2662:                             ;   in Loop: Header=BB12_2602 Depth=3
	v_and_b32_e32 v34, 0xffff, v39
	v_or_b32_e32 v70, 0x10000, v39
	s_delay_alu instid0(VALU_DEP_2) | instskip(NEXT) | instid1(VALU_DEP_2)
	v_cmp_eq_u32_e32 vcc_lo, 0, v34
	v_cndmask_b32_e32 v34, v70, v39, vcc_lo
; %bb.2663:                             ;   in Loop: Header=BB12_2602 Depth=3
	s_or_b32 exec_lo, exec_lo, s41
	v_dual_lshlrev_b32 v33, 16, v33 :: v_dual_lshlrev_b32 v39, 16, v31
	s_delay_alu instid0(VALU_DEP_1) | instskip(NEXT) | instid1(VALU_DEP_1)
	v_mul_f32_e32 v39, v33, v39
	v_and_b32_e32 v33, 0x7f800000, v39
	s_delay_alu instid0(VALU_DEP_1) | instskip(SKIP_1) | instid1(SALU_CYCLE_1)
	v_cmp_ne_u32_e32 vcc_lo, 0x7f800000, v33
                                        ; implicit-def: $vgpr33
	s_and_saveexec_b32 s41, vcc_lo
	s_xor_b32 s41, exec_lo, s41
; %bb.2664:                             ;   in Loop: Header=BB12_2602 Depth=3
	v_bfe_u32 v33, v39, 16, 1
	s_delay_alu instid0(VALU_DEP_1)
	v_add3_u32 v33, v39, v33, 0x7fff
                                        ; implicit-def: $vgpr39
; %bb.2665:                             ;   in Loop: Header=BB12_2602 Depth=3
	s_and_not1_saveexec_b32 s41, s41
; %bb.2666:                             ;   in Loop: Header=BB12_2602 Depth=3
	v_and_b32_e32 v33, 0xffff, v39
	v_or_b32_e32 v70, 0x10000, v39
	s_delay_alu instid0(VALU_DEP_2) | instskip(NEXT) | instid1(VALU_DEP_2)
	v_cmp_eq_u32_e32 vcc_lo, 0, v33
	v_cndmask_b32_e32 v33, v70, v39, vcc_lo
; %bb.2667:                             ;   in Loop: Header=BB12_2602 Depth=3
	s_or_b32 exec_lo, exec_lo, s41
	v_dual_lshrrev_b32 v102, 16, v102 :: v_dual_lshrrev_b32 v84, 16, v84
	s_delay_alu instid0(VALU_DEP_2)
	v_dual_lshrrev_b32 v98, 16, v98 :: v_dual_lshrrev_b32 v33, 16, v33
	v_dual_lshrrev_b32 v81, 16, v6 :: v_dual_lshrrev_b32 v87, 16, v87
	;; [unrolled: 1-line block ×7, first 2 shown]
	s_clause 0xf
	flat_store_b16 v[0:1], v102 th:TH_STORE_NT
	flat_store_b16 v[0:1], v98 offset:64 th:TH_STORE_NT
	flat_store_b16 v[0:1], v87 offset:128 th:TH_STORE_NT
	;; [unrolled: 1-line block ×15, first 2 shown]
	s_wait_xcnt 0x0
	v_add_nc_u64_e32 v[0:1], v[0:1], v[104:105]
.LBB12_2668:                            ;   in Loop: Header=BB12_2602 Depth=3
	s_or_b32 exec_lo, exec_lo, s76
	v_sub_nc_u32_e32 v32, v32, v60
	v_add_nc_u64_e32 v[4:5], v[4:5], v[104:105]
	v_add_nc_u64_e32 v[8:9], v[8:9], v[104:105]
	s_delay_alu instid0(VALU_DEP_3)
	v_cmp_lt_i32_e64 s41, 0, v32
	s_and_saveexec_b32 s76, s41
	s_cbranch_execz .LBB12_2670
; %bb.2669:                             ;   in Loop: Header=BB12_2602 Depth=3
	s_clause 0xf
	flat_load_u16 v102, v[4:5] th:TH_LOAD_NT
	flat_load_u16 v98, v[4:5] offset:64 th:TH_LOAD_NT
	flat_load_u16 v87, v[4:5] offset:128 th:TH_LOAD_NT
	;; [unrolled: 1-line block ×15, first 2 shown]
	s_clause 0xf
	flat_load_u16 v13, v[8:9] th:TH_LOAD_NT
	flat_load_u16 v14, v[8:9] offset:64 th:TH_LOAD_NT
	flat_load_u16 v15, v[8:9] offset:128 th:TH_LOAD_NT
	;; [unrolled: 1-line block ×15, first 2 shown]
	s_wait_xcnt 0x10
	v_add_nc_u64_e32 v[4:5], 0x400, v[4:5]
	s_wait_xcnt 0x0
	v_add_nc_u64_e32 v[8:9], 0x400, v[8:9]
.LBB12_2670:                            ;   in Loop: Header=BB12_2602 Depth=3
	s_or_b32 exec_lo, exec_lo, s76
	s_wait_loadcnt_dscnt 0xf0f
	v_dual_lshlrev_b32 v6, 16, v42 :: v_dual_lshlrev_b32 v7, 16, v43
	s_mov_b32 s76, exec_lo
                                        ; implicit-def: $vgpr42
	s_delay_alu instid0(VALU_DEP_1) | instskip(NEXT) | instid1(VALU_DEP_1)
	v_mul_f32_e32 v6, v7, v6
	v_and_b32_e32 v7, 0x7f800000, v6
	s_delay_alu instid0(VALU_DEP_1)
	v_cmpx_ne_u32_e32 0x7f800000, v7
	s_xor_b32 s76, exec_lo, s76
; %bb.2671:                             ;   in Loop: Header=BB12_2602 Depth=3
	v_bfe_u32 v7, v6, 16, 1
	s_delay_alu instid0(VALU_DEP_1)
	v_add3_u32 v42, v6, v7, 0x7fff
                                        ; implicit-def: $vgpr6
; %bb.2672:                             ;   in Loop: Header=BB12_2602 Depth=3
	s_and_not1_saveexec_b32 s76, s76
; %bb.2673:                             ;   in Loop: Header=BB12_2602 Depth=3
	v_and_b32_e32 v7, 0xffff, v6
	v_or_b32_e32 v29, 0x10000, v6
	s_delay_alu instid0(VALU_DEP_2) | instskip(NEXT) | instid1(VALU_DEP_2)
	v_cmp_eq_u32_e32 vcc_lo, 0, v7
	v_cndmask_b32_e32 v42, v29, v6, vcc_lo
; %bb.2674:                             ;   in Loop: Header=BB12_2602 Depth=3
	s_or_b32 exec_lo, exec_lo, s76
	s_wait_loadcnt_dscnt 0xe0e
	v_dual_lshlrev_b32 v6, 16, v118 :: v_dual_lshlrev_b32 v7, 16, v119
	s_mov_b32 s76, exec_lo
                                        ; implicit-def: $vgpr118
	s_delay_alu instid0(VALU_DEP_1) | instskip(NEXT) | instid1(VALU_DEP_1)
	v_mul_f32_e32 v6, v7, v6
	v_and_b32_e32 v7, 0x7f800000, v6
	s_delay_alu instid0(VALU_DEP_1)
	v_cmpx_ne_u32_e32 0x7f800000, v7
	s_xor_b32 s76, exec_lo, s76
; %bb.2675:                             ;   in Loop: Header=BB12_2602 Depth=3
	v_bfe_u32 v7, v6, 16, 1
	s_delay_alu instid0(VALU_DEP_1)
	v_add3_u32 v118, v6, v7, 0x7fff
                                        ; implicit-def: $vgpr6
; %bb.2676:                             ;   in Loop: Header=BB12_2602 Depth=3
	s_and_not1_saveexec_b32 s76, s76
; %bb.2677:                             ;   in Loop: Header=BB12_2602 Depth=3
	v_and_b32_e32 v7, 0xffff, v6
	v_or_b32_e32 v29, 0x10000, v6
	s_delay_alu instid0(VALU_DEP_2) | instskip(NEXT) | instid1(VALU_DEP_2)
	v_cmp_eq_u32_e32 vcc_lo, 0, v7
	v_cndmask_b32_e32 v118, v29, v6, vcc_lo
; %bb.2678:                             ;   in Loop: Header=BB12_2602 Depth=3
	s_or_b32 exec_lo, exec_lo, s76
	s_wait_loadcnt_dscnt 0xd0d
	v_dual_lshlrev_b32 v6, 16, v114 :: v_dual_lshlrev_b32 v7, 16, v115
	s_mov_b32 s76, exec_lo
                                        ; implicit-def: $vgpr114
	s_delay_alu instid0(VALU_DEP_1) | instskip(NEXT) | instid1(VALU_DEP_1)
	v_mul_f32_e32 v6, v7, v6
	v_and_b32_e32 v7, 0x7f800000, v6
	s_delay_alu instid0(VALU_DEP_1)
	v_cmpx_ne_u32_e32 0x7f800000, v7
	s_xor_b32 s76, exec_lo, s76
; %bb.2679:                             ;   in Loop: Header=BB12_2602 Depth=3
	v_bfe_u32 v7, v6, 16, 1
	s_delay_alu instid0(VALU_DEP_1)
	v_add3_u32 v114, v6, v7, 0x7fff
                                        ; implicit-def: $vgpr6
; %bb.2680:                             ;   in Loop: Header=BB12_2602 Depth=3
	s_and_not1_saveexec_b32 s76, s76
; %bb.2681:                             ;   in Loop: Header=BB12_2602 Depth=3
	v_and_b32_e32 v7, 0xffff, v6
	v_or_b32_e32 v29, 0x10000, v6
	s_delay_alu instid0(VALU_DEP_2) | instskip(NEXT) | instid1(VALU_DEP_2)
	v_cmp_eq_u32_e32 vcc_lo, 0, v7
	v_cndmask_b32_e32 v114, v29, v6, vcc_lo
; %bb.2682:                             ;   in Loop: Header=BB12_2602 Depth=3
	s_or_b32 exec_lo, exec_lo, s76
	s_wait_loadcnt_dscnt 0xc0c
	v_dual_lshlrev_b32 v6, 16, v112 :: v_dual_lshlrev_b32 v7, 16, v113
	s_mov_b32 s76, exec_lo
                                        ; implicit-def: $vgpr112
	s_delay_alu instid0(VALU_DEP_1) | instskip(NEXT) | instid1(VALU_DEP_1)
	v_mul_f32_e32 v6, v7, v6
	v_and_b32_e32 v7, 0x7f800000, v6
	s_delay_alu instid0(VALU_DEP_1)
	v_cmpx_ne_u32_e32 0x7f800000, v7
	s_xor_b32 s76, exec_lo, s76
; %bb.2683:                             ;   in Loop: Header=BB12_2602 Depth=3
	v_bfe_u32 v7, v6, 16, 1
	s_delay_alu instid0(VALU_DEP_1)
	v_add3_u32 v112, v6, v7, 0x7fff
                                        ; implicit-def: $vgpr6
; %bb.2684:                             ;   in Loop: Header=BB12_2602 Depth=3
	s_and_not1_saveexec_b32 s76, s76
; %bb.2685:                             ;   in Loop: Header=BB12_2602 Depth=3
	v_and_b32_e32 v7, 0xffff, v6
	v_or_b32_e32 v29, 0x10000, v6
	s_delay_alu instid0(VALU_DEP_2) | instskip(NEXT) | instid1(VALU_DEP_2)
	v_cmp_eq_u32_e32 vcc_lo, 0, v7
	v_cndmask_b32_e32 v112, v29, v6, vcc_lo
; %bb.2686:                             ;   in Loop: Header=BB12_2602 Depth=3
	s_or_b32 exec_lo, exec_lo, s76
	s_wait_loadcnt_dscnt 0xb0b
	v_dual_lshlrev_b32 v6, 16, v101 :: v_dual_lshlrev_b32 v7, 16, v103
	s_delay_alu instid0(VALU_DEP_1) | instskip(NEXT) | instid1(VALU_DEP_1)
	v_mul_f32_e32 v7, v7, v6
	v_and_b32_e32 v6, 0x7f800000, v7
	s_delay_alu instid0(VALU_DEP_1) | instskip(SKIP_1) | instid1(SALU_CYCLE_1)
	v_cmp_ne_u32_e32 vcc_lo, 0x7f800000, v6
                                        ; implicit-def: $vgpr6
	s_and_saveexec_b32 s76, vcc_lo
	s_xor_b32 s76, exec_lo, s76
; %bb.2687:                             ;   in Loop: Header=BB12_2602 Depth=3
	v_bfe_u32 v6, v7, 16, 1
	s_delay_alu instid0(VALU_DEP_1)
	v_add3_u32 v6, v7, v6, 0x7fff
                                        ; implicit-def: $vgpr7
; %bb.2688:                             ;   in Loop: Header=BB12_2602 Depth=3
	s_and_not1_saveexec_b32 s76, s76
; %bb.2689:                             ;   in Loop: Header=BB12_2602 Depth=3
	v_and_b32_e32 v6, 0xffff, v7
	v_or_b32_e32 v29, 0x10000, v7
	s_delay_alu instid0(VALU_DEP_2) | instskip(NEXT) | instid1(VALU_DEP_2)
	v_cmp_eq_u32_e32 vcc_lo, 0, v6
	v_cndmask_b32_e32 v6, v29, v7, vcc_lo
; %bb.2690:                             ;   in Loop: Header=BB12_2602 Depth=3
	s_or_b32 exec_lo, exec_lo, s76
	s_wait_loadcnt_dscnt 0xa0a
	v_dual_lshlrev_b32 v7, 16, v99 :: v_dual_lshlrev_b32 v29, 16, v100
	s_delay_alu instid0(VALU_DEP_1) | instskip(NEXT) | instid1(VALU_DEP_1)
	v_mul_f32_e32 v29, v29, v7
	v_and_b32_e32 v7, 0x7f800000, v29
	s_delay_alu instid0(VALU_DEP_1) | instskip(SKIP_1) | instid1(SALU_CYCLE_1)
	v_cmp_ne_u32_e32 vcc_lo, 0x7f800000, v7
                                        ; implicit-def: $vgpr7
	s_and_saveexec_b32 s76, vcc_lo
	s_xor_b32 s76, exec_lo, s76
; %bb.2691:                             ;   in Loop: Header=BB12_2602 Depth=3
	v_bfe_u32 v7, v29, 16, 1
	s_delay_alu instid0(VALU_DEP_1)
	v_add3_u32 v7, v29, v7, 0x7fff
                                        ; implicit-def: $vgpr29
; %bb.2692:                             ;   in Loop: Header=BB12_2602 Depth=3
	s_and_not1_saveexec_b32 s76, s76
; %bb.2693:                             ;   in Loop: Header=BB12_2602 Depth=3
	v_and_b32_e32 v7, 0xffff, v29
	v_or_b32_e32 v99, 0x10000, v29
	s_delay_alu instid0(VALU_DEP_2) | instskip(NEXT) | instid1(VALU_DEP_2)
	v_cmp_eq_u32_e32 vcc_lo, 0, v7
	v_cndmask_b32_e32 v7, v99, v29, vcc_lo
; %bb.2694:                             ;   in Loop: Header=BB12_2602 Depth=3
	s_or_b32 exec_lo, exec_lo, s76
	s_wait_loadcnt_dscnt 0x909
	v_dual_lshlrev_b32 v29, 16, v96 :: v_dual_lshlrev_b32 v96, 16, v97
	s_delay_alu instid0(VALU_DEP_1) | instskip(NEXT) | instid1(VALU_DEP_1)
	v_mul_f32_e32 v29, v96, v29
	v_and_b32_e32 v96, 0x7f800000, v29
	s_delay_alu instid0(VALU_DEP_1) | instskip(SKIP_1) | instid1(SALU_CYCLE_1)
	v_cmp_ne_u32_e32 vcc_lo, 0x7f800000, v96
                                        ; implicit-def: $vgpr96
	s_and_saveexec_b32 s76, vcc_lo
	s_xor_b32 s76, exec_lo, s76
; %bb.2695:                             ;   in Loop: Header=BB12_2602 Depth=3
	v_bfe_u32 v96, v29, 16, 1
	s_delay_alu instid0(VALU_DEP_1)
	v_add3_u32 v96, v29, v96, 0x7fff
                                        ; implicit-def: $vgpr29
; %bb.2696:                             ;   in Loop: Header=BB12_2602 Depth=3
	s_and_not1_saveexec_b32 s76, s76
; %bb.2697:                             ;   in Loop: Header=BB12_2602 Depth=3
	v_and_b32_e32 v96, 0xffff, v29
	v_or_b32_e32 v97, 0x10000, v29
	s_delay_alu instid0(VALU_DEP_2) | instskip(NEXT) | instid1(VALU_DEP_2)
	v_cmp_eq_u32_e32 vcc_lo, 0, v96
	v_cndmask_b32_e32 v96, v97, v29, vcc_lo
; %bb.2698:                             ;   in Loop: Header=BB12_2602 Depth=3
	s_or_b32 exec_lo, exec_lo, s76
	s_wait_loadcnt_dscnt 0x808
	v_dual_lshlrev_b32 v29, 16, v85 :: v_dual_lshlrev_b32 v85, 16, v86
	s_delay_alu instid0(VALU_DEP_1) | instskip(NEXT) | instid1(VALU_DEP_1)
	v_mul_f32_e32 v29, v85, v29
	v_and_b32_e32 v85, 0x7f800000, v29
	s_delay_alu instid0(VALU_DEP_1) | instskip(SKIP_1) | instid1(SALU_CYCLE_1)
	v_cmp_ne_u32_e32 vcc_lo, 0x7f800000, v85
                                        ; implicit-def: $vgpr85
	s_and_saveexec_b32 s76, vcc_lo
	s_xor_b32 s76, exec_lo, s76
; %bb.2699:                             ;   in Loop: Header=BB12_2602 Depth=3
	v_bfe_u32 v85, v29, 16, 1
	s_delay_alu instid0(VALU_DEP_1)
	v_add3_u32 v85, v29, v85, 0x7fff
                                        ; implicit-def: $vgpr29
; %bb.2700:                             ;   in Loop: Header=BB12_2602 Depth=3
	s_and_not1_saveexec_b32 s76, s76
; %bb.2701:                             ;   in Loop: Header=BB12_2602 Depth=3
	v_and_b32_e32 v85, 0xffff, v29
	v_or_b32_e32 v86, 0x10000, v29
	s_delay_alu instid0(VALU_DEP_2) | instskip(NEXT) | instid1(VALU_DEP_2)
	v_cmp_eq_u32_e32 vcc_lo, 0, v85
	v_cndmask_b32_e32 v85, v86, v29, vcc_lo
; %bb.2702:                             ;   in Loop: Header=BB12_2602 Depth=3
	s_or_b32 exec_lo, exec_lo, s76
	s_wait_loadcnt_dscnt 0x707
	v_dual_lshlrev_b32 v29, 16, v82 :: v_dual_lshlrev_b32 v82, 16, v83
	s_delay_alu instid0(VALU_DEP_1) | instskip(NEXT) | instid1(VALU_DEP_1)
	v_mul_f32_e32 v29, v82, v29
	v_and_b32_e32 v82, 0x7f800000, v29
	s_delay_alu instid0(VALU_DEP_1) | instskip(SKIP_1) | instid1(SALU_CYCLE_1)
	v_cmp_ne_u32_e32 vcc_lo, 0x7f800000, v82
                                        ; implicit-def: $vgpr82
	s_and_saveexec_b32 s76, vcc_lo
	s_xor_b32 s76, exec_lo, s76
; %bb.2703:                             ;   in Loop: Header=BB12_2602 Depth=3
	v_bfe_u32 v82, v29, 16, 1
	s_delay_alu instid0(VALU_DEP_1)
	v_add3_u32 v82, v29, v82, 0x7fff
                                        ; implicit-def: $vgpr29
; %bb.2704:                             ;   in Loop: Header=BB12_2602 Depth=3
	s_and_not1_saveexec_b32 s76, s76
; %bb.2705:                             ;   in Loop: Header=BB12_2602 Depth=3
	v_and_b32_e32 v82, 0xffff, v29
	v_or_b32_e32 v83, 0x10000, v29
	s_delay_alu instid0(VALU_DEP_2) | instskip(NEXT) | instid1(VALU_DEP_2)
	v_cmp_eq_u32_e32 vcc_lo, 0, v82
	v_cndmask_b32_e32 v82, v83, v29, vcc_lo
; %bb.2706:                             ;   in Loop: Header=BB12_2602 Depth=3
	s_or_b32 exec_lo, exec_lo, s76
	s_wait_loadcnt_dscnt 0x606
	v_dual_lshlrev_b32 v29, 16, v71 :: v_dual_lshlrev_b32 v71, 16, v80
	s_delay_alu instid0(VALU_DEP_1) | instskip(NEXT) | instid1(VALU_DEP_1)
	v_mul_f32_e32 v29, v71, v29
	v_and_b32_e32 v71, 0x7f800000, v29
	s_delay_alu instid0(VALU_DEP_1) | instskip(SKIP_1) | instid1(SALU_CYCLE_1)
	v_cmp_ne_u32_e32 vcc_lo, 0x7f800000, v71
                                        ; implicit-def: $vgpr71
	s_and_saveexec_b32 s76, vcc_lo
	s_xor_b32 s76, exec_lo, s76
; %bb.2707:                             ;   in Loop: Header=BB12_2602 Depth=3
	v_bfe_u32 v71, v29, 16, 1
	s_delay_alu instid0(VALU_DEP_1)
	v_add3_u32 v71, v29, v71, 0x7fff
                                        ; implicit-def: $vgpr29
; %bb.2708:                             ;   in Loop: Header=BB12_2602 Depth=3
	s_and_not1_saveexec_b32 s76, s76
; %bb.2709:                             ;   in Loop: Header=BB12_2602 Depth=3
	v_and_b32_e32 v71, 0xffff, v29
	v_or_b32_e32 v80, 0x10000, v29
	s_delay_alu instid0(VALU_DEP_2) | instskip(NEXT) | instid1(VALU_DEP_2)
	v_cmp_eq_u32_e32 vcc_lo, 0, v71
	v_cndmask_b32_e32 v71, v80, v29, vcc_lo
; %bb.2710:                             ;   in Loop: Header=BB12_2602 Depth=3
	s_or_b32 exec_lo, exec_lo, s76
	s_wait_loadcnt_dscnt 0x505
	v_dual_lshlrev_b32 v29, 16, v69 :: v_dual_lshlrev_b32 v2, 16, v2
	s_delay_alu instid0(VALU_DEP_1) | instskip(NEXT) | instid1(VALU_DEP_1)
	v_mul_f32_e32 v29, v2, v29
	v_and_b32_e32 v2, 0x7f800000, v29
	s_delay_alu instid0(VALU_DEP_1) | instskip(SKIP_1) | instid1(SALU_CYCLE_1)
	v_cmp_ne_u32_e32 vcc_lo, 0x7f800000, v2
                                        ; implicit-def: $vgpr2
	s_and_saveexec_b32 s76, vcc_lo
	s_xor_b32 s76, exec_lo, s76
; %bb.2711:                             ;   in Loop: Header=BB12_2602 Depth=3
	v_bfe_u32 v2, v29, 16, 1
	s_delay_alu instid0(VALU_DEP_1)
	v_add3_u32 v2, v29, v2, 0x7fff
                                        ; implicit-def: $vgpr29
; %bb.2712:                             ;   in Loop: Header=BB12_2602 Depth=3
	s_and_not1_saveexec_b32 s76, s76
; %bb.2713:                             ;   in Loop: Header=BB12_2602 Depth=3
	v_and_b32_e32 v2, 0xffff, v29
	v_or_b32_e32 v69, 0x10000, v29
	s_delay_alu instid0(VALU_DEP_2) | instskip(NEXT) | instid1(VALU_DEP_2)
	v_cmp_eq_u32_e32 vcc_lo, 0, v2
	v_cndmask_b32_e32 v2, v69, v29, vcc_lo
; %bb.2714:                             ;   in Loop: Header=BB12_2602 Depth=3
	s_or_b32 exec_lo, exec_lo, s76
	s_wait_loadcnt_dscnt 0x404
	v_dual_lshlrev_b32 v29, 16, v66 :: v_dual_lshlrev_b32 v66, 16, v67
	s_delay_alu instid0(VALU_DEP_1) | instskip(NEXT) | instid1(VALU_DEP_1)
	v_mul_f32_e32 v66, v66, v29
	v_and_b32_e32 v29, 0x7f800000, v66
	s_delay_alu instid0(VALU_DEP_1) | instskip(SKIP_1) | instid1(SALU_CYCLE_1)
	v_cmp_ne_u32_e32 vcc_lo, 0x7f800000, v29
                                        ; implicit-def: $vgpr29
	s_and_saveexec_b32 s76, vcc_lo
	s_xor_b32 s76, exec_lo, s76
; %bb.2715:                             ;   in Loop: Header=BB12_2602 Depth=3
	v_bfe_u32 v29, v66, 16, 1
	s_delay_alu instid0(VALU_DEP_1)
	v_add3_u32 v29, v66, v29, 0x7fff
                                        ; implicit-def: $vgpr66
; %bb.2716:                             ;   in Loop: Header=BB12_2602 Depth=3
	s_and_not1_saveexec_b32 s76, s76
; %bb.2717:                             ;   in Loop: Header=BB12_2602 Depth=3
	v_and_b32_e32 v29, 0xffff, v66
	v_or_b32_e32 v67, 0x10000, v66
	s_delay_alu instid0(VALU_DEP_2) | instskip(NEXT) | instid1(VALU_DEP_2)
	v_cmp_eq_u32_e32 vcc_lo, 0, v29
	v_cndmask_b32_e32 v29, v67, v66, vcc_lo
; %bb.2718:                             ;   in Loop: Header=BB12_2602 Depth=3
	s_or_b32 exec_lo, exec_lo, s76
	s_wait_loadcnt_dscnt 0x303
	v_dual_lshlrev_b32 v55, 16, v55 :: v_dual_lshlrev_b32 v65, 16, v65
	s_delay_alu instid0(VALU_DEP_1) | instskip(NEXT) | instid1(VALU_DEP_1)
	v_mul_f32_e32 v65, v65, v55
	v_and_b32_e32 v55, 0x7f800000, v65
	s_delay_alu instid0(VALU_DEP_1) | instskip(SKIP_1) | instid1(SALU_CYCLE_1)
	v_cmp_ne_u32_e32 vcc_lo, 0x7f800000, v55
                                        ; implicit-def: $vgpr55
	s_and_saveexec_b32 s76, vcc_lo
	s_xor_b32 s76, exec_lo, s76
; %bb.2719:                             ;   in Loop: Header=BB12_2602 Depth=3
	v_bfe_u32 v55, v65, 16, 1
	s_delay_alu instid0(VALU_DEP_1)
	v_add3_u32 v55, v65, v55, 0x7fff
                                        ; implicit-def: $vgpr65
; %bb.2720:                             ;   in Loop: Header=BB12_2602 Depth=3
	s_and_not1_saveexec_b32 s76, s76
; %bb.2721:                             ;   in Loop: Header=BB12_2602 Depth=3
	v_and_b32_e32 v55, 0xffff, v65
	v_or_b32_e32 v66, 0x10000, v65
	s_delay_alu instid0(VALU_DEP_2) | instskip(NEXT) | instid1(VALU_DEP_2)
	v_cmp_eq_u32_e32 vcc_lo, 0, v55
	v_cndmask_b32_e32 v55, v66, v65, vcc_lo
; %bb.2722:                             ;   in Loop: Header=BB12_2602 Depth=3
	s_or_b32 exec_lo, exec_lo, s76
	s_wait_loadcnt_dscnt 0x202
	v_dual_lshlrev_b32 v52, 16, v52 :: v_dual_lshlrev_b32 v54, 16, v54
	s_delay_alu instid0(VALU_DEP_1) | instskip(NEXT) | instid1(VALU_DEP_1)
	v_mul_f32_e32 v54, v54, v52
	v_and_b32_e32 v52, 0x7f800000, v54
	s_delay_alu instid0(VALU_DEP_1) | instskip(SKIP_1) | instid1(SALU_CYCLE_1)
	v_cmp_ne_u32_e32 vcc_lo, 0x7f800000, v52
                                        ; implicit-def: $vgpr52
	s_and_saveexec_b32 s76, vcc_lo
	s_xor_b32 s76, exec_lo, s76
; %bb.2723:                             ;   in Loop: Header=BB12_2602 Depth=3
	v_bfe_u32 v52, v54, 16, 1
	s_delay_alu instid0(VALU_DEP_1)
	v_add3_u32 v52, v54, v52, 0x7fff
                                        ; implicit-def: $vgpr54
; %bb.2724:                             ;   in Loop: Header=BB12_2602 Depth=3
	s_and_not1_saveexec_b32 s76, s76
; %bb.2725:                             ;   in Loop: Header=BB12_2602 Depth=3
	v_and_b32_e32 v52, 0xffff, v54
	v_or_b32_e32 v65, 0x10000, v54
	s_delay_alu instid0(VALU_DEP_2) | instskip(NEXT) | instid1(VALU_DEP_2)
	v_cmp_eq_u32_e32 vcc_lo, 0, v52
	v_cndmask_b32_e32 v52, v65, v54, vcc_lo
; %bb.2726:                             ;   in Loop: Header=BB12_2602 Depth=3
	s_or_b32 exec_lo, exec_lo, s76
	s_wait_loadcnt_dscnt 0x101
	v_dual_lshlrev_b32 v49, 16, v49 :: v_dual_lshlrev_b32 v51, 16, v51
	s_delay_alu instid0(VALU_DEP_1) | instskip(NEXT) | instid1(VALU_DEP_1)
	v_mul_f32_e32 v51, v51, v49
	v_and_b32_e32 v49, 0x7f800000, v51
	s_delay_alu instid0(VALU_DEP_1) | instskip(SKIP_1) | instid1(SALU_CYCLE_1)
	v_cmp_ne_u32_e32 vcc_lo, 0x7f800000, v49
                                        ; implicit-def: $vgpr49
	s_and_saveexec_b32 s76, vcc_lo
	s_xor_b32 s76, exec_lo, s76
; %bb.2727:                             ;   in Loop: Header=BB12_2602 Depth=3
	v_bfe_u32 v49, v51, 16, 1
	s_delay_alu instid0(VALU_DEP_1)
	v_add3_u32 v49, v51, v49, 0x7fff
                                        ; implicit-def: $vgpr51
; %bb.2728:                             ;   in Loop: Header=BB12_2602 Depth=3
	s_and_not1_saveexec_b32 s76, s76
; %bb.2729:                             ;   in Loop: Header=BB12_2602 Depth=3
	v_and_b32_e32 v49, 0xffff, v51
	v_or_b32_e32 v54, 0x10000, v51
	s_delay_alu instid0(VALU_DEP_2) | instskip(NEXT) | instid1(VALU_DEP_2)
	v_cmp_eq_u32_e32 vcc_lo, 0, v49
	v_cndmask_b32_e32 v49, v54, v51, vcc_lo
; %bb.2730:                             ;   in Loop: Header=BB12_2602 Depth=3
	s_or_b32 exec_lo, exec_lo, s76
	s_wait_loadcnt_dscnt 0x0
	v_dual_lshlrev_b32 v38, 16, v38 :: v_dual_lshlrev_b32 v48, 16, v48
	s_delay_alu instid0(VALU_DEP_1) | instskip(NEXT) | instid1(VALU_DEP_1)
	v_mul_f32_e32 v48, v48, v38
	v_and_b32_e32 v38, 0x7f800000, v48
	s_delay_alu instid0(VALU_DEP_1) | instskip(SKIP_1) | instid1(SALU_CYCLE_1)
	v_cmp_ne_u32_e32 vcc_lo, 0x7f800000, v38
                                        ; implicit-def: $vgpr38
	s_and_saveexec_b32 s76, vcc_lo
	s_xor_b32 s76, exec_lo, s76
; %bb.2731:                             ;   in Loop: Header=BB12_2602 Depth=3
	v_bfe_u32 v38, v48, 16, 1
	s_delay_alu instid0(VALU_DEP_1)
	v_add3_u32 v38, v48, v38, 0x7fff
                                        ; implicit-def: $vgpr48
; %bb.2732:                             ;   in Loop: Header=BB12_2602 Depth=3
	s_and_not1_saveexec_b32 s76, s76
	s_cbranch_execz .LBB12_2601
; %bb.2733:                             ;   in Loop: Header=BB12_2602 Depth=3
	v_and_b32_e32 v38, 0xffff, v48
	v_or_b32_e32 v51, 0x10000, v48
	s_delay_alu instid0(VALU_DEP_2) | instskip(NEXT) | instid1(VALU_DEP_2)
	v_cmp_eq_u32_e32 vcc_lo, 0, v38
	v_cndmask_b32_e32 v38, v51, v48, vcc_lo
	s_branch .LBB12_2601
.LBB12_2734:                            ;   in Loop: Header=BB12_1247 Depth=2
	s_or_b32 exec_lo, exec_lo, s40
	v_dual_lshlrev_b32 v85, 16, v102 :: v_dual_lshlrev_b32 v86, 16, v13
	v_dual_lshlrev_b32 v82, 16, v98 :: v_dual_lshlrev_b32 v71, 16, v87
	;; [unrolled: 1-line block ×16, first 2 shown]
	s_and_b32 s14, s14, exec_lo
.LBB12_2735:                            ;   in Loop: Header=BB12_1247 Depth=2
	s_or_b32 exec_lo, exec_lo, s13
	s_and_saveexec_b32 s13, s14
	s_cbranch_execz .LBB12_2801
; %bb.2736:                             ;   in Loop: Header=BB12_1247 Depth=2
	v_mul_f32_e32 v9, v86, v85
	s_delay_alu instid0(VALU_DEP_1) | instskip(NEXT) | instid1(VALU_DEP_1)
	v_and_b32_e32 v8, 0x7f800000, v9
	v_cmp_ne_u32_e32 vcc_lo, 0x7f800000, v8
                                        ; implicit-def: $vgpr8
	s_and_saveexec_b32 s14, vcc_lo
	s_delay_alu instid0(SALU_CYCLE_1)
	s_xor_b32 s14, exec_lo, s14
; %bb.2737:                             ;   in Loop: Header=BB12_1247 Depth=2
	v_bfe_u32 v8, v9, 16, 1
	s_delay_alu instid0(VALU_DEP_1)
	v_add3_u32 v8, v9, v8, 0x7fff
                                        ; implicit-def: $vgpr9
; %bb.2738:                             ;   in Loop: Header=BB12_1247 Depth=2
	s_and_not1_saveexec_b32 s14, s14
; %bb.2739:                             ;   in Loop: Header=BB12_1247 Depth=2
	v_and_b32_e32 v8, 0xffff, v9
	v_or_b32_e32 v20, 0x10000, v9
	s_delay_alu instid0(VALU_DEP_2) | instskip(NEXT) | instid1(VALU_DEP_2)
	v_cmp_eq_u32_e32 vcc_lo, 0, v8
	v_cndmask_b32_e32 v8, v20, v9, vcc_lo
; %bb.2740:                             ;   in Loop: Header=BB12_1247 Depth=2
	s_or_b32 exec_lo, exec_lo, s14
	v_mul_f32_e32 v20, v83, v82
	s_delay_alu instid0(VALU_DEP_1) | instskip(NEXT) | instid1(VALU_DEP_1)
	v_and_b32_e32 v9, 0x7f800000, v20
	v_cmp_ne_u32_e32 vcc_lo, 0x7f800000, v9
                                        ; implicit-def: $vgpr9
	s_and_saveexec_b32 s14, vcc_lo
	s_delay_alu instid0(SALU_CYCLE_1)
	s_xor_b32 s14, exec_lo, s14
; %bb.2741:                             ;   in Loop: Header=BB12_1247 Depth=2
	v_bfe_u32 v9, v20, 16, 1
	s_delay_alu instid0(VALU_DEP_1)
	v_add3_u32 v9, v20, v9, 0x7fff
                                        ; implicit-def: $vgpr20
; %bb.2742:                             ;   in Loop: Header=BB12_1247 Depth=2
	s_and_not1_saveexec_b32 s14, s14
; %bb.2743:                             ;   in Loop: Header=BB12_1247 Depth=2
	v_and_b32_e32 v9, 0xffff, v20
	v_or_b32_e32 v23, 0x10000, v20
	s_delay_alu instid0(VALU_DEP_2) | instskip(NEXT) | instid1(VALU_DEP_2)
	v_cmp_eq_u32_e32 vcc_lo, 0, v9
	v_cndmask_b32_e32 v9, v23, v20, vcc_lo
; %bb.2744:                             ;   in Loop: Header=BB12_1247 Depth=2
	s_or_b32 exec_lo, exec_lo, s14
	v_mul_f32_e32 v23, v80, v71
	s_delay_alu instid0(VALU_DEP_1) | instskip(NEXT) | instid1(VALU_DEP_1)
	v_and_b32_e32 v20, 0x7f800000, v23
	v_cmp_ne_u32_e32 vcc_lo, 0x7f800000, v20
                                        ; implicit-def: $vgpr20
	s_and_saveexec_b32 s14, vcc_lo
	s_delay_alu instid0(SALU_CYCLE_1)
	s_xor_b32 s14, exec_lo, s14
; %bb.2745:                             ;   in Loop: Header=BB12_1247 Depth=2
	v_bfe_u32 v20, v23, 16, 1
	s_delay_alu instid0(VALU_DEP_1)
	v_add3_u32 v20, v23, v20, 0x7fff
                                        ; implicit-def: $vgpr23
; %bb.2746:                             ;   in Loop: Header=BB12_1247 Depth=2
	s_and_not1_saveexec_b32 s14, s14
; %bb.2747:                             ;   in Loop: Header=BB12_1247 Depth=2
	v_and_b32_e32 v20, 0xffff, v23
	v_or_b32_e32 v24, 0x10000, v23
	s_delay_alu instid0(VALU_DEP_2) | instskip(NEXT) | instid1(VALU_DEP_2)
	v_cmp_eq_u32_e32 vcc_lo, 0, v20
	v_cndmask_b32_e32 v20, v24, v23, vcc_lo
; %bb.2748:                             ;   in Loop: Header=BB12_1247 Depth=2
	s_or_b32 exec_lo, exec_lo, s14
	v_mul_f32_e32 v23, v29, v6
	s_delay_alu instid0(VALU_DEP_1) | instskip(NEXT) | instid1(VALU_DEP_1)
	v_and_b32_e32 v6, 0x7f800000, v23
	v_cmp_ne_u32_e32 vcc_lo, 0x7f800000, v6
                                        ; implicit-def: $vgpr6
	s_and_saveexec_b32 s14, vcc_lo
	s_delay_alu instid0(SALU_CYCLE_1)
	s_xor_b32 s14, exec_lo, s14
; %bb.2749:                             ;   in Loop: Header=BB12_1247 Depth=2
	v_bfe_u32 v6, v23, 16, 1
	s_delay_alu instid0(VALU_DEP_1)
	v_add3_u32 v6, v23, v6, 0x7fff
                                        ; implicit-def: $vgpr23
; %bb.2750:                             ;   in Loop: Header=BB12_1247 Depth=2
	s_and_not1_saveexec_b32 s14, s14
; %bb.2751:                             ;   in Loop: Header=BB12_1247 Depth=2
	v_and_b32_e32 v6, 0xffff, v23
	v_or_b32_e32 v24, 0x10000, v23
	s_delay_alu instid0(VALU_DEP_2) | instskip(NEXT) | instid1(VALU_DEP_2)
	v_cmp_eq_u32_e32 vcc_lo, 0, v6
	v_cndmask_b32_e32 v6, v24, v23, vcc_lo
; %bb.2752:                             ;   in Loop: Header=BB12_1247 Depth=2
	s_or_b32 exec_lo, exec_lo, s14
	v_mul_f32_e32 v24, v69, v67
	s_delay_alu instid0(VALU_DEP_1) | instskip(NEXT) | instid1(VALU_DEP_1)
	v_and_b32_e32 v23, 0x7f800000, v24
	v_cmp_ne_u32_e32 vcc_lo, 0x7f800000, v23
                                        ; implicit-def: $vgpr23
	s_and_saveexec_b32 s14, vcc_lo
	s_delay_alu instid0(SALU_CYCLE_1)
	s_xor_b32 s14, exec_lo, s14
; %bb.2753:                             ;   in Loop: Header=BB12_1247 Depth=2
	v_bfe_u32 v23, v24, 16, 1
	s_delay_alu instid0(VALU_DEP_1)
	v_add3_u32 v23, v24, v23, 0x7fff
                                        ; implicit-def: $vgpr24
; %bb.2754:                             ;   in Loop: Header=BB12_1247 Depth=2
	s_and_not1_saveexec_b32 s14, s14
; %bb.2755:                             ;   in Loop: Header=BB12_1247 Depth=2
	v_and_b32_e32 v23, 0xffff, v24
	v_or_b32_e32 v25, 0x10000, v24
	s_delay_alu instid0(VALU_DEP_2) | instskip(NEXT) | instid1(VALU_DEP_2)
	v_cmp_eq_u32_e32 vcc_lo, 0, v23
	v_cndmask_b32_e32 v23, v25, v24, vcc_lo
; %bb.2756:                             ;   in Loop: Header=BB12_1247 Depth=2
	s_or_b32 exec_lo, exec_lo, s14
	v_mul_f32_e32 v25, v66, v65
	s_delay_alu instid0(VALU_DEP_1) | instskip(NEXT) | instid1(VALU_DEP_1)
	v_and_b32_e32 v24, 0x7f800000, v25
	v_cmp_ne_u32_e32 vcc_lo, 0x7f800000, v24
                                        ; implicit-def: $vgpr24
	s_and_saveexec_b32 s14, vcc_lo
	s_delay_alu instid0(SALU_CYCLE_1)
	s_xor_b32 s14, exec_lo, s14
; %bb.2757:                             ;   in Loop: Header=BB12_1247 Depth=2
	v_bfe_u32 v24, v25, 16, 1
	s_delay_alu instid0(VALU_DEP_1)
	v_add3_u32 v24, v25, v24, 0x7fff
                                        ; implicit-def: $vgpr25
; %bb.2758:                             ;   in Loop: Header=BB12_1247 Depth=2
	s_and_not1_saveexec_b32 s14, s14
; %bb.2759:                             ;   in Loop: Header=BB12_1247 Depth=2
	v_and_b32_e32 v24, 0xffff, v25
	v_or_b32_e32 v26, 0x10000, v25
	s_delay_alu instid0(VALU_DEP_2) | instskip(NEXT) | instid1(VALU_DEP_2)
	v_cmp_eq_u32_e32 vcc_lo, 0, v24
	v_cndmask_b32_e32 v24, v26, v25, vcc_lo
; %bb.2760:                             ;   in Loop: Header=BB12_1247 Depth=2
	s_or_b32 exec_lo, exec_lo, s14
	v_mul_f32_e32 v26, v55, v54
	s_delay_alu instid0(VALU_DEP_1) | instskip(NEXT) | instid1(VALU_DEP_1)
	v_and_b32_e32 v25, 0x7f800000, v26
	v_cmp_ne_u32_e32 vcc_lo, 0x7f800000, v25
                                        ; implicit-def: $vgpr25
	s_and_saveexec_b32 s14, vcc_lo
	s_delay_alu instid0(SALU_CYCLE_1)
	s_xor_b32 s14, exec_lo, s14
; %bb.2761:                             ;   in Loop: Header=BB12_1247 Depth=2
	v_bfe_u32 v25, v26, 16, 1
	s_delay_alu instid0(VALU_DEP_1)
	v_add3_u32 v25, v26, v25, 0x7fff
                                        ; implicit-def: $vgpr26
; %bb.2762:                             ;   in Loop: Header=BB12_1247 Depth=2
	s_and_not1_saveexec_b32 s14, s14
; %bb.2763:                             ;   in Loop: Header=BB12_1247 Depth=2
	v_and_b32_e32 v25, 0xffff, v26
	v_or_b32_e32 v27, 0x10000, v26
	s_delay_alu instid0(VALU_DEP_2) | instskip(NEXT) | instid1(VALU_DEP_2)
	v_cmp_eq_u32_e32 vcc_lo, 0, v25
	v_cndmask_b32_e32 v25, v27, v26, vcc_lo
; %bb.2764:                             ;   in Loop: Header=BB12_1247 Depth=2
	s_or_b32 exec_lo, exec_lo, s14
	v_mul_f32_e32 v27, v52, v51
	s_delay_alu instid0(VALU_DEP_1) | instskip(NEXT) | instid1(VALU_DEP_1)
	v_and_b32_e32 v26, 0x7f800000, v27
	v_cmp_ne_u32_e32 vcc_lo, 0x7f800000, v26
                                        ; implicit-def: $vgpr26
	s_and_saveexec_b32 s14, vcc_lo
	s_delay_alu instid0(SALU_CYCLE_1)
	s_xor_b32 s14, exec_lo, s14
; %bb.2765:                             ;   in Loop: Header=BB12_1247 Depth=2
	v_bfe_u32 v26, v27, 16, 1
	s_delay_alu instid0(VALU_DEP_1)
	v_add3_u32 v26, v27, v26, 0x7fff
                                        ; implicit-def: $vgpr27
; %bb.2766:                             ;   in Loop: Header=BB12_1247 Depth=2
	s_and_not1_saveexec_b32 s14, s14
; %bb.2767:                             ;   in Loop: Header=BB12_1247 Depth=2
	v_and_b32_e32 v26, 0xffff, v27
	v_or_b32_e32 v29, 0x10000, v27
	s_delay_alu instid0(VALU_DEP_2) | instskip(NEXT) | instid1(VALU_DEP_2)
	v_cmp_eq_u32_e32 vcc_lo, 0, v26
	v_cndmask_b32_e32 v26, v29, v27, vcc_lo
; %bb.2768:                             ;   in Loop: Header=BB12_1247 Depth=2
	s_or_b32 exec_lo, exec_lo, s14
	v_mul_f32_e32 v29, v49, v48
	s_delay_alu instid0(VALU_DEP_1) | instskip(NEXT) | instid1(VALU_DEP_1)
	v_and_b32_e32 v27, 0x7f800000, v29
	v_cmp_ne_u32_e32 vcc_lo, 0x7f800000, v27
                                        ; implicit-def: $vgpr27
	s_and_saveexec_b32 s14, vcc_lo
	s_delay_alu instid0(SALU_CYCLE_1)
	s_xor_b32 s14, exec_lo, s14
; %bb.2769:                             ;   in Loop: Header=BB12_1247 Depth=2
	v_bfe_u32 v27, v29, 16, 1
	s_delay_alu instid0(VALU_DEP_1)
	v_add3_u32 v27, v29, v27, 0x7fff
                                        ; implicit-def: $vgpr29
; %bb.2770:                             ;   in Loop: Header=BB12_1247 Depth=2
	s_and_not1_saveexec_b32 s14, s14
; %bb.2771:                             ;   in Loop: Header=BB12_1247 Depth=2
	v_and_b32_e32 v27, 0xffff, v29
	v_or_b32_e32 v31, 0x10000, v29
	s_delay_alu instid0(VALU_DEP_2) | instskip(NEXT) | instid1(VALU_DEP_2)
	v_cmp_eq_u32_e32 vcc_lo, 0, v27
	v_cndmask_b32_e32 v27, v31, v29, vcc_lo
; %bb.2772:                             ;   in Loop: Header=BB12_1247 Depth=2
	s_or_b32 exec_lo, exec_lo, s14
	v_mul_f32_e32 v29, v38, v7
	s_delay_alu instid0(VALU_DEP_1) | instskip(NEXT) | instid1(VALU_DEP_1)
	v_and_b32_e32 v7, 0x7f800000, v29
	v_cmp_ne_u32_e32 vcc_lo, 0x7f800000, v7
                                        ; implicit-def: $vgpr7
	s_and_saveexec_b32 s14, vcc_lo
	s_delay_alu instid0(SALU_CYCLE_1)
	s_xor_b32 s14, exec_lo, s14
; %bb.2773:                             ;   in Loop: Header=BB12_1247 Depth=2
	v_bfe_u32 v7, v29, 16, 1
	s_delay_alu instid0(VALU_DEP_1)
	v_add3_u32 v7, v29, v7, 0x7fff
                                        ; implicit-def: $vgpr29
; %bb.2774:                             ;   in Loop: Header=BB12_1247 Depth=2
	s_and_not1_saveexec_b32 s14, s14
; %bb.2775:                             ;   in Loop: Header=BB12_1247 Depth=2
	v_and_b32_e32 v7, 0xffff, v29
	v_or_b32_e32 v31, 0x10000, v29
	s_delay_alu instid0(VALU_DEP_2) | instskip(NEXT) | instid1(VALU_DEP_2)
	v_cmp_eq_u32_e32 vcc_lo, 0, v7
	v_cndmask_b32_e32 v7, v31, v29, vcc_lo
; %bb.2776:                             ;   in Loop: Header=BB12_1247 Depth=2
	s_or_b32 exec_lo, exec_lo, s14
	v_mul_f32_e32 v22, v22, v21
	s_delay_alu instid0(VALU_DEP_1) | instskip(NEXT) | instid1(VALU_DEP_1)
	v_and_b32_e32 v21, 0x7f800000, v22
	v_cmp_ne_u32_e32 vcc_lo, 0x7f800000, v21
                                        ; implicit-def: $vgpr21
	s_and_saveexec_b32 s14, vcc_lo
	s_delay_alu instid0(SALU_CYCLE_1)
	s_xor_b32 s14, exec_lo, s14
; %bb.2777:                             ;   in Loop: Header=BB12_1247 Depth=2
	v_bfe_u32 v21, v22, 16, 1
	s_delay_alu instid0(VALU_DEP_1)
	v_add3_u32 v21, v22, v21, 0x7fff
                                        ; implicit-def: $vgpr22
; %bb.2778:                             ;   in Loop: Header=BB12_1247 Depth=2
	s_and_not1_saveexec_b32 s14, s14
; %bb.2779:                             ;   in Loop: Header=BB12_1247 Depth=2
	v_and_b32_e32 v21, 0xffff, v22
	v_or_b32_e32 v29, 0x10000, v22
	s_delay_alu instid0(VALU_DEP_2) | instskip(NEXT) | instid1(VALU_DEP_2)
	v_cmp_eq_u32_e32 vcc_lo, 0, v21
	v_cndmask_b32_e32 v21, v29, v22, vcc_lo
; %bb.2780:                             ;   in Loop: Header=BB12_1247 Depth=2
	s_or_b32 exec_lo, exec_lo, s14
	v_mul_f32_e32 v19, v19, v18
	s_delay_alu instid0(VALU_DEP_1) | instskip(NEXT) | instid1(VALU_DEP_1)
	v_and_b32_e32 v18, 0x7f800000, v19
	v_cmp_ne_u32_e32 vcc_lo, 0x7f800000, v18
                                        ; implicit-def: $vgpr18
	s_and_saveexec_b32 s14, vcc_lo
	s_delay_alu instid0(SALU_CYCLE_1)
	s_xor_b32 s14, exec_lo, s14
; %bb.2781:                             ;   in Loop: Header=BB12_1247 Depth=2
	v_bfe_u32 v18, v19, 16, 1
	s_delay_alu instid0(VALU_DEP_1)
	v_add3_u32 v18, v19, v18, 0x7fff
                                        ; implicit-def: $vgpr19
; %bb.2782:                             ;   in Loop: Header=BB12_1247 Depth=2
	s_and_not1_saveexec_b32 s14, s14
; %bb.2783:                             ;   in Loop: Header=BB12_1247 Depth=2
	v_and_b32_e32 v18, 0xffff, v19
	v_or_b32_e32 v22, 0x10000, v19
	s_delay_alu instid0(VALU_DEP_2) | instskip(NEXT) | instid1(VALU_DEP_2)
	v_cmp_eq_u32_e32 vcc_lo, 0, v18
	v_cndmask_b32_e32 v18, v22, v19, vcc_lo
; %bb.2784:                             ;   in Loop: Header=BB12_1247 Depth=2
	s_or_b32 exec_lo, exec_lo, s14
	v_mul_f32_e32 v17, v17, v16
	s_delay_alu instid0(VALU_DEP_1) | instskip(NEXT) | instid1(VALU_DEP_1)
	v_and_b32_e32 v16, 0x7f800000, v17
	v_cmp_ne_u32_e32 vcc_lo, 0x7f800000, v16
                                        ; implicit-def: $vgpr16
	s_and_saveexec_b32 s14, vcc_lo
	s_delay_alu instid0(SALU_CYCLE_1)
	s_xor_b32 s14, exec_lo, s14
; %bb.2785:                             ;   in Loop: Header=BB12_1247 Depth=2
	v_bfe_u32 v16, v17, 16, 1
	s_delay_alu instid0(VALU_DEP_1)
	v_add3_u32 v16, v17, v16, 0x7fff
                                        ; implicit-def: $vgpr17
; %bb.2786:                             ;   in Loop: Header=BB12_1247 Depth=2
	s_and_not1_saveexec_b32 s14, s14
; %bb.2787:                             ;   in Loop: Header=BB12_1247 Depth=2
	v_and_b32_e32 v16, 0xffff, v17
	v_or_b32_e32 v19, 0x10000, v17
	s_delay_alu instid0(VALU_DEP_2) | instskip(NEXT) | instid1(VALU_DEP_2)
	v_cmp_eq_u32_e32 vcc_lo, 0, v16
	v_cndmask_b32_e32 v16, v19, v17, vcc_lo
; %bb.2788:                             ;   in Loop: Header=BB12_1247 Depth=2
	s_or_b32 exec_lo, exec_lo, s14
	v_mul_f32_e32 v15, v15, v14
	s_delay_alu instid0(VALU_DEP_1) | instskip(NEXT) | instid1(VALU_DEP_1)
	v_and_b32_e32 v14, 0x7f800000, v15
	v_cmp_ne_u32_e32 vcc_lo, 0x7f800000, v14
                                        ; implicit-def: $vgpr14
	s_and_saveexec_b32 s14, vcc_lo
	s_delay_alu instid0(SALU_CYCLE_1)
	s_xor_b32 s14, exec_lo, s14
; %bb.2789:                             ;   in Loop: Header=BB12_1247 Depth=2
	v_bfe_u32 v14, v15, 16, 1
	s_delay_alu instid0(VALU_DEP_1)
	v_add3_u32 v14, v15, v14, 0x7fff
                                        ; implicit-def: $vgpr15
; %bb.2790:                             ;   in Loop: Header=BB12_1247 Depth=2
	s_and_not1_saveexec_b32 s14, s14
; %bb.2791:                             ;   in Loop: Header=BB12_1247 Depth=2
	v_and_b32_e32 v14, 0xffff, v15
	v_or_b32_e32 v17, 0x10000, v15
	s_delay_alu instid0(VALU_DEP_2) | instskip(NEXT) | instid1(VALU_DEP_2)
	v_cmp_eq_u32_e32 vcc_lo, 0, v14
	v_cndmask_b32_e32 v14, v17, v15, vcc_lo
; %bb.2792:                             ;   in Loop: Header=BB12_1247 Depth=2
	s_or_b32 exec_lo, exec_lo, s14
	v_mul_f32_e32 v13, v13, v5
	s_delay_alu instid0(VALU_DEP_1) | instskip(NEXT) | instid1(VALU_DEP_1)
	v_and_b32_e32 v5, 0x7f800000, v13
	v_cmp_ne_u32_e32 vcc_lo, 0x7f800000, v5
                                        ; implicit-def: $vgpr5
	s_and_saveexec_b32 s14, vcc_lo
	s_delay_alu instid0(SALU_CYCLE_1)
	s_xor_b32 s14, exec_lo, s14
; %bb.2793:                             ;   in Loop: Header=BB12_1247 Depth=2
	v_bfe_u32 v5, v13, 16, 1
	s_delay_alu instid0(VALU_DEP_1)
	v_add3_u32 v5, v13, v5, 0x7fff
                                        ; implicit-def: $vgpr13
; %bb.2794:                             ;   in Loop: Header=BB12_1247 Depth=2
	s_and_not1_saveexec_b32 s14, s14
; %bb.2795:                             ;   in Loop: Header=BB12_1247 Depth=2
	v_and_b32_e32 v5, 0xffff, v13
	v_or_b32_e32 v15, 0x10000, v13
	s_delay_alu instid0(VALU_DEP_2) | instskip(NEXT) | instid1(VALU_DEP_2)
	v_cmp_eq_u32_e32 vcc_lo, 0, v5
	v_cndmask_b32_e32 v5, v15, v13, vcc_lo
; %bb.2796:                             ;   in Loop: Header=BB12_1247 Depth=2
	s_or_b32 exec_lo, exec_lo, s14
	v_mul_f32_e32 v4, v4, v2
	s_delay_alu instid0(VALU_DEP_1) | instskip(NEXT) | instid1(VALU_DEP_1)
	v_and_b32_e32 v2, 0x7f800000, v4
	v_cmp_ne_u32_e32 vcc_lo, 0x7f800000, v2
                                        ; implicit-def: $vgpr2
	s_and_saveexec_b32 s14, vcc_lo
	s_delay_alu instid0(SALU_CYCLE_1)
	s_xor_b32 s14, exec_lo, s14
; %bb.2797:                             ;   in Loop: Header=BB12_1247 Depth=2
	v_bfe_u32 v2, v4, 16, 1
	s_delay_alu instid0(VALU_DEP_1)
	v_add3_u32 v2, v4, v2, 0x7fff
                                        ; implicit-def: $vgpr4
; %bb.2798:                             ;   in Loop: Header=BB12_1247 Depth=2
	s_and_not1_saveexec_b32 s14, s14
; %bb.2799:                             ;   in Loop: Header=BB12_1247 Depth=2
	v_and_b32_e32 v2, 0xffff, v4
	v_or_b32_e32 v13, 0x10000, v4
	s_delay_alu instid0(VALU_DEP_2) | instskip(NEXT) | instid1(VALU_DEP_2)
	v_cmp_eq_u32_e32 vcc_lo, 0, v2
	v_cndmask_b32_e32 v2, v13, v4, vcc_lo
; %bb.2800:                             ;   in Loop: Header=BB12_1247 Depth=2
	s_or_b32 exec_lo, exec_lo, s14
	s_clause 0xf
	flat_store_d16_hi_b16 v[0:1], v8 th:TH_STORE_NT
	flat_store_d16_hi_b16 v[0:1], v9 offset:64 th:TH_STORE_NT
	flat_store_d16_hi_b16 v[0:1], v20 offset:128 th:TH_STORE_NT
	;; [unrolled: 1-line block ×15, first 2 shown]
.LBB12_2801:                            ;   in Loop: Header=BB12_1247 Depth=2
	s_wait_xcnt 0x0
	s_or_b32 exec_lo, exec_lo, s13
	v_lshlrev_b32_e32 v0, 10, v12
	s_delay_alu instid0(VALU_DEP_1)
	v_cmp_ne_u32_e32 vcc_lo, v123, v0
	s_and_b32 exec_lo, exec_lo, vcc_lo
	s_cbranch_execz .LBB12_2826
; %bb.2802:                             ;   in Loop: Header=BB12_1247 Depth=2
	v_lshlrev_b32_e32 v1, 5, v32
	s_delay_alu instid0(VALU_DEP_1) | instskip(NEXT) | instid1(VALU_DEP_1)
	v_sub_nc_u32_e32 v1, v11, v1
	v_ashrrev_i32_e32 v2, 31, v1
	s_delay_alu instid0(VALU_DEP_1) | instskip(NEXT) | instid1(VALU_DEP_1)
	v_lshrrev_b32_e32 v2, 27, v2
	v_add_nc_u32_e32 v2, v1, v2
	s_delay_alu instid0(VALU_DEP_1) | instskip(NEXT) | instid1(VALU_DEP_1)
	v_and_b32_e32 v4, 0x7fffffe0, v2
	v_dual_lshlrev_b32 v2, 1, v2 :: v_dual_sub_nc_u32 v1, v1, v4
	s_delay_alu instid0(VALU_DEP_1) | instskip(NEXT) | instid1(VALU_DEP_2)
	v_and_b32_e32 v2, 0xffffffc0, v2
	v_lshlrev_b32_e32 v1, 1, v1
	s_delay_alu instid0(VALU_DEP_1) | instskip(NEXT) | instid1(VALU_DEP_1)
	v_add3_u32 v0, v2, v1, v0
	v_sub_nc_u32_e32 v2, v123, v0
	s_delay_alu instid0(VALU_DEP_1)
	v_cmp_lt_i32_e32 vcc_lo, 1, v2
	s_and_b32 exec_lo, exec_lo, vcc_lo
	s_cbranch_execz .LBB12_2826
; %bb.2803:                             ;   in Loop: Header=BB12_1247 Depth=2
	s_trap 2
	ds_load_b64 v[4:5], v0
	v_add_nc_u32_e32 v6, v0, v10
	s_mov_b32 s78, 0
	s_mov_b32 s76, 0
                                        ; implicit-def: $sgpr77
	s_delay_alu instid0(VALU_DEP_1) | instskip(NEXT) | instid1(VALU_DEP_1)
	v_ashrrev_i32_e32 v7, 31, v6
	v_add_nc_u64_e32 v[0:1], v[44:45], v[6:7]
	v_add_nc_u64_e32 v[8:9], v[6:7], v[72:73]
	s_wait_dscnt 0x0
	v_add_nc_u64_e32 v[4:5], v[4:5], v[6:7]
	s_branch .LBB12_2805
.LBB12_2804:                            ;   in Loop: Header=BB12_2805 Depth=3
	s_or_b32 exec_lo, exec_lo, s13
	s_delay_alu instid0(VALU_DEP_1) | instskip(SKIP_2) | instid1(VALU_DEP_3)
	v_dual_cndmask_b32 v12, 0, v76, s78 :: v_dual_lshrrev_b32 v14, 16, v6
	v_add_nc_u64_e32 v[10:11], 64, v[92:93]
	v_add_nc_u64_e32 v[6:7], v[4:5], v[92:93]
	v_sub_nc_u32_e32 v2, v2, v12
	v_add_nc_u64_e32 v[12:13], v[8:9], v[92:93]
	flat_store_b16 v[0:1], v14 th:TH_STORE_NT
	scratch_store_b16 off, v14, s33 offset:192
	v_dual_cndmask_b32 v11, 0, v11, s78 :: v_dual_cndmask_b32 v10, 64, v10, s78
	v_cndmask_b32_e64 v5, v5, v7, s78
	v_cmp_gt_i32_e32 vcc_lo, 2, v2
	v_dual_cndmask_b32 v4, v4, v6, s78 :: v_dual_cndmask_b32 v9, v9, v13, s78
	s_wait_xcnt 0x1
	v_add_nc_u64_e32 v[0:1], v[0:1], v[10:11]
	v_cndmask_b32_e64 v8, v8, v12, s78
	s_or_b32 s76, vcc_lo, s76
	s_and_not1_b32 s13, s77, exec_lo
	s_and_b32 s14, s78, exec_lo
	s_delay_alu instid0(SALU_CYCLE_1)
	s_or_b32 s77, s13, s14
	s_wait_xcnt 0x0
	s_and_not1_b32 exec_lo, exec_lo, s76
	s_cbranch_execz .LBB12_2820
.LBB12_2805:                            ;   Parent Loop BB12_47 Depth=1
                                        ;     Parent Loop BB12_1247 Depth=2
                                        ; =>    This Loop Header: Depth=3
                                        ;         Child Loop BB12_2806 Depth 4
                                        ;         Child Loop BB12_2815 Depth 4
	s_add_co_i32 s13, s33, 0xc0
	s_mov_b64 s[40:41], 0
	s_mov_b32 s79, s13
	s_mov_b32 s88, -1
.LBB12_2806:                            ;   Parent Loop BB12_47 Depth=1
                                        ;     Parent Loop BB12_1247 Depth=2
                                        ;       Parent Loop BB12_2805 Depth=3
                                        ; =>      This Inner Loop Header: Depth=4
	s_cmp_eq_u32 s40, 1
	s_cselect_b32 vcc_lo, -1, 0
	s_cmp_eq_u32 s40, 0
	v_dual_cndmask_b32 v7, v9, v5 :: v_dual_cndmask_b32 v6, v8, v4
	s_cselect_b32 s13, -1, 0
	s_and_b32 s14, exec_lo, s88
	s_mov_b64 s[40:41], 1
	s_mov_b32 s88, 0
	flat_load_u16 v10, v[6:7] th:TH_LOAD_NT
	s_wait_xcnt 0x0
	v_add_nc_u64_e32 v[6:7], 64, v[6:7]
	s_delay_alu instid0(VALU_DEP_1)
	v_dual_cndmask_b32 v5, v5, v7 :: v_dual_cndmask_b32 v4, v4, v6
	v_dual_cndmask_b32 v9, v9, v7, s13 :: v_dual_cndmask_b32 v8, v8, v6, s13
	s_add_co_i32 s13, s33, 0xe0
	s_mov_b32 vcc_lo, s14
	s_wait_loadcnt_dscnt 0x0
	scratch_store_b16 off, v10, s79
	s_wait_xcnt 0x0
	s_mov_b32 s79, s13
	s_cbranch_vccnz .LBB12_2806
; %bb.2807:                             ;   in Loop: Header=BB12_2805 Depth=3
	s_and_saveexec_b32 s13, s78
	s_cbranch_execz .LBB12_2813
; %bb.2808:                             ;   in Loop: Header=BB12_2805 Depth=3
	s_clause 0x1
	scratch_load_u16 v6, off, s33 offset:188
	scratch_load_u16 v7, off, s33 offset:190
	s_wait_loadcnt 0x0
	v_dual_lshlrev_b32 v6, 16, v6 :: v_dual_lshlrev_b32 v7, 16, v7
	s_delay_alu instid0(VALU_DEP_1) | instskip(NEXT) | instid1(VALU_DEP_1)
	v_mul_f32_e32 v6, v7, v6
	v_and_b32_e32 v7, 0x7f800000, v6
	s_delay_alu instid0(VALU_DEP_1) | instskip(SKIP_2) | instid1(SALU_CYCLE_1)
	v_cmp_ne_u32_e32 vcc_lo, 0x7f800000, v7
                                        ; implicit-def: $vgpr7
	s_wait_xcnt 0x0
	s_and_saveexec_b32 s14, vcc_lo
	s_xor_b32 s14, exec_lo, s14
; %bb.2809:                             ;   in Loop: Header=BB12_2805 Depth=3
	v_bfe_u32 v7, v6, 16, 1
	s_delay_alu instid0(VALU_DEP_1)
	v_add3_u32 v7, v6, v7, 0x7fff
                                        ; implicit-def: $vgpr6
; %bb.2810:                             ;   in Loop: Header=BB12_2805 Depth=3
	s_and_not1_saveexec_b32 s14, s14
; %bb.2811:                             ;   in Loop: Header=BB12_2805 Depth=3
	v_and_b32_e32 v7, 0xffff, v6
	v_or_b32_e32 v10, 0x10000, v6
	s_delay_alu instid0(VALU_DEP_2) | instskip(NEXT) | instid1(VALU_DEP_2)
	v_cmp_eq_u32_e32 vcc_lo, 0, v7
	v_cndmask_b32_e32 v7, v10, v6, vcc_lo
; %bb.2812:                             ;   in Loop: Header=BB12_2805 Depth=3
	s_or_b32 exec_lo, exec_lo, s14
	v_add_nc_u64_e32 v[10:11], 64, v[92:93]
	s_delay_alu instid0(VALU_DEP_2)
	v_lshrrev_b32_e32 v6, 16, v7
	flat_store_b16 v[0:1], v6 th:TH_STORE_NT
	s_wait_xcnt 0x0
	v_add_nc_u64_e32 v[0:1], v[0:1], v[10:11]
	scratch_store_b16 off, v6, s33 offset:188
.LBB12_2813:                            ;   in Loop: Header=BB12_2805 Depth=3
	s_wait_xcnt 0x0
	s_or_b32 exec_lo, exec_lo, s13
	v_sub_nc_u32_e32 v2, v2, v76
	v_add_nc_u64_e32 v[8:9], v[8:9], v[92:93]
	v_add_nc_u64_e32 v[4:5], v[4:5], v[92:93]
	s_delay_alu instid0(VALU_DEP_3)
	v_cmp_lt_i32_e64 s78, 1, v2
	s_and_saveexec_b32 s79, s78
	s_cbranch_execz .LBB12_2816
; %bb.2814:                             ;   in Loop: Header=BB12_2805 Depth=3
	s_add_co_i32 s13, s33, 0xbc
	s_mov_b64 s[40:41], 0
	s_mov_b32 s88, s13
	s_mov_b32 s89, -1
.LBB12_2815:                            ;   Parent Loop BB12_47 Depth=1
                                        ;     Parent Loop BB12_1247 Depth=2
                                        ;       Parent Loop BB12_2805 Depth=3
                                        ; =>      This Inner Loop Header: Depth=4
	s_cmp_eq_u32 s40, 1
	s_cselect_b32 vcc_lo, -1, 0
	s_cmp_eq_u32 s40, 0
	v_dual_cndmask_b32 v7, v9, v5 :: v_dual_cndmask_b32 v6, v8, v4
	s_cselect_b32 s13, -1, 0
	s_and_b32 s14, exec_lo, s89
	s_mov_b64 s[40:41], 1
	s_mov_b32 s89, 0
	flat_load_u16 v10, v[6:7] th:TH_LOAD_NT
	s_wait_xcnt 0x0
	v_add_nc_u64_e32 v[6:7], 64, v[6:7]
	s_delay_alu instid0(VALU_DEP_1)
	v_dual_cndmask_b32 v9, v9, v7, s13 :: v_dual_cndmask_b32 v8, v8, v6, s13
	v_dual_cndmask_b32 v5, v5, v7 :: v_dual_cndmask_b32 v4, v4, v6
	s_add_co_i32 s13, s33, 0xbe
	s_mov_b32 vcc_lo, s14
	s_wait_loadcnt_dscnt 0x0
	scratch_store_b16 off, v10, s88
	s_wait_xcnt 0x0
	s_mov_b32 s88, s13
	s_cbranch_vccnz .LBB12_2815
.LBB12_2816:                            ;   in Loop: Header=BB12_2805 Depth=3
	s_or_b32 exec_lo, exec_lo, s79
	s_clause 0x1
	scratch_load_u16 v6, off, s33 offset:192
	scratch_load_u16 v7, off, s33 offset:224
	s_wait_loadcnt 0x0
	v_dual_lshlrev_b32 v6, 16, v6 :: v_dual_lshlrev_b32 v7, 16, v7
	s_delay_alu instid0(VALU_DEP_1) | instskip(NEXT) | instid1(VALU_DEP_1)
	v_mul_f32_e32 v7, v7, v6
	v_and_b32_e32 v6, 0x7f800000, v7
	s_delay_alu instid0(VALU_DEP_1) | instskip(SKIP_2) | instid1(SALU_CYCLE_1)
	v_cmp_ne_u32_e32 vcc_lo, 0x7f800000, v6
                                        ; implicit-def: $vgpr6
	s_wait_xcnt 0x0
	s_and_saveexec_b32 s13, vcc_lo
	s_xor_b32 s13, exec_lo, s13
; %bb.2817:                             ;   in Loop: Header=BB12_2805 Depth=3
	v_bfe_u32 v6, v7, 16, 1
	s_delay_alu instid0(VALU_DEP_1)
	v_add3_u32 v6, v7, v6, 0x7fff
                                        ; implicit-def: $vgpr7
; %bb.2818:                             ;   in Loop: Header=BB12_2805 Depth=3
	s_and_not1_saveexec_b32 s13, s13
	s_cbranch_execz .LBB12_2804
; %bb.2819:                             ;   in Loop: Header=BB12_2805 Depth=3
	v_and_b32_e32 v6, 0xffff, v7
	v_or_b32_e32 v10, 0x10000, v7
	s_delay_alu instid0(VALU_DEP_2) | instskip(NEXT) | instid1(VALU_DEP_2)
	v_cmp_eq_u32_e32 vcc_lo, 0, v6
	v_cndmask_b32_e32 v6, v10, v7, vcc_lo
	s_branch .LBB12_2804
.LBB12_2820:                            ;   in Loop: Header=BB12_1247 Depth=2
	s_or_b32 exec_lo, exec_lo, s76
	s_delay_alu instid0(SALU_CYCLE_1)
	s_and_b32 exec_lo, exec_lo, s77
	s_cbranch_execz .LBB12_2826
; %bb.2821:                             ;   in Loop: Header=BB12_1247 Depth=2
	s_clause 0x1
	scratch_load_u16 v2, off, s33 offset:188
	scratch_load_u16 v4, off, s33 offset:190
	s_wait_loadcnt 0x0
	v_dual_lshlrev_b32 v2, 16, v2 :: v_dual_lshlrev_b32 v4, 16, v4
	s_delay_alu instid0(VALU_DEP_1) | instskip(NEXT) | instid1(VALU_DEP_1)
	v_mul_f32_e32 v2, v4, v2
	v_and_b32_e32 v4, 0x7f800000, v2
	s_delay_alu instid0(VALU_DEP_1) | instskip(SKIP_2) | instid1(SALU_CYCLE_1)
	v_cmp_ne_u32_e32 vcc_lo, 0x7f800000, v4
                                        ; implicit-def: $vgpr4
	s_wait_xcnt 0x0
	s_and_saveexec_b32 s13, vcc_lo
	s_xor_b32 s13, exec_lo, s13
; %bb.2822:                             ;   in Loop: Header=BB12_1247 Depth=2
	v_bfe_u32 v4, v2, 16, 1
	s_delay_alu instid0(VALU_DEP_1)
	v_add3_u32 v4, v2, v4, 0x7fff
                                        ; implicit-def: $vgpr2
; %bb.2823:                             ;   in Loop: Header=BB12_1247 Depth=2
	s_and_not1_saveexec_b32 s13, s13
; %bb.2824:                             ;   in Loop: Header=BB12_1247 Depth=2
	v_and_b32_e32 v4, 0xffff, v2
	v_or_b32_e32 v5, 0x10000, v2
	s_delay_alu instid0(VALU_DEP_2) | instskip(NEXT) | instid1(VALU_DEP_2)
	v_cmp_eq_u32_e32 vcc_lo, 0, v4
	v_cndmask_b32_e32 v4, v5, v2, vcc_lo
; %bb.2825:                             ;   in Loop: Header=BB12_1247 Depth=2
	s_or_b32 exec_lo, exec_lo, s13
	flat_store_d16_hi_b16 v[0:1], v4 th:TH_STORE_NT
.LBB12_2826:                            ;   in Loop: Header=BB12_1247 Depth=2
	s_wait_xcnt 0x0
	s_or_b32 exec_lo, exec_lo, s15
	v_cmp_lt_i32_e64 s13, 0, v120
	s_and_saveexec_b32 s14, s2
	s_cbranch_execz .LBB12_2845
.LBB12_2827:                            ;   in Loop: Header=BB12_1247 Depth=2
	s_and_saveexec_b32 s15, s3
	s_delay_alu instid0(SALU_CYCLE_1)
	s_xor_b32 s15, exec_lo, s15
	s_cbranch_execz .LBB12_2842
; %bb.2828:                             ;   in Loop: Header=BB12_1247 Depth=2
	s_and_saveexec_b32 s40, s6
	s_cbranch_execz .LBB12_2841
; %bb.2829:                             ;   in Loop: Header=BB12_1247 Depth=2
	s_mov_b32 s76, exec_lo
	s_mov_b32 s41, exec_lo
	s_wait_loadcnt 0x0
	v_mbcnt_lo_u32_b32 v0, s76, 0
	global_wb scope:SCOPE_DEV
	s_wait_storecnt_dscnt 0x0
	global_inv scope:SCOPE_DEV
	v_cmpx_eq_u32_e32 0, v0
	s_cbranch_execz .LBB12_2831
; %bb.2830:                             ;   in Loop: Header=BB12_1247 Depth=2
	s_bcnt1_i32_b32 s76, s76
	s_delay_alu instid0(SALU_CYCLE_1)
	v_mov_b32_e32 v2, s76
	s_wait_loadcnt 0x0
	ds_add_u64 v0, v[2:3]
	s_trap 2
.LBB12_2831:                            ;   in Loop: Header=BB12_1247 Depth=2
	s_or_b32 exec_lo, exec_lo, s41
	s_trap 2
	ds_load_b64 v[0:1], v0
	s_wait_dscnt 0x0
	v_add_nc_u64_e32 v[56:57], v[56:57], v[60:61]
	s_mov_b32 s41, exec_lo
	s_delay_alu instid0(VALU_DEP_1)
	v_cmpx_lt_u64_e64 v[0:1], v[56:57]
	s_cbranch_execz .LBB12_2840
; %bb.2832:                             ;   in Loop: Header=BB12_1247 Depth=2
	s_mov_b32 s76, 0
	s_mov_b32 s79, 0
                                        ; implicit-def: $sgpr77
                                        ; implicit-def: $sgpr78
	s_branch .LBB12_2834
.LBB12_2833:                            ;   in Loop: Header=BB12_2834 Depth=3
	s_or_b32 exec_lo, exec_lo, s89
	s_delay_alu instid0(SALU_CYCLE_1) | instskip(NEXT) | instid1(SALU_CYCLE_1)
	s_and_b32 s88, exec_lo, s90
	s_or_b32 s76, s88, s76
	s_and_not1_b32 s77, s77, exec_lo
	s_and_b32 s88, s78, exec_lo
	s_delay_alu instid0(SALU_CYCLE_1)
	s_or_b32 s77, s77, s88
	s_and_not1_b32 exec_lo, exec_lo, s76
	s_cbranch_execz .LBB12_2838
.LBB12_2834:                            ;   Parent Loop BB12_47 Depth=1
                                        ;     Parent Loop BB12_1247 Depth=2
                                        ; =>    This Inner Loop Header: Depth=3
	s_add_co_i32 s79, s79, 1
	s_delay_alu instid0(SALU_CYCLE_1) | instskip(SKIP_1) | instid1(SALU_CYCLE_1)
	s_cmp_lg_u32 s79, 0x2710
	s_cselect_b32 s88, -1, 0
	s_and_b32 vcc_lo, exec_lo, s88
	s_cbranch_vccz .LBB12_2836
; %bb.2835:                             ;   in Loop: Header=BB12_2834 Depth=3
	s_mov_b32 s90, -1
	s_or_b32 s78, s78, exec_lo
	s_and_saveexec_b32 s89, s88
	s_cbranch_execz .LBB12_2833
	s_branch .LBB12_2837
.LBB12_2836:                            ;   in Loop: Header=BB12_2834 Depth=3
	s_trap 2
	ds_load_b64 v[0:1], v0
	s_and_not1_b32 s88, s88, exec_lo
	s_mov_b32 s79, 0
	s_wait_loadcnt_dscnt 0x0
	flat_load_b32 v0, v[0:1] scope:SCOPE_SYS
	s_wait_loadcnt_dscnt 0x0
	global_inv scope:SCOPE_SYS
	v_cmp_eq_u32_e32 vcc_lo, 0, v0
	s_and_b32 s89, vcc_lo, exec_lo
	s_delay_alu instid0(SALU_CYCLE_1)
	s_or_b32 s88, s88, s89
	s_mov_b32 s90, -1
	s_or_b32 s78, s78, exec_lo
	s_and_saveexec_b32 s89, s88
	s_cbranch_execz .LBB12_2833
.LBB12_2837:                            ;   in Loop: Header=BB12_2834 Depth=3
	s_sleep 1
	s_trap 2
	ds_load_b64 v[0:1], v0
	s_wait_dscnt 0x0
	s_and_not1_b32 s78, s78, exec_lo
	v_cmp_ge_u64_e32 vcc_lo, v[0:1], v[56:57]
	s_or_not1_b32 s90, vcc_lo, exec_lo
	s_branch .LBB12_2833
.LBB12_2838:                            ;   in Loop: Header=BB12_1247 Depth=2
	s_or_b32 exec_lo, exec_lo, s76
	s_and_saveexec_b32 s76, s77
	s_delay_alu instid0(SALU_CYCLE_1)
	s_xor_b32 s76, exec_lo, s76
	s_cbranch_execz .LBB12_2840
; %bb.2839:                             ;   in Loop: Header=BB12_1247 Depth=2
	v_mov_b32_e32 v0, 1
	ds_store_b32 v0, v0
	s_trap 2
.LBB12_2840:                            ;   in Loop: Header=BB12_1247 Depth=2
	s_or_b32 exec_lo, exec_lo, s41
	;;#ASMSTART
	s_wakeup
	;;#ASMEND
.LBB12_2841:                            ;   in Loop: Header=BB12_1247 Depth=2
	s_or_b32 exec_lo, exec_lo, s40
.LBB12_2842:                            ;   in Loop: Header=BB12_1247 Depth=2
	s_and_not1_saveexec_b32 s15, s15
	s_cbranch_execz .LBB12_2844
; %bb.2843:                             ;   in Loop: Header=BB12_1247 Depth=2
	global_wb scope:SCOPE_DEV
	s_wait_storecnt 0x0
	s_wait_loadcnt_dscnt 0x0
	global_inv scope:SCOPE_DEV
	s_barrier_signal -1
	s_barrier_wait -1
.LBB12_2844:                            ;   in Loop: Header=BB12_1247 Depth=2
	s_or_b32 exec_lo, exec_lo, s15
.LBB12_2845:                            ;   in Loop: Header=BB12_1247 Depth=2
	s_delay_alu instid0(SALU_CYCLE_1) | instskip(SKIP_3) | instid1(SALU_CYCLE_1)
	s_or_b32 exec_lo, exec_lo, s14
	s_wait_loadcnt 0x0
	v_and_b32_e32 v0, 16, v126
	s_and_saveexec_b32 s14, s10
	s_xor_b32 s14, exec_lo, s14
	s_cbranch_execz .LBB12_2849
; %bb.2846:                             ;   in Loop: Header=BB12_1247 Depth=2
	v_and_b32_e32 v0, 16, v126
	s_delay_alu instid0(VALU_DEP_1) | instskip(SKIP_2) | instid1(SALU_CYCLE_1)
	v_cmp_ne_u32_e32 vcc_lo, 0, v0
	v_and_b32_e32 v0, 16, v126
	s_and_b32 s15, vcc_lo, s13
	s_and_saveexec_b32 s13, s15
	s_cbranch_execz .LBB12_2848
; %bb.2847:                             ;   in Loop: Header=BB12_1247 Depth=2
	v_mov_b32_e32 v0, 1
	global_wb scope:SCOPE_SYS
	s_wait_storecnt_dscnt 0x0
	global_inv scope:SCOPE_SYS
.LBB12_2848:                            ;   in Loop: Header=BB12_1247 Depth=2
	s_or_b32 exec_lo, exec_lo, s13
.LBB12_2849:                            ;   in Loop: Header=BB12_1247 Depth=2
	s_and_not1_saveexec_b32 s13, s14
	s_cbranch_execz .LBB12_2868
; %bb.2850:                             ;   in Loop: Header=BB12_1247 Depth=2
	s_and_saveexec_b32 s14, s3
	s_delay_alu instid0(SALU_CYCLE_1)
	s_xor_b32 s14, exec_lo, s14
	s_cbranch_execz .LBB12_2865
; %bb.2851:                             ;   in Loop: Header=BB12_1247 Depth=2
	s_and_saveexec_b32 s15, s6
	s_cbranch_execz .LBB12_2864
; %bb.2852:                             ;   in Loop: Header=BB12_1247 Depth=2
	s_mov_b32 s41, exec_lo
	s_mov_b32 s40, exec_lo
	v_mbcnt_lo_u32_b32 v1, s41, 0
	;;#ASMSTART
	s_waitcnt lgkmcnt(0) vmcnt(0)
	;;#ASMEND
	s_delay_alu instid0(VALU_DEP_1)
	v_cmpx_eq_u32_e32 0, v1
	s_cbranch_execz .LBB12_2854
; %bb.2853:                             ;   in Loop: Header=BB12_1247 Depth=2
	s_bcnt1_i32_b32 s41, s41
	s_delay_alu instid0(SALU_CYCLE_1)
	v_mov_b32_e32 v2, s41
	s_wait_storecnt 0x0
	s_wait_loadcnt_dscnt 0x0
	ds_add_u64 v0, v[2:3]
	s_trap 2
.LBB12_2854:                            ;   in Loop: Header=BB12_1247 Depth=2
	s_or_b32 exec_lo, exec_lo, s40
	s_trap 2
	ds_load_b64 v[4:5], v0
	s_wait_dscnt 0x0
	v_add_nc_u64_e32 v[56:57], v[56:57], v[60:61]
	s_mov_b32 s40, exec_lo
	s_delay_alu instid0(VALU_DEP_1)
	v_cmpx_lt_u64_e64 v[4:5], v[56:57]
	s_cbranch_execz .LBB12_2863
; %bb.2855:                             ;   in Loop: Header=BB12_1247 Depth=2
	s_mov_b32 s41, 0
	s_mov_b32 s78, 0
                                        ; implicit-def: $sgpr76
                                        ; implicit-def: $sgpr77
	s_branch .LBB12_2857
.LBB12_2856:                            ;   in Loop: Header=BB12_2857 Depth=3
	s_or_b32 exec_lo, exec_lo, s88
	s_delay_alu instid0(SALU_CYCLE_1) | instskip(NEXT) | instid1(SALU_CYCLE_1)
	s_and_b32 s79, exec_lo, s89
	s_or_b32 s41, s79, s41
	s_and_not1_b32 s76, s76, exec_lo
	s_and_b32 s79, s77, exec_lo
	s_delay_alu instid0(SALU_CYCLE_1)
	s_or_b32 s76, s76, s79
	s_and_not1_b32 exec_lo, exec_lo, s41
	s_cbranch_execz .LBB12_2861
.LBB12_2857:                            ;   Parent Loop BB12_47 Depth=1
                                        ;     Parent Loop BB12_1247 Depth=2
                                        ; =>    This Inner Loop Header: Depth=3
	s_add_co_i32 s78, s78, 1
	s_delay_alu instid0(SALU_CYCLE_1) | instskip(SKIP_1) | instid1(SALU_CYCLE_1)
	s_cmp_lg_u32 s78, 0x2710
	s_cselect_b32 s79, -1, 0
	s_and_b32 vcc_lo, exec_lo, s79
	s_cbranch_vccz .LBB12_2859
; %bb.2858:                             ;   in Loop: Header=BB12_2857 Depth=3
	s_mov_b32 s89, -1
	s_or_b32 s77, s77, exec_lo
	s_and_saveexec_b32 s88, s79
	s_cbranch_execz .LBB12_2856
	s_branch .LBB12_2860
.LBB12_2859:                            ;   in Loop: Header=BB12_2857 Depth=3
	s_trap 2
	ds_load_b64 v[4:5], v0
	s_and_not1_b32 s79, s79, exec_lo
	s_mov_b32 s78, 0
	s_wait_storecnt 0x0
	s_wait_loadcnt_dscnt 0x0
	flat_load_b32 v1, v[4:5] scope:SCOPE_SYS
	s_wait_loadcnt_dscnt 0x0
	global_inv scope:SCOPE_SYS
	v_cmp_eq_u32_e32 vcc_lo, 0, v1
	s_and_b32 s88, vcc_lo, exec_lo
	s_delay_alu instid0(SALU_CYCLE_1)
	s_or_b32 s79, s79, s88
	s_mov_b32 s89, -1
	s_or_b32 s77, s77, exec_lo
	s_and_saveexec_b32 s88, s79
	s_cbranch_execz .LBB12_2856
.LBB12_2860:                            ;   in Loop: Header=BB12_2857 Depth=3
	s_sleep 1
	s_trap 2
	ds_load_b64 v[4:5], v0
	s_wait_dscnt 0x0
	s_and_not1_b32 s77, s77, exec_lo
	v_cmp_ge_u64_e32 vcc_lo, v[4:5], v[56:57]
	s_or_not1_b32 s89, vcc_lo, exec_lo
	s_branch .LBB12_2856
.LBB12_2861:                            ;   in Loop: Header=BB12_1247 Depth=2
	s_or_b32 exec_lo, exec_lo, s41
	s_and_saveexec_b32 s41, s76
	s_delay_alu instid0(SALU_CYCLE_1)
	s_xor_b32 s41, exec_lo, s41
	s_cbranch_execz .LBB12_2863
; %bb.2862:                             ;   in Loop: Header=BB12_1247 Depth=2
	v_mov_b32_e32 v1, 1
	ds_store_b32 v0, v1
	s_trap 2
.LBB12_2863:                            ;   in Loop: Header=BB12_1247 Depth=2
	s_or_b32 exec_lo, exec_lo, s40
	;;#ASMSTART
	s_wakeup
	;;#ASMEND
.LBB12_2864:                            ;   in Loop: Header=BB12_1247 Depth=2
	s_or_b32 exec_lo, exec_lo, s15
.LBB12_2865:                            ;   in Loop: Header=BB12_1247 Depth=2
	s_and_not1_saveexec_b32 s14, s14
	s_cbranch_execz .LBB12_2867
; %bb.2866:                             ;   in Loop: Header=BB12_1247 Depth=2
	;;#ASMSTART
	s_waitcnt lgkmcnt(0) vmcnt(0)
	;;#ASMEND
	s_barrier_signal -1
	s_barrier_wait -1
.LBB12_2867:                            ;   in Loop: Header=BB12_1247 Depth=2
	s_or_b32 exec_lo, exec_lo, s14
.LBB12_2868:                            ;   in Loop: Header=BB12_1247 Depth=2
	s_delay_alu instid0(SALU_CYCLE_1) | instskip(SKIP_2) | instid1(SALU_CYCLE_1)
	s_or_b32 exec_lo, exec_lo, s13
	v_cmp_ne_u32_e32 vcc_lo, 0, v0
	s_xor_b32 s13, s4, -1
	s_and_b32 s14, vcc_lo, s13
	s_delay_alu instid0(SALU_CYCLE_1)
	s_and_saveexec_b32 s13, s14
	s_cbranch_execz .LBB12_2870
; %bb.2869:                             ;   in Loop: Header=BB12_1247 Depth=2
	scratch_load_b64 v[0:1], off, s33 offset:288 ; 8-byte Folded Reload
	v_mov_b32_e32 v2, 1
	global_wb scope:SCOPE_SYS
	s_wait_storecnt 0x0
	s_wait_xcnt 0x0
	s_wait_loadcnt_dscnt 0x0
	flat_store_b32 v[0:1], v2 scope:SCOPE_SYS
.LBB12_2870:                            ;   in Loop: Header=BB12_1247 Depth=2
	s_wait_xcnt 0x0
	s_or_b32 exec_lo, exec_lo, s13
	v_and_b32_e32 v0, 48, v126
	s_mov_b32 s13, exec_lo
	s_delay_alu instid0(VALU_DEP_1)
	v_cmpx_ne_u32_e32 0, v0
	s_cbranch_execz .LBB12_1246
; %bb.2871:                             ;   in Loop: Header=BB12_1247 Depth=2
	v_add_nc_u64_e32 v[116:117], 2, v[116:117]
	global_wb scope:SCOPE_SYS
	s_wait_storecnt 0x0
	s_wait_loadcnt_dscnt 0x0
	flat_store_b64 v[40:41], v[116:117] scope:SCOPE_SYS
	s_branch .LBB12_1246
.LBB12_2872:                            ;   in Loop: Header=BB12_47 Depth=1
	s_or_b32 exec_lo, exec_lo, s27
.LBB12_2873:                            ;   in Loop: Header=BB12_47 Depth=1
	s_delay_alu instid0(SALU_CYCLE_1) | instskip(NEXT) | instid1(SALU_CYCLE_1)
	s_or_b32 exec_lo, exec_lo, s18
	s_mov_b32 s14, exec_lo
	v_cmpx_gt_i32_e32 2, v2
	s_cbranch_execz .LBB12_2949
; %bb.2874:                             ;   in Loop: Header=BB12_47 Depth=1
	v_cmp_eq_u32_e64 s18, 0, v2
	s_mov_b32 s15, 0
	s_branch .LBB12_2876
.LBB12_2875:                            ;   in Loop: Header=BB12_2876 Depth=2
	s_wait_xcnt 0x0
	s_or_b32 exec_lo, exec_lo, s13
	v_add_nc_u32_e32 v74, v28, v74
	s_mov_b32 s18, 0
	s_and_not1_b32 exec_lo, exec_lo, s15
	s_cbranch_execz .LBB12_2948
.LBB12_2876:                            ;   Parent Loop BB12_47 Depth=1
                                        ; =>  This Loop Header: Depth=2
                                        ;       Child Loop BB12_2882 Depth 3
                                        ;       Child Loop BB12_2910 Depth 3
	;; [unrolled: 1-line block ×3, first 2 shown]
	s_delay_alu instid0(VALU_DEP_1) | instskip(SKIP_2) | instid1(VALU_DEP_2)
	v_sub_nc_u32_e32 v0, v30, v74
	v_and_b32_e32 v1, 12, v126
	s_mov_b32 s27, exec_lo
	v_min_i32_e32 v28, v28, v0
	s_delay_alu instid0(VALU_DEP_2)
	v_cmpx_ne_u32_e32 0, v1
	s_cbranch_execz .LBB12_2902
; %bb.2877:                             ;   in Loop: Header=BB12_2876 Depth=2
	v_and_b32_e32 v2, 8, v126
	v_add_nc_u64_e32 v[0:1], 2, v[116:117]
	s_mov_b32 s40, exec_lo
	s_wait_dscnt 0x1
	s_delay_alu instid0(VALU_DEP_2) | instskip(NEXT) | instid1(VALU_DEP_1)
	v_add_nc_u64_e32 v[4:5], v[58:59], v[2:3]
	v_cmpx_lt_u64_e64 v[4:5], v[0:1]
	s_cbranch_execz .LBB12_2889
; %bb.2878:                             ;   in Loop: Header=BB12_2876 Depth=2
	v_and_b32_e32 v4, 64, v126
	s_mov_b32 s41, 0
	s_mov_b32 s77, 0
                                        ; implicit-def: $sgpr74
                                        ; implicit-def: $sgpr75
                                        ; implicit-def: $sgpr76
	s_delay_alu instid0(VALU_DEP_1)
	v_cmp_eq_u32_e32 vcc_lo, 0, v4
	s_branch .LBB12_2882
.LBB12_2879:                            ;   in Loop: Header=BB12_2882 Depth=3
	s_wait_loadcnt_dscnt 0x0
	v_add_nc_u64_e32 v[6:7], v[58:59], v[2:3]
	s_or_b32 s88, s88, exec_lo
	s_delay_alu instid0(VALU_DEP_1)
	v_cmp_ge_u64_e64 s13, v[6:7], v[0:1]
	s_or_not1_b32 s79, s13, exec_lo
.LBB12_2880:                            ;   in Loop: Header=BB12_2882 Depth=3
	s_or_b32 exec_lo, exec_lo, s90
	s_delay_alu instid0(SALU_CYCLE_1)
	s_and_not1_b32 s13, s76, exec_lo
	s_and_b32 s76, s88, exec_lo
	s_and_not1_b32 s75, s75, exec_lo
	s_and_b32 s79, s79, exec_lo
	s_or_b32 s76, s13, s76
	s_or_b32 s75, s75, s79
.LBB12_2881:                            ;   in Loop: Header=BB12_2882 Depth=3
	s_or_b32 exec_lo, exec_lo, s78
	s_delay_alu instid0(SALU_CYCLE_1) | instskip(NEXT) | instid1(SALU_CYCLE_1)
	s_and_b32 s13, exec_lo, s75
	s_or_b32 s41, s13, s41
	s_and_not1_b32 s13, s74, exec_lo
	s_and_b32 s74, s76, exec_lo
	s_delay_alu instid0(SALU_CYCLE_1)
	s_or_b32 s74, s13, s74
	s_and_not1_b32 exec_lo, exec_lo, s41
	s_cbranch_execz .LBB12_2886
.LBB12_2882:                            ;   Parent Loop BB12_47 Depth=1
                                        ;     Parent Loop BB12_2876 Depth=2
                                        ; =>    This Inner Loop Header: Depth=3
	s_sleep 1
	s_wait_loadcnt_dscnt 0x0
	flat_load_b64 v[58:59], v[40:41] scope:SCOPE_SYS
	s_or_b32 s76, s76, exec_lo
	s_or_b32 s75, s75, exec_lo
                                        ; implicit-def: $vgpr4
	s_wait_xcnt 0x0
	s_and_saveexec_b32 s78, vcc_lo
	s_cbranch_execz .LBB12_2881
; %bb.2883:                             ;   in Loop: Header=BB12_2882 Depth=3
	s_cmp_lt_i32 s77, 0x270f
	s_mov_b32 s79, -1
	s_cselect_b32 s89, -1, 0
	s_cmp_gt_i32 s77, 0x270e
	s_cbranch_scc0 .LBB12_2885
; %bb.2884:                             ;   in Loop: Header=BB12_2882 Depth=3
	s_trap 2
	ds_load_b64 v[4:5], v0
	s_and_not1_b32 s77, s89, exec_lo
	s_mov_b32 s88, 0
	s_wait_storecnt 0x0
	s_wait_loadcnt_dscnt 0x0
	flat_load_b32 v4, v[4:5] scope:SCOPE_SYS
	s_wait_loadcnt_dscnt 0x0
	global_inv scope:SCOPE_SYS
	v_cmp_eq_u32_e64 s13, 0, v4
	s_and_b32 s13, s13, exec_lo
	s_delay_alu instid0(SALU_CYCLE_1)
	s_or_b32 s89, s77, s13
	s_mov_b32 s77, 0
	s_and_saveexec_b32 s90, s89
	s_cbranch_execz .LBB12_2880
	s_branch .LBB12_2879
.LBB12_2885:                            ;   in Loop: Header=BB12_2882 Depth=3
	s_add_co_i32 s77, s77, 1
	s_mov_b32 s88, -1
                                        ; implicit-def: $vgpr4
	s_and_saveexec_b32 s90, s89
	s_cbranch_execz .LBB12_2880
	s_branch .LBB12_2879
.LBB12_2886:                            ;   in Loop: Header=BB12_2876 Depth=2
	s_or_b32 exec_lo, exec_lo, s41
	s_xor_b32 s13, s74, -1
	s_delay_alu instid0(SALU_CYCLE_1) | instskip(NEXT) | instid1(SALU_CYCLE_1)
	s_and_saveexec_b32 s41, s13
	s_xor_b32 s13, exec_lo, s41
	s_cbranch_execz .LBB12_2888
; %bb.2887:                             ;   in Loop: Header=BB12_2876 Depth=2
	v_or_b32_e32 v126, 64, v126
	s_wait_storecnt 0x0
	s_wait_loadcnt_dscnt 0x0
	ds_store_b32 v0, v4
	s_trap 2
.LBB12_2888:                            ;   in Loop: Header=BB12_2876 Depth=2
	s_or_b32 exec_lo, exec_lo, s13
.LBB12_2889:                            ;   in Loop: Header=BB12_2876 Depth=2
	s_delay_alu instid0(SALU_CYCLE_1) | instskip(SKIP_2) | instid1(VALU_DEP_1)
	s_or_b32 exec_lo, exec_lo, s40
	v_and_b32_e32 v4, 0x108, v126
	;;#ASMSTART
	s_wakeup
	;;#ASMEND
	v_cmp_ne_u32_e32 vcc_lo, 0x108, v4
	v_and_b32_e32 v4, 7, v116
	s_and_saveexec_b32 s13, vcc_lo
	s_delay_alu instid0(SALU_CYCLE_1)
	s_xor_b32 s13, exec_lo, s13
; %bb.2890:                             ;   in Loop: Header=BB12_2876 Depth=2
	v_mov_b32_e32 v5, v3
; %bb.2891:                             ;   in Loop: Header=BB12_2876 Depth=2
	s_and_not1_saveexec_b32 s13, s13
	s_cbranch_execz .LBB12_2893
; %bb.2892:                             ;   in Loop: Header=BB12_2876 Depth=2
	scratch_load_b128 v[6:9], off, s33 offset:272 ; 16-byte Folded Reload
	v_dual_ashrrev_i32 v29, 31, v28 :: v_dual_mov_b32 v5, v3
	s_wait_loadcnt 0x0
	s_delay_alu instid0(VALU_DEP_1)
	v_lshlrev_b64_e32 v[8:9], 1, v[28:29]
	v_mad_nc_u64_u32 v[6:7], v4, 24, v[6:7]
	flat_store_b64 v[6:7], v[8:9] offset:8
.LBB12_2893:                            ;   in Loop: Header=BB12_2876 Depth=2
	s_wait_xcnt 0x0
	s_or_b32 exec_lo, exec_lo, s13
	v_and_b32_e32 v6, 0x100, v126
	s_mov_b32 s13, -1
	s_mov_b32 s40, exec_lo
                                        ; implicit-def: $vgpr8_vgpr9
	s_delay_alu instid0(VALU_DEP_1)
	v_cmpx_ne_u32_e32 0, v6
	s_cbranch_execz .LBB12_2897
; %bb.2894:                             ;   in Loop: Header=BB12_2876 Depth=2
	scratch_load_b128 v[6:9], off, s33 offset:272 ; 16-byte Folded Reload
	s_mov_b32 s41, exec_lo
                                        ; implicit-def: $vgpr8_vgpr9
	s_wait_loadcnt 0x0
	v_mad_nc_u64_u32 v[10:11], v4, 24, v[6:7]
	s_delay_alu instid0(VALU_DEP_1)
	v_mad_u32 v11, v5, 24, v11
	flat_load_b32 v6, v[10:11]
	s_wait_loadcnt_dscnt 0x0
	v_cmp_ne_u32_e32 vcc_lo, 1, v6
	s_wait_xcnt 0x0
	v_cmpx_eq_u32_e32 1, v6
	s_cbranch_execz .LBB12_2896
; %bb.2895:                             ;   in Loop: Header=BB12_2876 Depth=2
	flat_load_b32 v6, v[10:11] offset:4 scope:SCOPE_SYS
	s_wait_loadcnt_dscnt 0x0
	v_ashrrev_i32_e32 v7, 31, v6
	s_delay_alu instid0(VALU_DEP_1)
	v_lshrrev_b64 v[8:9], 1, v[6:7]
.LBB12_2896:                            ;   in Loop: Header=BB12_2876 Depth=2
	s_wait_xcnt 0x0
	s_or_b32 exec_lo, exec_lo, s41
	s_delay_alu instid0(SALU_CYCLE_1)
	s_or_not1_b32 s13, vcc_lo, exec_lo
.LBB12_2897:                            ;   in Loop: Header=BB12_2876 Depth=2
	s_or_b32 exec_lo, exec_lo, s40
	s_and_saveexec_b32 s40, s13
	s_cbranch_execz .LBB12_2899
; %bb.2898:                             ;   in Loop: Header=BB12_2876 Depth=2
	scratch_load_b64 v[6:7], off, s33 offset:296 ; 8-byte Folded Reload
	s_wait_loadcnt 0x0
	v_mul_u64_e32 v[8:9], v[4:5], v[6:7]
.LBB12_2899:                            ;   in Loop: Header=BB12_2876 Depth=2
	s_wait_xcnt 0x0
	s_or_b32 exec_lo, exec_lo, s40
	scratch_load_b64 v[4:5], off, s33 offset:264 ; 8-byte Folded Reload
	v_cmp_eq_u32_e32 vcc_lo, 0, v2
	v_mov_b32_e32 v2, 0x90
	v_and_b32_e32 v6, 0x2000, v126
	s_mov_b32 s13, exec_lo
	s_delay_alu instid0(VALU_DEP_2) | instskip(NEXT) | instid1(VALU_DEP_1)
	v_cndmask_b32_e32 v2, 0xd0, v2, vcc_lo
	v_add_nc_u32_e32 v2, v0, v2
	s_wait_loadcnt 0x0
	v_lshl_add_u64 v[4:5], v[8:9], 1, v[4:5]
	ds_store_b64 v2, v[4:5] offset:584
	s_wait_xcnt 0x0
	v_cmpx_ne_u32_e32 0, v6
	s_cbranch_execz .LBB12_2901
; %bb.2900:                             ;   in Loop: Header=BB12_2876 Depth=2
	ds_load_b64 v[4:5], v0 offset:872
	s_wait_dscnt 0x0
	v_add_nc_u64_e32 v[4:5], 1, v[4:5]
	ds_store_b64 v0, v[4:5] offset:872
.LBB12_2901:                            ;   in Loop: Header=BB12_2876 Depth=2
	s_or_b32 exec_lo, exec_lo, s13
	v_mov_b64_e32 v[116:117], v[0:1]
.LBB12_2902:                            ;   in Loop: Header=BB12_2876 Depth=2
	s_or_b32 exec_lo, exec_lo, s27
	s_xor_b32 s13, s18, -1
	s_delay_alu instid0(SALU_CYCLE_1) | instskip(NEXT) | instid1(SALU_CYCLE_1)
	s_and_b32 s13, exec_lo, s13
	s_or_b32 s15, s13, s15
	s_and_saveexec_b32 s13, s2
	s_cbranch_execz .LBB12_2921
; %bb.2903:                             ;   in Loop: Header=BB12_2876 Depth=2
	s_and_saveexec_b32 s18, s3
	s_delay_alu instid0(SALU_CYCLE_1)
	s_xor_b32 s18, exec_lo, s18
	s_cbranch_execz .LBB12_2918
; %bb.2904:                             ;   in Loop: Header=BB12_2876 Depth=2
	s_and_saveexec_b32 s27, s6
	s_cbranch_execz .LBB12_2917
; %bb.2905:                             ;   in Loop: Header=BB12_2876 Depth=2
	s_mov_b32 s41, exec_lo
	s_mov_b32 s40, exec_lo
	v_mbcnt_lo_u32_b32 v0, s41, 0
	global_wb scope:SCOPE_DEV
	s_wait_storecnt 0x0
	s_wait_loadcnt_dscnt 0x0
	global_inv scope:SCOPE_DEV
	v_cmpx_eq_u32_e32 0, v0
	s_cbranch_execz .LBB12_2907
; %bb.2906:                             ;   in Loop: Header=BB12_2876 Depth=2
	s_bcnt1_i32_b32 s41, s41
	s_delay_alu instid0(SALU_CYCLE_1)
	v_mov_b32_e32 v2, s41
	s_wait_loadcnt 0x0
	ds_add_u64 v0, v[2:3]
	s_trap 2
.LBB12_2907:                            ;   in Loop: Header=BB12_2876 Depth=2
	s_or_b32 exec_lo, exec_lo, s40
	s_trap 2
	ds_load_b64 v[0:1], v0
	s_wait_dscnt 0x0
	v_add_nc_u64_e32 v[56:57], v[56:57], v[60:61]
	s_mov_b32 s40, exec_lo
	s_delay_alu instid0(VALU_DEP_1)
	v_cmpx_lt_u64_e64 v[0:1], v[56:57]
	s_cbranch_execz .LBB12_2916
; %bb.2908:                             ;   in Loop: Header=BB12_2876 Depth=2
	s_mov_b32 s41, 0
	s_mov_b32 s76, 0
                                        ; implicit-def: $sgpr74
                                        ; implicit-def: $sgpr75
	s_branch .LBB12_2910
.LBB12_2909:                            ;   in Loop: Header=BB12_2910 Depth=3
	s_or_b32 exec_lo, exec_lo, s78
	s_delay_alu instid0(SALU_CYCLE_1) | instskip(NEXT) | instid1(SALU_CYCLE_1)
	s_and_b32 s77, exec_lo, s79
	s_or_b32 s41, s77, s41
	s_and_not1_b32 s74, s74, exec_lo
	s_and_b32 s77, s75, exec_lo
	s_delay_alu instid0(SALU_CYCLE_1)
	s_or_b32 s74, s74, s77
	s_and_not1_b32 exec_lo, exec_lo, s41
	s_cbranch_execz .LBB12_2914
.LBB12_2910:                            ;   Parent Loop BB12_47 Depth=1
                                        ;     Parent Loop BB12_2876 Depth=2
                                        ; =>    This Inner Loop Header: Depth=3
	s_add_co_i32 s76, s76, 1
	s_delay_alu instid0(SALU_CYCLE_1) | instskip(SKIP_1) | instid1(SALU_CYCLE_1)
	s_cmp_lg_u32 s76, 0x2710
	s_cselect_b32 s77, -1, 0
	s_and_b32 vcc_lo, exec_lo, s77
	s_cbranch_vccz .LBB12_2912
; %bb.2911:                             ;   in Loop: Header=BB12_2910 Depth=3
	s_mov_b32 s79, -1
	s_or_b32 s75, s75, exec_lo
	s_and_saveexec_b32 s78, s77
	s_cbranch_execz .LBB12_2909
	s_branch .LBB12_2913
.LBB12_2912:                            ;   in Loop: Header=BB12_2910 Depth=3
	s_trap 2
	ds_load_b64 v[0:1], v0
	s_and_not1_b32 s77, s77, exec_lo
	s_mov_b32 s76, 0
	s_wait_loadcnt_dscnt 0x0
	flat_load_b32 v0, v[0:1] scope:SCOPE_SYS
	s_wait_loadcnt_dscnt 0x0
	global_inv scope:SCOPE_SYS
	v_cmp_eq_u32_e32 vcc_lo, 0, v0
	s_and_b32 s78, vcc_lo, exec_lo
	s_delay_alu instid0(SALU_CYCLE_1)
	s_or_b32 s77, s77, s78
	s_mov_b32 s79, -1
	s_or_b32 s75, s75, exec_lo
	s_and_saveexec_b32 s78, s77
	s_cbranch_execz .LBB12_2909
.LBB12_2913:                            ;   in Loop: Header=BB12_2910 Depth=3
	s_sleep 1
	s_trap 2
	ds_load_b64 v[0:1], v0
	s_wait_dscnt 0x0
	s_and_not1_b32 s75, s75, exec_lo
	v_cmp_ge_u64_e32 vcc_lo, v[0:1], v[56:57]
	s_or_not1_b32 s79, vcc_lo, exec_lo
	s_branch .LBB12_2909
.LBB12_2914:                            ;   in Loop: Header=BB12_2876 Depth=2
	s_or_b32 exec_lo, exec_lo, s41
	s_and_saveexec_b32 s41, s74
	s_delay_alu instid0(SALU_CYCLE_1)
	s_xor_b32 s41, exec_lo, s41
	s_cbranch_execz .LBB12_2916
; %bb.2915:                             ;   in Loop: Header=BB12_2876 Depth=2
	v_mov_b32_e32 v0, 1
	ds_store_b32 v0, v0
	s_trap 2
.LBB12_2916:                            ;   in Loop: Header=BB12_2876 Depth=2
	s_or_b32 exec_lo, exec_lo, s40
	;;#ASMSTART
	s_wakeup
	;;#ASMEND
.LBB12_2917:                            ;   in Loop: Header=BB12_2876 Depth=2
	s_or_b32 exec_lo, exec_lo, s27
.LBB12_2918:                            ;   in Loop: Header=BB12_2876 Depth=2
	s_and_not1_saveexec_b32 s18, s18
	s_cbranch_execz .LBB12_2920
; %bb.2919:                             ;   in Loop: Header=BB12_2876 Depth=2
	global_wb scope:SCOPE_DEV
	s_wait_storecnt 0x0
	s_wait_loadcnt_dscnt 0x0
	global_inv scope:SCOPE_DEV
	s_barrier_signal -1
	s_barrier_wait -1
.LBB12_2920:                            ;   in Loop: Header=BB12_2876 Depth=2
	s_or_b32 exec_lo, exec_lo, s18
.LBB12_2921:                            ;   in Loop: Header=BB12_2876 Depth=2
	s_delay_alu instid0(SALU_CYCLE_1) | instskip(SKIP_2) | instid1(SALU_CYCLE_1)
	s_or_b32 exec_lo, exec_lo, s13
	v_and_b32_e32 v0, 16, v126
	s_and_saveexec_b32 s13, s10
	s_xor_b32 s18, exec_lo, s13
	s_cbranch_execz .LBB12_2925
; %bb.2922:                             ;   in Loop: Header=BB12_2876 Depth=2
	s_trap 2
	ds_load_b32 v0, v0
	v_cmp_lt_i32_e32 vcc_lo, 0, v28
	s_wait_dscnt 0x0
	v_readfirstlane_b32 s13, v0
	v_and_b32_e32 v0, 16, v126
	s_cmp_eq_u32 s13, 0
	s_delay_alu instid0(VALU_DEP_1) | instskip(SKIP_3) | instid1(SALU_CYCLE_1)
	v_cmp_ne_u32_e64 s13, 0, v0
	s_cselect_b32 s27, -1, 0
	v_and_b32_e32 v0, 16, v126
	s_and_b32 s27, vcc_lo, s27
	s_and_b32 s27, s13, s27
	s_delay_alu instid0(SALU_CYCLE_1)
	s_and_saveexec_b32 s13, s27
	s_cbranch_execz .LBB12_2924
; %bb.2923:                             ;   in Loop: Header=BB12_2876 Depth=2
	v_mov_b32_e32 v0, 1
	global_wb scope:SCOPE_SYS
	s_wait_loadcnt 0x0
	s_wait_storecnt 0x0
	global_inv scope:SCOPE_SYS
.LBB12_2924:                            ;   in Loop: Header=BB12_2876 Depth=2
	s_or_b32 exec_lo, exec_lo, s13
.LBB12_2925:                            ;   in Loop: Header=BB12_2876 Depth=2
	s_and_not1_saveexec_b32 s13, s18
	s_cbranch_execz .LBB12_2944
; %bb.2926:                             ;   in Loop: Header=BB12_2876 Depth=2
	s_and_saveexec_b32 s18, s3
	s_delay_alu instid0(SALU_CYCLE_1)
	s_xor_b32 s18, exec_lo, s18
	s_cbranch_execz .LBB12_2941
; %bb.2927:                             ;   in Loop: Header=BB12_2876 Depth=2
	s_and_saveexec_b32 s27, s6
	s_cbranch_execz .LBB12_2940
; %bb.2928:                             ;   in Loop: Header=BB12_2876 Depth=2
	s_mov_b32 s41, exec_lo
	s_mov_b32 s40, exec_lo
	v_mbcnt_lo_u32_b32 v1, s41, 0
	;;#ASMSTART
	s_waitcnt lgkmcnt(0) vmcnt(0)
	;;#ASMEND
	s_delay_alu instid0(VALU_DEP_1)
	v_cmpx_eq_u32_e32 0, v1
	s_cbranch_execz .LBB12_2930
; %bb.2929:                             ;   in Loop: Header=BB12_2876 Depth=2
	s_bcnt1_i32_b32 s41, s41
	s_delay_alu instid0(SALU_CYCLE_1)
	v_mov_b32_e32 v2, s41
	s_wait_storecnt 0x0
	s_wait_loadcnt_dscnt 0x0
	ds_add_u64 v0, v[2:3]
	s_trap 2
.LBB12_2930:                            ;   in Loop: Header=BB12_2876 Depth=2
	s_or_b32 exec_lo, exec_lo, s40
	s_trap 2
	ds_load_b64 v[4:5], v0
	s_wait_dscnt 0x0
	v_add_nc_u64_e32 v[56:57], v[56:57], v[60:61]
	s_mov_b32 s40, exec_lo
	s_delay_alu instid0(VALU_DEP_1)
	v_cmpx_lt_u64_e64 v[4:5], v[56:57]
	s_cbranch_execz .LBB12_2939
; %bb.2931:                             ;   in Loop: Header=BB12_2876 Depth=2
	s_mov_b32 s41, 0
	s_mov_b32 s76, 0
                                        ; implicit-def: $sgpr74
                                        ; implicit-def: $sgpr75
	s_branch .LBB12_2933
.LBB12_2932:                            ;   in Loop: Header=BB12_2933 Depth=3
	s_or_b32 exec_lo, exec_lo, s78
	s_delay_alu instid0(SALU_CYCLE_1) | instskip(NEXT) | instid1(SALU_CYCLE_1)
	s_and_b32 s77, exec_lo, s79
	s_or_b32 s41, s77, s41
	s_and_not1_b32 s74, s74, exec_lo
	s_and_b32 s77, s75, exec_lo
	s_delay_alu instid0(SALU_CYCLE_1)
	s_or_b32 s74, s74, s77
	s_and_not1_b32 exec_lo, exec_lo, s41
	s_cbranch_execz .LBB12_2937
.LBB12_2933:                            ;   Parent Loop BB12_47 Depth=1
                                        ;     Parent Loop BB12_2876 Depth=2
                                        ; =>    This Inner Loop Header: Depth=3
	s_add_co_i32 s76, s76, 1
	s_delay_alu instid0(SALU_CYCLE_1) | instskip(SKIP_1) | instid1(SALU_CYCLE_1)
	s_cmp_lg_u32 s76, 0x2710
	s_cselect_b32 s77, -1, 0
	s_and_b32 vcc_lo, exec_lo, s77
	s_cbranch_vccz .LBB12_2935
; %bb.2934:                             ;   in Loop: Header=BB12_2933 Depth=3
	s_mov_b32 s79, -1
	s_or_b32 s75, s75, exec_lo
	s_and_saveexec_b32 s78, s77
	s_cbranch_execz .LBB12_2932
	s_branch .LBB12_2936
.LBB12_2935:                            ;   in Loop: Header=BB12_2933 Depth=3
	s_trap 2
	ds_load_b64 v[4:5], v0
	s_and_not1_b32 s77, s77, exec_lo
	s_mov_b32 s76, 0
	s_wait_storecnt 0x0
	s_wait_loadcnt_dscnt 0x0
	flat_load_b32 v1, v[4:5] scope:SCOPE_SYS
	s_wait_loadcnt_dscnt 0x0
	global_inv scope:SCOPE_SYS
	v_cmp_eq_u32_e32 vcc_lo, 0, v1
	s_and_b32 s78, vcc_lo, exec_lo
	s_delay_alu instid0(SALU_CYCLE_1)
	s_or_b32 s77, s77, s78
	s_mov_b32 s79, -1
	s_or_b32 s75, s75, exec_lo
	s_and_saveexec_b32 s78, s77
	s_cbranch_execz .LBB12_2932
.LBB12_2936:                            ;   in Loop: Header=BB12_2933 Depth=3
	s_sleep 1
	s_trap 2
	ds_load_b64 v[4:5], v0
	s_wait_dscnt 0x0
	s_and_not1_b32 s75, s75, exec_lo
	v_cmp_ge_u64_e32 vcc_lo, v[4:5], v[56:57]
	s_or_not1_b32 s79, vcc_lo, exec_lo
	s_branch .LBB12_2932
.LBB12_2937:                            ;   in Loop: Header=BB12_2876 Depth=2
	s_or_b32 exec_lo, exec_lo, s41
	s_and_saveexec_b32 s41, s74
	s_delay_alu instid0(SALU_CYCLE_1)
	s_xor_b32 s41, exec_lo, s41
	s_cbranch_execz .LBB12_2939
; %bb.2938:                             ;   in Loop: Header=BB12_2876 Depth=2
	v_mov_b32_e32 v1, 1
	ds_store_b32 v0, v1
	s_trap 2
.LBB12_2939:                            ;   in Loop: Header=BB12_2876 Depth=2
	s_or_b32 exec_lo, exec_lo, s40
	;;#ASMSTART
	s_wakeup
	;;#ASMEND
.LBB12_2940:                            ;   in Loop: Header=BB12_2876 Depth=2
	s_or_b32 exec_lo, exec_lo, s27
.LBB12_2941:                            ;   in Loop: Header=BB12_2876 Depth=2
	s_and_not1_saveexec_b32 s18, s18
	s_cbranch_execz .LBB12_2943
; %bb.2942:                             ;   in Loop: Header=BB12_2876 Depth=2
	;;#ASMSTART
	s_waitcnt lgkmcnt(0) vmcnt(0)
	;;#ASMEND
	s_barrier_signal -1
	s_barrier_wait -1
.LBB12_2943:                            ;   in Loop: Header=BB12_2876 Depth=2
	s_or_b32 exec_lo, exec_lo, s18
.LBB12_2944:                            ;   in Loop: Header=BB12_2876 Depth=2
	s_delay_alu instid0(SALU_CYCLE_1) | instskip(SKIP_2) | instid1(SALU_CYCLE_1)
	s_or_b32 exec_lo, exec_lo, s13
	v_cmp_ne_u32_e32 vcc_lo, 0, v0
	s_xor_b32 s13, s4, -1
	s_and_b32 s18, vcc_lo, s13
	s_delay_alu instid0(SALU_CYCLE_1)
	s_and_saveexec_b32 s13, s18
	s_cbranch_execz .LBB12_2946
; %bb.2945:                             ;   in Loop: Header=BB12_2876 Depth=2
	scratch_load_b64 v[0:1], off, s33 offset:288 ; 8-byte Folded Reload
	v_mov_b32_e32 v2, 1
	global_wb scope:SCOPE_SYS
	s_wait_storecnt 0x0
	s_wait_xcnt 0x0
	s_wait_loadcnt_dscnt 0x0
	flat_store_b32 v[0:1], v2 scope:SCOPE_SYS
.LBB12_2946:                            ;   in Loop: Header=BB12_2876 Depth=2
	s_wait_xcnt 0x0
	s_or_b32 exec_lo, exec_lo, s13
	v_and_b32_e32 v0, 48, v126
	s_mov_b32 s13, exec_lo
	s_delay_alu instid0(VALU_DEP_1)
	v_cmpx_ne_u32_e32 0, v0
	s_cbranch_execz .LBB12_2875
; %bb.2947:                             ;   in Loop: Header=BB12_2876 Depth=2
	v_add_nc_u64_e32 v[116:117], 2, v[116:117]
	global_wb scope:SCOPE_SYS
	s_wait_storecnt 0x0
	s_wait_loadcnt_dscnt 0x0
	flat_store_b64 v[40:41], v[116:117] scope:SCOPE_SYS
	s_branch .LBB12_2875
.LBB12_2948:                            ;   in Loop: Header=BB12_47 Depth=1
	s_or_b32 exec_lo, exec_lo, s15
.LBB12_2949:                            ;   in Loop: Header=BB12_47 Depth=1
	s_delay_alu instid0(SALU_CYCLE_1) | instskip(NEXT) | instid1(SALU_CYCLE_1)
	s_or_b32 exec_lo, exec_lo, s14
	s_and_not1_b32 vcc_lo, exec_lo, s46
	s_cbranch_vccnz .LBB12_3272
; %bb.2950:                             ;   in Loop: Header=BB12_47 Depth=1
	s_mov_b32 s18, 1
.LBB12_2951:                            ;   Parent Loop BB12_47 Depth=1
                                        ; =>  This Loop Header: Depth=2
                                        ;       Child Loop BB12_2954 Depth 3
                                        ;         Child Loop BB12_2962 Depth 4
                                        ;         Child Loop BB12_2990 Depth 4
	;; [unrolled: 1-line block ×5, first 2 shown]
                                        ;           Child Loop BB12_3052 Depth 5
                                        ;           Child Loop BB12_3057 Depth 5
                                        ;         Child Loop BB12_3063 Depth 4
                                        ;         Child Loop BB12_3071 Depth 4
	;; [unrolled: 1-line block ×3, first 2 shown]
                                        ;           Child Loop BB12_3083 Depth 5
                                        ;           Child Loop BB12_3088 Depth 5
                                        ;         Child Loop BB12_3092 Depth 4
                                        ;         Child Loop BB12_3104 Depth 4
	;; [unrolled: 1-line block ×7, first 2 shown]
                                        ;       Child Loop BB12_3197 Depth 3
                                        ;         Child Loop BB12_3203 Depth 4
                                        ;         Child Loop BB12_3231 Depth 4
	;; [unrolled: 1-line block ×3, first 2 shown]
	s_clause 0x1
	scratch_load_b64 v[4:5], off, s33 offset:352
	scratch_load_b64 v[0:1], off, s33 offset:344
	s_sub_co_i32 s13, s44, s18
	s_mov_b32 s74, 0
	s_cmp_ge_i32 s13, s16
	s_cselect_b32 s14, s16, 0
	s_delay_alu instid0(SALU_CYCLE_1) | instskip(NEXT) | instid1(SALU_CYCLE_1)
	s_sub_co_i32 s14, s13, s14
	s_ashr_i32 s15, s14, 31
	s_wait_loadcnt 0x1
	v_mul_u64_e32 v[8:9], s[14:15], v[4:5]
	s_wait_loadcnt 0x0
	s_delay_alu instid0(VALU_DEP_1) | instskip(NEXT) | instid1(VALU_DEP_1)
	v_sub_nc_u64_e32 v[0:1], v[0:1], v[8:9]
	v_min_i64 v[0:1], v[4:5], v[0:1]
	s_delay_alu instid0(VALU_DEP_1) | instskip(SKIP_1) | instid1(VALU_DEP_2)
	v_dual_mov_b32 v4, 0 :: v_dual_max_i32 v30, 0, v0
	v_cmp_lt_i32_e32 vcc_lo, 0, v0
	v_add_nc_u32_e32 v1, 31, v30
	s_and_b32 s13, s63, vcc_lo
	s_delay_alu instid0(VALU_DEP_1) | instskip(NEXT) | instid1(VALU_DEP_1)
	v_lshrrev_b32_e32 v1, 1, v1
	v_and_b32_e32 v2, 0x3ffffff0, v1
	s_delay_alu instid0(VALU_DEP_1)
	v_dual_mov_b32 v1, 0 :: v_dual_max_i32 v0, s45, v2
	s_wait_xcnt 0x0
	s_and_saveexec_b32 s27, s13
	s_cbranch_execz .LBB12_3194
; %bb.2952:                             ;   in Loop: Header=BB12_2951 Depth=2
	scratch_load_b64 v[4:5], off, s33 offset:320 ; 8-byte Folded Reload
	s_mov_b32 s76, 1
	s_mov_b32 s75, -1
	s_wait_loadcnt 0x0
	v_add_nc_u64_e32 v[4:5], v[8:9], v[4:5]
	s_delay_alu instid0(VALU_DEP_1)
	v_lshlrev_b64_e32 v[28:29], 1, v[4:5]
	v_mov_b32_e32 v4, 0
	s_branch .LBB12_2954
.LBB12_2953:                            ;   in Loop: Header=BB12_2954 Depth=3
	s_wait_xcnt 0x0
	s_or_b32 exec_lo, exec_lo, s13
	v_dual_mov_b32 v1, s76 :: v_dual_add_nc_u32 v4, v0, v4
	s_xor_b32 s13, s75, -1
	s_mov_b32 s75, 0
	s_mov_b32 s76, 2
	s_delay_alu instid0(VALU_DEP_1) | instskip(SKIP_1) | instid1(SALU_CYCLE_1)
	v_cmp_ge_i32_e32 vcc_lo, v4, v30
	s_or_b32 s13, s13, vcc_lo
	s_and_b32 s13, exec_lo, s13
	s_delay_alu instid0(SALU_CYCLE_1) | instskip(NEXT) | instid1(SALU_CYCLE_1)
	s_or_b32 s74, s13, s74
	s_and_not1_b32 exec_lo, exec_lo, s74
	s_cbranch_execz .LBB12_3193
.LBB12_2954:                            ;   Parent Loop BB12_47 Depth=1
                                        ;     Parent Loop BB12_2951 Depth=2
                                        ; =>    This Loop Header: Depth=3
                                        ;         Child Loop BB12_2962 Depth 4
                                        ;         Child Loop BB12_2990 Depth 4
	;; [unrolled: 1-line block ×5, first 2 shown]
                                        ;           Child Loop BB12_3052 Depth 5
                                        ;           Child Loop BB12_3057 Depth 5
                                        ;         Child Loop BB12_3063 Depth 4
                                        ;         Child Loop BB12_3071 Depth 4
	;; [unrolled: 1-line block ×3, first 2 shown]
                                        ;           Child Loop BB12_3083 Depth 5
                                        ;           Child Loop BB12_3088 Depth 5
                                        ;         Child Loop BB12_3092 Depth 4
                                        ;         Child Loop BB12_3104 Depth 4
	;; [unrolled: 1-line block ×7, first 2 shown]
	s_wait_xcnt 0x0
	s_and_saveexec_b32 s13, s0
	s_cbranch_execz .LBB12_2956
; %bb.2955:                             ;   in Loop: Header=BB12_2954 Depth=3
	s_trap 2
	s_wait_loadcnt 0x0
	ds_load_b128 v[6:9], v0
	s_wait_dscnt 0x0
	v_cmp_ne_u64_e32 vcc_lo, 0, v[8:9]
	v_ashrrev_i32_e32 v5, 31, v4
	v_add_nc_u64_e32 v[12:13], v[8:9], v[28:29]
	v_add_nc_u64_e32 v[6:7], v[6:7], v[28:29]
	s_delay_alu instid0(VALU_DEP_3) | instskip(NEXT) | instid1(VALU_DEP_1)
	v_lshlrev_b64_e32 v[10:11], 1, v[4:5]
	v_add_nc_u64_e32 v[12:13], v[12:13], v[10:11]
	s_delay_alu instid0(VALU_DEP_3) | instskip(NEXT) | instid1(VALU_DEP_2)
	v_add_nc_u64_e32 v[6:7], v[6:7], v[10:11]
	v_dual_cndmask_b32 v9, 0, v13 :: v_dual_cndmask_b32 v8, 0, v12
	ds_store_b64 v0, v[6:7]
	ds_store_b64 v0, v[8:9]
.LBB12_2956:                            ;   in Loop: Header=BB12_2954 Depth=3
	s_or_b32 exec_lo, exec_lo, s13
	v_dual_sub_nc_u32 v1, v30, v4 :: v_dual_bitop2_b32 v2, 12, v126 bitop3:0x40
	s_mov_b32 s14, exec_lo
	s_delay_alu instid0(VALU_DEP_1) | instskip(NEXT) | instid1(VALU_DEP_2)
	v_min_i32_e32 v0, v0, v1
	v_cmpx_ne_u32_e32 0, v2
	s_cbranch_execz .LBB12_2982
; %bb.2957:                             ;   in Loop: Header=BB12_2954 Depth=3
	v_and_b32_e32 v2, 8, v126
	s_wait_loadcnt 0x0
	v_add_nc_u64_e32 v[8:9], 2, v[116:117]
	s_mov_b32 s15, exec_lo
	s_wait_dscnt 0x1
	v_add_nc_u64_e32 v[6:7], v[58:59], v[2:3]
	s_delay_alu instid0(VALU_DEP_1)
	v_cmpx_lt_u64_e64 v[6:7], v[8:9]
	s_cbranch_execz .LBB12_2969
; %bb.2958:                             ;   in Loop: Header=BB12_2954 Depth=3
	v_and_b32_e32 v1, 64, v126
	s_mov_b32 s40, 0
	s_mov_b32 s79, 0
                                        ; implicit-def: $sgpr41
                                        ; implicit-def: $sgpr77
                                        ; implicit-def: $sgpr78
	s_delay_alu instid0(VALU_DEP_1)
	v_cmp_eq_u32_e32 vcc_lo, 0, v1
	s_branch .LBB12_2962
.LBB12_2959:                            ;   in Loop: Header=BB12_2962 Depth=4
	s_wait_loadcnt_dscnt 0x0
	v_add_nc_u64_e32 v[6:7], v[58:59], v[2:3]
	s_or_b32 s90, s90, exec_lo
	s_delay_alu instid0(VALU_DEP_1)
	v_cmp_ge_u64_e64 s13, v[6:7], v[8:9]
	s_or_not1_b32 s89, s13, exec_lo
.LBB12_2960:                            ;   in Loop: Header=BB12_2962 Depth=4
	s_or_b32 exec_lo, exec_lo, s92
	s_delay_alu instid0(SALU_CYCLE_1)
	s_and_not1_b32 s13, s78, exec_lo
	s_and_b32 s78, s90, exec_lo
	s_and_not1_b32 s77, s77, exec_lo
	s_and_b32 s89, s89, exec_lo
	s_or_b32 s78, s13, s78
	s_or_b32 s77, s77, s89
.LBB12_2961:                            ;   in Loop: Header=BB12_2962 Depth=4
	s_or_b32 exec_lo, exec_lo, s88
	s_delay_alu instid0(SALU_CYCLE_1) | instskip(NEXT) | instid1(SALU_CYCLE_1)
	s_and_b32 s13, exec_lo, s77
	s_or_b32 s40, s13, s40
	s_and_not1_b32 s13, s41, exec_lo
	s_and_b32 s41, s78, exec_lo
	s_delay_alu instid0(SALU_CYCLE_1)
	s_or_b32 s41, s13, s41
	s_and_not1_b32 exec_lo, exec_lo, s40
	s_cbranch_execz .LBB12_2966
.LBB12_2962:                            ;   Parent Loop BB12_47 Depth=1
                                        ;     Parent Loop BB12_2951 Depth=2
                                        ;       Parent Loop BB12_2954 Depth=3
                                        ; =>      This Inner Loop Header: Depth=4
	s_sleep 1
	s_wait_loadcnt_dscnt 0x0
	flat_load_b64 v[58:59], v[40:41] scope:SCOPE_SYS
	s_or_b32 s78, s78, exec_lo
	s_or_b32 s77, s77, exec_lo
                                        ; implicit-def: $vgpr1
	s_wait_xcnt 0x0
	s_and_saveexec_b32 s88, vcc_lo
	s_cbranch_execz .LBB12_2961
; %bb.2963:                             ;   in Loop: Header=BB12_2962 Depth=4
	s_cmp_lt_i32 s79, 0x270f
	s_mov_b32 s89, -1
	s_cselect_b32 s91, -1, 0
	s_cmp_gt_i32 s79, 0x270e
	s_cbranch_scc0 .LBB12_2965
; %bb.2964:                             ;   in Loop: Header=BB12_2962 Depth=4
	s_trap 2
	ds_load_b64 v[6:7], v0
	s_and_not1_b32 s79, s91, exec_lo
	s_mov_b32 s90, 0
	s_wait_storecnt 0x0
	s_wait_loadcnt_dscnt 0x0
	flat_load_b32 v1, v[6:7] scope:SCOPE_SYS
	s_wait_loadcnt_dscnt 0x0
	global_inv scope:SCOPE_SYS
	v_cmp_eq_u32_e64 s13, 0, v1
	s_and_b32 s13, s13, exec_lo
	s_delay_alu instid0(SALU_CYCLE_1)
	s_or_b32 s91, s79, s13
	s_mov_b32 s79, 0
	s_and_saveexec_b32 s92, s91
	s_cbranch_execz .LBB12_2960
	s_branch .LBB12_2959
.LBB12_2965:                            ;   in Loop: Header=BB12_2962 Depth=4
	s_add_co_i32 s79, s79, 1
	s_mov_b32 s90, -1
                                        ; implicit-def: $vgpr1
	s_and_saveexec_b32 s92, s91
	s_cbranch_execz .LBB12_2960
	s_branch .LBB12_2959
.LBB12_2966:                            ;   in Loop: Header=BB12_2954 Depth=3
	s_or_b32 exec_lo, exec_lo, s40
	s_xor_b32 s13, s41, -1
	s_delay_alu instid0(SALU_CYCLE_1) | instskip(NEXT) | instid1(SALU_CYCLE_1)
	s_and_saveexec_b32 s40, s13
	s_xor_b32 s13, exec_lo, s40
	s_cbranch_execz .LBB12_2968
; %bb.2967:                             ;   in Loop: Header=BB12_2954 Depth=3
	v_or_b32_e32 v126, 64, v126
	s_wait_storecnt 0x0
	s_wait_loadcnt_dscnt 0x0
	ds_store_b32 v0, v1
	s_trap 2
.LBB12_2968:                            ;   in Loop: Header=BB12_2954 Depth=3
	s_or_b32 exec_lo, exec_lo, s13
.LBB12_2969:                            ;   in Loop: Header=BB12_2954 Depth=3
	s_delay_alu instid0(SALU_CYCLE_1) | instskip(SKIP_3) | instid1(VALU_DEP_1)
	s_or_b32 exec_lo, exec_lo, s15
	v_and_b32_e32 v1, 0x108, v126
	s_mov_b32 s13, exec_lo
	;;#ASMSTART
	s_wakeup
	;;#ASMEND
                                        ; implicit-def: $vgpr10_vgpr11
	v_cmpx_ne_u32_e32 0x108, v1
	s_xor_b32 s13, exec_lo, s13
; %bb.2970:                             ;   in Loop: Header=BB12_2954 Depth=3
	v_dual_mov_b32 v11, v3 :: v_dual_bitop2_b32 v10, 7, v116 bitop3:0x40
                                        ; implicit-def: $vgpr116_vgpr117
; %bb.2971:                             ;   in Loop: Header=BB12_2954 Depth=3
	s_and_not1_saveexec_b32 s13, s13
	s_cbranch_execz .LBB12_2973
; %bb.2972:                             ;   in Loop: Header=BB12_2954 Depth=3
	scratch_load_b128 v[12:15], off, s33 offset:272 ; 16-byte Folded Reload
	v_dual_mov_b32 v11, v3 :: v_dual_bitop2_b32 v10, 7, v116 bitop3:0x40
	v_ashrrev_i32_e32 v1, 31, v0
	s_wait_loadcnt 0x0
	s_delay_alu instid0(VALU_DEP_2) | instskip(NEXT) | instid1(VALU_DEP_2)
	v_mad_nc_u64_u32 v[6:7], v10, 24, v[12:13]
	v_lshlrev_b64_e32 v[12:13], 1, v[0:1]
	flat_store_b64 v[6:7], v[12:13] offset:8
.LBB12_2973:                            ;   in Loop: Header=BB12_2954 Depth=3
	s_wait_xcnt 0x0
	s_or_b32 exec_lo, exec_lo, s13
	v_and_b32_e32 v1, 0x100, v126
	s_mov_b32 s13, -1
	s_mov_b32 s15, exec_lo
                                        ; implicit-def: $vgpr12_vgpr13
	s_delay_alu instid0(VALU_DEP_1)
	v_cmpx_ne_u32_e32 0, v1
	s_cbranch_execz .LBB12_2977
; %bb.2974:                             ;   in Loop: Header=BB12_2954 Depth=3
	scratch_load_b128 v[12:15], off, s33 offset:272 ; 16-byte Folded Reload
	s_mov_b32 s40, exec_lo
	s_wait_loadcnt 0x0
	v_mad_nc_u64_u32 v[14:15], v10, 24, v[12:13]
                                        ; implicit-def: $vgpr12_vgpr13
	s_delay_alu instid0(VALU_DEP_1)
	v_mad_u32 v15, v11, 24, v15
	flat_load_b32 v1, v[14:15]
	s_wait_loadcnt_dscnt 0x0
	v_cmp_ne_u32_e32 vcc_lo, 1, v1
	s_wait_xcnt 0x0
	v_cmpx_eq_u32_e32 1, v1
	s_cbranch_execz .LBB12_2976
; %bb.2975:                             ;   in Loop: Header=BB12_2954 Depth=3
	flat_load_b32 v6, v[14:15] offset:4 scope:SCOPE_SYS
	s_wait_loadcnt_dscnt 0x0
	v_ashrrev_i32_e32 v7, 31, v6
	s_delay_alu instid0(VALU_DEP_1)
	v_lshrrev_b64 v[12:13], 1, v[6:7]
.LBB12_2976:                            ;   in Loop: Header=BB12_2954 Depth=3
	s_wait_xcnt 0x0
	s_or_b32 exec_lo, exec_lo, s40
	s_delay_alu instid0(SALU_CYCLE_1)
	s_or_not1_b32 s13, vcc_lo, exec_lo
.LBB12_2977:                            ;   in Loop: Header=BB12_2954 Depth=3
	s_or_b32 exec_lo, exec_lo, s15
	s_and_saveexec_b32 s15, s13
	s_cbranch_execz .LBB12_2979
; %bb.2978:                             ;   in Loop: Header=BB12_2954 Depth=3
	scratch_load_b64 v[6:7], off, s33 offset:296 ; 8-byte Folded Reload
	s_wait_loadcnt 0x0
	v_mul_u64_e32 v[12:13], v[10:11], v[6:7]
.LBB12_2979:                            ;   in Loop: Header=BB12_2954 Depth=3
	s_wait_xcnt 0x0
	s_or_b32 exec_lo, exec_lo, s15
	scratch_load_b64 v[6:7], off, s33 offset:264 ; 8-byte Folded Reload
	v_cmp_eq_u32_e32 vcc_lo, 0, v2
	v_mov_b32_e32 v1, 0x88
	v_and_b32_e32 v2, 0x2000, v126
	s_mov_b32 s13, exec_lo
	s_delay_alu instid0(VALU_DEP_2) | instskip(NEXT) | instid1(VALU_DEP_1)
	v_cndmask_b32_e32 v1, 0xd0, v1, vcc_lo
	v_add_nc_u32_e32 v1, v0, v1
	s_wait_loadcnt 0x0
	v_lshl_add_u64 v[6:7], v[12:13], 1, v[6:7]
	ds_store_b64 v1, v[6:7] offset:584
	s_wait_xcnt 0x0
	v_cmpx_ne_u32_e32 0, v2
	s_cbranch_execz .LBB12_2981
; %bb.2980:                             ;   in Loop: Header=BB12_2954 Depth=3
	ds_load_b64 v[6:7], v0 offset:872
	s_wait_dscnt 0x0
	v_add_nc_u64_e32 v[6:7], 1, v[6:7]
	ds_store_b64 v0, v[6:7] offset:872
.LBB12_2981:                            ;   in Loop: Header=BB12_2954 Depth=3
	s_or_b32 exec_lo, exec_lo, s13
	v_mov_b64_e32 v[116:117], v[8:9]
.LBB12_2982:                            ;   in Loop: Header=BB12_2954 Depth=3
	s_or_b32 exec_lo, exec_lo, s14
	s_and_saveexec_b32 s13, s2
	s_cbranch_execz .LBB12_3001
; %bb.2983:                             ;   in Loop: Header=BB12_2954 Depth=3
	s_and_saveexec_b32 s14, s3
	s_delay_alu instid0(SALU_CYCLE_1)
	s_xor_b32 s14, exec_lo, s14
	s_cbranch_execz .LBB12_2998
; %bb.2984:                             ;   in Loop: Header=BB12_2954 Depth=3
	s_and_saveexec_b32 s15, s6
	s_cbranch_execz .LBB12_2997
; %bb.2985:                             ;   in Loop: Header=BB12_2954 Depth=3
	s_mov_b32 s41, exec_lo
	s_mov_b32 s40, exec_lo
	v_mbcnt_lo_u32_b32 v1, s41, 0
	global_wb scope:SCOPE_DEV
	s_wait_storecnt_dscnt 0x0
	global_inv scope:SCOPE_DEV
	v_cmpx_eq_u32_e32 0, v1
	s_cbranch_execz .LBB12_2987
; %bb.2986:                             ;   in Loop: Header=BB12_2954 Depth=3
	s_bcnt1_i32_b32 s41, s41
	s_delay_alu instid0(SALU_CYCLE_1)
	v_mov_b32_e32 v2, s41
	s_wait_loadcnt 0x0
	ds_add_u64 v0, v[2:3]
	s_trap 2
.LBB12_2987:                            ;   in Loop: Header=BB12_2954 Depth=3
	s_or_b32 exec_lo, exec_lo, s40
	s_trap 2
	ds_load_b64 v[6:7], v0
	s_wait_dscnt 0x0
	v_add_nc_u64_e32 v[56:57], v[56:57], v[60:61]
	s_mov_b32 s40, exec_lo
	s_delay_alu instid0(VALU_DEP_1)
	v_cmpx_lt_u64_e64 v[6:7], v[56:57]
	s_cbranch_execz .LBB12_2996
; %bb.2988:                             ;   in Loop: Header=BB12_2954 Depth=3
	s_mov_b32 s41, 0
	s_mov_b32 s79, 0
                                        ; implicit-def: $sgpr77
                                        ; implicit-def: $sgpr78
	s_branch .LBB12_2990
.LBB12_2989:                            ;   in Loop: Header=BB12_2990 Depth=4
	s_or_b32 exec_lo, exec_lo, s89
	s_delay_alu instid0(SALU_CYCLE_1) | instskip(NEXT) | instid1(SALU_CYCLE_1)
	s_and_b32 s88, exec_lo, s90
	s_or_b32 s41, s88, s41
	s_and_not1_b32 s77, s77, exec_lo
	s_and_b32 s88, s78, exec_lo
	s_delay_alu instid0(SALU_CYCLE_1)
	s_or_b32 s77, s77, s88
	s_and_not1_b32 exec_lo, exec_lo, s41
	s_cbranch_execz .LBB12_2994
.LBB12_2990:                            ;   Parent Loop BB12_47 Depth=1
                                        ;     Parent Loop BB12_2951 Depth=2
                                        ;       Parent Loop BB12_2954 Depth=3
                                        ; =>      This Inner Loop Header: Depth=4
	s_add_co_i32 s79, s79, 1
	s_delay_alu instid0(SALU_CYCLE_1) | instskip(SKIP_1) | instid1(SALU_CYCLE_1)
	s_cmp_lg_u32 s79, 0x2710
	s_cselect_b32 s88, -1, 0
	s_and_b32 vcc_lo, exec_lo, s88
	s_cbranch_vccz .LBB12_2992
; %bb.2991:                             ;   in Loop: Header=BB12_2990 Depth=4
	s_mov_b32 s90, -1
	s_or_b32 s78, s78, exec_lo
	s_and_saveexec_b32 s89, s88
	s_cbranch_execz .LBB12_2989
	s_branch .LBB12_2993
.LBB12_2992:                            ;   in Loop: Header=BB12_2990 Depth=4
	s_trap 2
	ds_load_b64 v[6:7], v0
	s_and_not1_b32 s88, s88, exec_lo
	s_mov_b32 s79, 0
	s_wait_loadcnt_dscnt 0x0
	flat_load_b32 v1, v[6:7] scope:SCOPE_SYS
	s_wait_loadcnt_dscnt 0x0
	global_inv scope:SCOPE_SYS
	v_cmp_eq_u32_e32 vcc_lo, 0, v1
	s_and_b32 s89, vcc_lo, exec_lo
	s_delay_alu instid0(SALU_CYCLE_1)
	s_or_b32 s88, s88, s89
	s_mov_b32 s90, -1
	s_or_b32 s78, s78, exec_lo
	s_wait_xcnt 0x0
	s_and_saveexec_b32 s89, s88
	s_cbranch_execz .LBB12_2989
.LBB12_2993:                            ;   in Loop: Header=BB12_2990 Depth=4
	s_sleep 1
	s_trap 2
	ds_load_b64 v[6:7], v0
	s_wait_dscnt 0x0
	s_and_not1_b32 s78, s78, exec_lo
	v_cmp_ge_u64_e32 vcc_lo, v[6:7], v[56:57]
	s_or_not1_b32 s90, vcc_lo, exec_lo
	s_branch .LBB12_2989
.LBB12_2994:                            ;   in Loop: Header=BB12_2954 Depth=3
	s_or_b32 exec_lo, exec_lo, s41
	s_and_saveexec_b32 s41, s77
	s_delay_alu instid0(SALU_CYCLE_1)
	s_xor_b32 s41, exec_lo, s41
	s_cbranch_execz .LBB12_2996
; %bb.2995:                             ;   in Loop: Header=BB12_2954 Depth=3
	v_mov_b32_e32 v1, 1
	ds_store_b32 v0, v1
	s_trap 2
.LBB12_2996:                            ;   in Loop: Header=BB12_2954 Depth=3
	s_or_b32 exec_lo, exec_lo, s40
	;;#ASMSTART
	s_wakeup
	;;#ASMEND
.LBB12_2997:                            ;   in Loop: Header=BB12_2954 Depth=3
	s_or_b32 exec_lo, exec_lo, s15
.LBB12_2998:                            ;   in Loop: Header=BB12_2954 Depth=3
	s_and_not1_saveexec_b32 s14, s14
	s_cbranch_execz .LBB12_3000
; %bb.2999:                             ;   in Loop: Header=BB12_2954 Depth=3
	global_wb scope:SCOPE_DEV
	s_wait_storecnt 0x0
	s_wait_loadcnt_dscnt 0x0
	global_inv scope:SCOPE_DEV
	s_barrier_signal -1
	s_barrier_wait -1
.LBB12_3000:                            ;   in Loop: Header=BB12_2954 Depth=3
	s_or_b32 exec_lo, exec_lo, s14
.LBB12_3001:                            ;   in Loop: Header=BB12_2954 Depth=3
	s_delay_alu instid0(SALU_CYCLE_1) | instskip(SKIP_4) | instid1(VALU_DEP_1)
	s_or_b32 exec_lo, exec_lo, s13
	s_trap 2
	ds_load_b32 v1, v0
	v_and_b32_e32 v2, 0x4000, v126
	s_xor_b32 s13, s1, -1
	v_cmp_ne_u32_e32 vcc_lo, 0, v2
	s_and_b32 s14, s13, vcc_lo
	s_delay_alu instid0(SALU_CYCLE_1)
	s_and_saveexec_b32 s13, s14
	s_cbranch_execz .LBB12_3020
; %bb.3002:                             ;   in Loop: Header=BB12_2954 Depth=3
	s_and_saveexec_b32 s14, s3
	s_delay_alu instid0(SALU_CYCLE_1)
	s_xor_b32 s14, exec_lo, s14
	s_cbranch_execz .LBB12_3017
; %bb.3003:                             ;   in Loop: Header=BB12_2954 Depth=3
	s_and_saveexec_b32 s15, s6
	s_cbranch_execz .LBB12_3016
; %bb.3004:                             ;   in Loop: Header=BB12_2954 Depth=3
	s_mov_b32 s41, exec_lo
	s_mov_b32 s40, exec_lo
	v_mbcnt_lo_u32_b32 v2, s41, 0
	global_wb scope:SCOPE_DEV
	s_wait_storecnt 0x0
	s_wait_loadcnt_dscnt 0x0
	global_inv scope:SCOPE_DEV
	v_cmpx_eq_u32_e32 0, v2
	s_cbranch_execz .LBB12_3006
; %bb.3005:                             ;   in Loop: Header=BB12_2954 Depth=3
	s_bcnt1_i32_b32 s41, s41
	s_delay_alu instid0(SALU_CYCLE_1)
	v_mov_b32_e32 v2, s41
	s_wait_loadcnt 0x0
	ds_add_u64 v0, v[2:3]
	s_trap 2
.LBB12_3006:                            ;   in Loop: Header=BB12_2954 Depth=3
	s_or_b32 exec_lo, exec_lo, s40
	s_trap 2
	ds_load_b64 v[6:7], v0
	s_wait_dscnt 0x0
	v_add_nc_u64_e32 v[56:57], v[56:57], v[60:61]
	s_mov_b32 s40, exec_lo
	s_delay_alu instid0(VALU_DEP_1)
	v_cmpx_lt_u64_e64 v[6:7], v[56:57]
	s_cbranch_execz .LBB12_3015
; %bb.3007:                             ;   in Loop: Header=BB12_2954 Depth=3
	s_mov_b32 s41, 0
	s_mov_b32 s79, 0
                                        ; implicit-def: $sgpr77
                                        ; implicit-def: $sgpr78
	s_branch .LBB12_3009
.LBB12_3008:                            ;   in Loop: Header=BB12_3009 Depth=4
	s_or_b32 exec_lo, exec_lo, s89
	s_delay_alu instid0(SALU_CYCLE_1) | instskip(NEXT) | instid1(SALU_CYCLE_1)
	s_and_b32 s88, exec_lo, s90
	s_or_b32 s41, s88, s41
	s_and_not1_b32 s77, s77, exec_lo
	s_and_b32 s88, s78, exec_lo
	s_delay_alu instid0(SALU_CYCLE_1)
	s_or_b32 s77, s77, s88
	s_and_not1_b32 exec_lo, exec_lo, s41
	s_cbranch_execz .LBB12_3013
.LBB12_3009:                            ;   Parent Loop BB12_47 Depth=1
                                        ;     Parent Loop BB12_2951 Depth=2
                                        ;       Parent Loop BB12_2954 Depth=3
                                        ; =>      This Inner Loop Header: Depth=4
	s_add_co_i32 s79, s79, 1
	s_delay_alu instid0(SALU_CYCLE_1) | instskip(SKIP_1) | instid1(SALU_CYCLE_1)
	s_cmp_lg_u32 s79, 0x2710
	s_cselect_b32 s88, -1, 0
	s_and_b32 vcc_lo, exec_lo, s88
	s_cbranch_vccz .LBB12_3011
; %bb.3010:                             ;   in Loop: Header=BB12_3009 Depth=4
	s_mov_b32 s90, -1
	s_or_b32 s78, s78, exec_lo
	s_and_saveexec_b32 s89, s88
	s_cbranch_execz .LBB12_3008
	s_branch .LBB12_3012
.LBB12_3011:                            ;   in Loop: Header=BB12_3009 Depth=4
	s_trap 2
	ds_load_b64 v[6:7], v0
	s_and_not1_b32 s88, s88, exec_lo
	s_mov_b32 s79, 0
	s_wait_loadcnt_dscnt 0x0
	flat_load_b32 v2, v[6:7] scope:SCOPE_SYS
	s_wait_loadcnt_dscnt 0x0
	global_inv scope:SCOPE_SYS
	v_cmp_eq_u32_e32 vcc_lo, 0, v2
	s_and_b32 s89, vcc_lo, exec_lo
	s_delay_alu instid0(SALU_CYCLE_1)
	s_or_b32 s88, s88, s89
	s_mov_b32 s90, -1
	s_or_b32 s78, s78, exec_lo
	s_wait_xcnt 0x0
	s_and_saveexec_b32 s89, s88
	s_cbranch_execz .LBB12_3008
.LBB12_3012:                            ;   in Loop: Header=BB12_3009 Depth=4
	s_sleep 1
	s_trap 2
	ds_load_b64 v[6:7], v0
	s_wait_dscnt 0x0
	s_and_not1_b32 s78, s78, exec_lo
	v_cmp_ge_u64_e32 vcc_lo, v[6:7], v[56:57]
	s_or_not1_b32 s90, vcc_lo, exec_lo
	s_branch .LBB12_3008
.LBB12_3013:                            ;   in Loop: Header=BB12_2954 Depth=3
	s_or_b32 exec_lo, exec_lo, s41
	s_and_saveexec_b32 s41, s77
	s_delay_alu instid0(SALU_CYCLE_1)
	s_xor_b32 s41, exec_lo, s41
	s_cbranch_execz .LBB12_3015
; %bb.3014:                             ;   in Loop: Header=BB12_2954 Depth=3
	v_mov_b32_e32 v2, 1
	ds_store_b32 v0, v2
	s_trap 2
.LBB12_3015:                            ;   in Loop: Header=BB12_2954 Depth=3
	s_or_b32 exec_lo, exec_lo, s40
	;;#ASMSTART
	s_wakeup
	;;#ASMEND
.LBB12_3016:                            ;   in Loop: Header=BB12_2954 Depth=3
	s_or_b32 exec_lo, exec_lo, s15
.LBB12_3017:                            ;   in Loop: Header=BB12_2954 Depth=3
	s_and_not1_saveexec_b32 s14, s14
	s_cbranch_execz .LBB12_3019
; %bb.3018:                             ;   in Loop: Header=BB12_2954 Depth=3
	global_wb scope:SCOPE_DEV
	s_wait_storecnt 0x0
	s_wait_loadcnt_dscnt 0x0
	global_inv scope:SCOPE_DEV
	s_barrier_signal -1
	s_barrier_wait -1
.LBB12_3019:                            ;   in Loop: Header=BB12_2954 Depth=3
	s_or_b32 exec_lo, exec_lo, s14
.LBB12_3020:                            ;   in Loop: Header=BB12_2954 Depth=3
	s_delay_alu instid0(SALU_CYCLE_1)
	s_or_b32 exec_lo, exec_lo, s13
	s_trap 2
	ds_load_b64 v[118:119], v0
	s_wait_dscnt 0x0
	v_cmp_eq_u64_e32 vcc_lo, 0, v[118:119]
	s_cbranch_vccnz .LBB12_3036
; %bb.3021:                             ;   in Loop: Header=BB12_2954 Depth=3
	s_trap 2
	ds_load_b64 v[72:73], v0
	s_wait_dscnt 0x0
	v_cmp_eq_u64_e32 vcc_lo, 0, v[72:73]
	s_cbranch_vccnz .LBB12_3036
; %bb.3022:                             ;   in Loop: Header=BB12_2954 Depth=3
	s_trap 2
	ds_load_b64 v[52:53], v0
	v_cmp_eq_u32_e32 vcc_lo, 0, v1
	s_mov_b32 s13, -1
	v_cndmask_b32_e32 v1, 0, v0, vcc_lo
	s_delay_alu instid0(VALU_DEP_1)
	v_lshlrev_b32_e32 v2, 1, v1
	s_wait_dscnt 0x0
	v_cmp_ne_u64_e32 vcc_lo, 0, v[52:53]
	s_cbranch_vccz .LBB12_3094
; %bb.3023:                             ;   in Loop: Header=BB12_2954 Depth=3
	s_and_saveexec_b32 s14, s11
	s_cbranch_execz .LBB12_3025
; %bb.3024:                             ;   in Loop: Header=BB12_2954 Depth=3
	ds_load_b32 v5, v0 offset:720
	s_wait_dscnt 0x0
	v_and_b32_e32 v5, 15, v5
	s_delay_alu instid0(VALU_DEP_1)
	v_cmp_eq_u32_e32 vcc_lo, 0, v5
	s_or_not1_b32 s13, vcc_lo, exec_lo
.LBB12_3025:                            ;   in Loop: Header=BB12_2954 Depth=3
	s_or_b32 exec_lo, exec_lo, s14
	s_and_saveexec_b32 s14, s12
	s_cbranch_execz .LBB12_3027
; %bb.3026:                             ;   in Loop: Header=BB12_2954 Depth=3
	ds_load_b32 v5, v0 offset:784
	s_wait_dscnt 0x0
	v_and_b32_e32 v5, 15, v5
	s_delay_alu instid0(VALU_DEP_1) | instskip(SKIP_3) | instid1(SALU_CYCLE_1)
	v_cmp_eq_u32_e32 vcc_lo, 0, v5
	s_and_b32 s15, s13, vcc_lo
	s_and_not1_b32 s13, s13, exec_lo
	s_and_b32 s15, s15, exec_lo
	s_or_b32 s13, s13, s15
.LBB12_3027:                            ;   in Loop: Header=BB12_2954 Depth=3
	s_or_b32 exec_lo, exec_lo, s14
	s_xor_b32 s13, s13, -1
	s_delay_alu instid0(SALU_CYCLE_1) | instskip(SKIP_1) | instid1(VALU_DEP_1)
	v_cndmask_b32_e64 v5, 0, 1, s13
	s_mov_b32 s13, -1
	v_cmp_ne_u32_e32 vcc_lo, 0, v5
	s_cbranch_vccz .LBB12_3041
; %bb.3028:                             ;   in Loop: Header=BB12_2954 Depth=3
	s_mov_b32 s77, -1
	v_mov_b32_e32 v5, 0
	s_cbranch_execnz .LBB12_3042
.LBB12_3029:                            ;   in Loop: Header=BB12_2954 Depth=3
	scratch_load_b32 v6, off, s33 offset:312 ; 4-byte Folded Reload
	s_wait_loadcnt 0x1
	scratch_load_b64 v[8:9], off, s33 offset:328 ; 8-byte Folded Reload
	v_ashrrev_i32_e32 v5, 31, v2
	s_mov_b32 s14, 0
	s_mov_b32 s13, exec_lo
                                        ; implicit-def: $vgpr12_vgpr13
                                        ; implicit-def: $vgpr16_vgpr17
                                        ; implicit-def: $vgpr20_vgpr21
	s_delay_alu instid0(VALU_DEP_1) | instskip(NEXT) | instid1(VALU_DEP_1)
	v_lshrrev_b32_e32 v5, 21, v5
	v_add_nc_u32_e32 v5, v2, v5
	s_delay_alu instid0(VALU_DEP_1) | instskip(SKIP_1) | instid1(VALU_DEP_1)
	v_ashrrev_i32_e32 v5, 11, v5
	s_wait_loadcnt 0x1
	v_sub_nc_u32_e32 v7, v5, v6
	s_wait_loadcnt 0x0
	v_add_nc_u64_e32 v[64:65], v[72:73], v[8:9]
	v_add_nc_u64_e32 v[54:55], v[52:53], v[8:9]
                                        ; implicit-def: $vgpr8_vgpr9
	s_wait_xcnt 0x0
	v_cmpx_lt_i32_e32 0, v7
	s_cbranch_execz .LBB12_3044
; %bb.3030:                             ;   in Loop: Header=BB12_2954 Depth=3
	scratch_load_b64 v[8:9], off, s33 offset:328 ; 8-byte Folded Reload
	s_mov_b32 s40, 0
                                        ; implicit-def: $sgpr15
                                        ; implicit-def: $vgpr12_vgpr13
                                        ; implicit-def: $vgpr16_vgpr17
                                        ; implicit-def: $vgpr20_vgpr21
	s_wait_loadcnt 0x0
	v_add_nc_u64_e32 v[66:67], v[118:119], v[8:9]
                                        ; implicit-def: $vgpr8_vgpr9
	s_branch .LBB12_3032
.LBB12_3031:                            ;   in Loop: Header=BB12_3032 Depth=4
	s_or_b32 exec_lo, exec_lo, s41
	s_wait_loadcnt 0x3
	global_store_b128 v[64:65], v[24:27], off th:TH_STORE_NT
	s_wait_loadcnt 0x2
	global_store_b128 v[64:65], v[32:35], off offset:512 th:TH_STORE_NT
	s_wait_loadcnt 0x1
	global_store_b128 v[64:65], v[36:39], off offset:1024 th:TH_STORE_NT
	;; [unrolled: 2-line block ×3, first 2 shown]
	s_wait_xcnt 0x0
	v_add_nc_u64_e32 v[64:65], 0x800, v[64:65]
	s_clause 0x3
	global_store_b128 v[54:55], v[24:27], off th:TH_STORE_NT
	global_store_b128 v[54:55], v[32:35], off offset:512 th:TH_STORE_NT
	global_store_b128 v[54:55], v[36:39], off offset:1024 th:TH_STORE_NT
	;; [unrolled: 1-line block ×3, first 2 shown]
	s_wait_xcnt 0x3
	v_add_nc_u64_e32 v[24:25], 0x800, v[54:55]
	v_sub_nc_u32_e32 v7, v6, v7
	v_add_nc_u64_e32 v[66:67], v[66:67], v[68:69]
	v_add_nc_u64_e32 v[26:27], v[64:65], v[88:89]
	s_delay_alu instid0(VALU_DEP_3) | instskip(SKIP_3) | instid1(VALU_DEP_3)
	v_cmp_gt_i32_e32 vcc_lo, 1, v7
	s_wait_xcnt 0x2
	v_add_nc_u64_e32 v[32:33], v[24:25], v[88:89]
	s_or_b32 s14, vcc_lo, s14
	v_dual_cndmask_b32 v65, v65, v27, s40 :: v_dual_cndmask_b32 v64, v64, v26, s40
	s_wait_xcnt 0x0
	s_delay_alu instid0(VALU_DEP_2) | instskip(SKIP_2) | instid1(SALU_CYCLE_1)
	v_dual_cndmask_b32 v55, v25, v33, s40 :: v_dual_cndmask_b32 v54, v24, v32, s40
	s_and_not1_b32 s15, s15, exec_lo
	s_and_b32 s41, s40, exec_lo
	s_or_b32 s15, s15, s41
	s_and_not1_b32 exec_lo, exec_lo, s14
	s_cbranch_execz .LBB12_3043
.LBB12_3032:                            ;   Parent Loop BB12_47 Depth=1
                                        ;     Parent Loop BB12_2951 Depth=2
                                        ;       Parent Loop BB12_2954 Depth=3
                                        ; =>      This Inner Loop Header: Depth=4
	s_clause 0x3
	global_load_b128 v[24:27], v[66:67], off th:TH_LOAD_NT
	global_load_b128 v[32:35], v[66:67], off offset:512 th:TH_LOAD_NT
	global_load_b128 v[36:39], v[66:67], off offset:1024 th:TH_LOAD_NT
	;; [unrolled: 1-line block ×3, first 2 shown]
	s_wait_xcnt 0x0
	s_and_saveexec_b32 s41, s40
	s_cbranch_execz .LBB12_3034
; %bb.3033:                             ;   in Loop: Header=BB12_3032 Depth=4
	s_clause 0x3
	global_store_b128 v[64:65], v[8:11], off th:TH_STORE_NT
	global_store_b128 v[64:65], v[12:15], off offset:512 th:TH_STORE_NT
	global_store_b128 v[64:65], v[16:19], off offset:1024 th:TH_STORE_NT
	;; [unrolled: 1-line block ×3, first 2 shown]
	s_clause 0x3
	global_store_b128 v[54:55], v[8:11], off th:TH_STORE_NT
	global_store_b128 v[54:55], v[12:15], off offset:512 th:TH_STORE_NT
	global_store_b128 v[54:55], v[16:19], off offset:1024 th:TH_STORE_NT
	global_store_b128 v[54:55], v[20:23], off offset:1536 th:TH_STORE_NT
	s_wait_xcnt 0x4
	v_add_nc_u64_e32 v[64:65], v[64:65], v[106:107]
	s_wait_xcnt 0x0
	v_add_nc_u64_e32 v[54:55], v[54:55], v[106:107]
.LBB12_3034:                            ;   in Loop: Header=BB12_3032 Depth=4
	s_or_b32 exec_lo, exec_lo, s41
	v_dual_mov_b32 v7, 0 :: v_dual_sub_nc_u32 v6, v7, v60
	v_add_nc_u64_e32 v[66:67], v[66:67], v[106:107]
	v_mov_b64_e32 v[68:69], 0
	s_delay_alu instid0(VALU_DEP_3)
	v_cmp_lt_i32_e64 s40, 0, v6
	s_and_saveexec_b32 s41, s40
	s_cbranch_execz .LBB12_3031
; %bb.3035:                             ;   in Loop: Header=BB12_3032 Depth=4
	s_clause 0x3
	global_load_b128 v[8:11], v[66:67], off th:TH_LOAD_NT
	global_load_b128 v[12:15], v[66:67], off offset:512 th:TH_LOAD_NT
	global_load_b128 v[16:19], v[66:67], off offset:1024 th:TH_LOAD_NT
	;; [unrolled: 1-line block ×3, first 2 shown]
	s_wait_xcnt 0x0
	v_add_nc_u64_e32 v[66:67], 0x800, v[66:67]
	v_mov_b64_e32 v[68:69], v[88:89]
	v_mov_b32_e32 v7, v60
	s_branch .LBB12_3031
.LBB12_3036:                            ;   in Loop: Header=BB12_2954 Depth=3
	s_mov_b32 s13, 0
	s_and_saveexec_b32 s14, s2
	s_cbranch_execnz .LBB12_3152
.LBB12_3037:                            ;   in Loop: Header=BB12_2954 Depth=3
	s_or_b32 exec_lo, exec_lo, s14
                                        ; implicit-def: $vgpr1
	s_and_saveexec_b32 s14, s10
	s_delay_alu instid0(SALU_CYCLE_1)
	s_xor_b32 s14, exec_lo, s14
	s_cbranch_execz .LBB12_3170
.LBB12_3038:                            ;   in Loop: Header=BB12_2954 Depth=3
	v_and_b32_e32 v1, 16, v126
	s_delay_alu instid0(VALU_DEP_1) | instskip(SKIP_2) | instid1(SALU_CYCLE_1)
	v_cmp_ne_u32_e32 vcc_lo, 0, v1
	v_and_b32_e32 v1, 16, v126
	s_and_b32 s15, vcc_lo, s13
	s_and_saveexec_b32 s13, s15
	s_cbranch_execz .LBB12_3040
; %bb.3039:                             ;   in Loop: Header=BB12_2954 Depth=3
	v_mov_b32_e32 v1, 1
	global_wb scope:SCOPE_SYS
	s_wait_storecnt 0x0
	s_wait_loadcnt_dscnt 0x0
	global_inv scope:SCOPE_SYS
.LBB12_3040:                            ;   in Loop: Header=BB12_2954 Depth=3
	s_or_b32 exec_lo, exec_lo, s13
	s_and_not1_saveexec_b32 s13, s14
	s_cbranch_execz .LBB12_3189
	s_branch .LBB12_3171
.LBB12_3041:                            ;   in Loop: Header=BB12_2954 Depth=3
	s_mov_b32 s77, 0
	v_mov_b32_e32 v5, 0
	s_and_not1_b32 vcc_lo, exec_lo, s13
	s_cbranch_vccz .LBB12_3029
.LBB12_3042:                            ;   in Loop: Header=BB12_2954 Depth=3
	s_wait_loadcnt 0x1
	scratch_load_b32 v17, off, s33 offset:316 ; 4-byte Folded Reload
	s_wait_loadcnt 0x1
	scratch_load_b32 v8, off, s33 offset:312 ; 4-byte Folded Reload
	v_mov_b32_e32 v16, v2
	s_wait_xcnt 0x0
	s_and_saveexec_b32 s15, s77
	s_cbranch_execnz .LBB12_3068
	s_branch .LBB12_3093
.LBB12_3043:                            ;   in Loop: Header=BB12_2954 Depth=3
	s_or_b32 exec_lo, exec_lo, s14
	s_delay_alu instid0(SALU_CYCLE_1)
	s_and_b32 s14, s15, exec_lo
.LBB12_3044:                            ;   in Loop: Header=BB12_2954 Depth=3
	s_or_b32 exec_lo, exec_lo, s13
	s_and_saveexec_b32 s13, s14
	s_cbranch_execz .LBB12_3046
; %bb.3045:                             ;   in Loop: Header=BB12_2954 Depth=3
	s_clause 0x3
	global_store_b128 v[64:65], v[8:11], off th:TH_STORE_NT
	global_store_b128 v[64:65], v[12:15], off offset:512 th:TH_STORE_NT
	global_store_b128 v[64:65], v[16:19], off offset:1024 th:TH_STORE_NT
	;; [unrolled: 1-line block ×3, first 2 shown]
	s_clause 0x3
	global_store_b128 v[54:55], v[8:11], off th:TH_STORE_NT
	global_store_b128 v[54:55], v[12:15], off offset:512 th:TH_STORE_NT
	global_store_b128 v[54:55], v[16:19], off offset:1024 th:TH_STORE_NT
	;; [unrolled: 1-line block ×3, first 2 shown]
.LBB12_3046:                            ;   in Loop: Header=BB12_2954 Depth=3
	s_wait_xcnt 0x0
	s_or_b32 exec_lo, exec_lo, s13
	v_lshlrev_b32_e32 v6, 11, v5
	s_mov_b32 s78, exec_lo
                                        ; implicit-def: $vgpr16
                                        ; implicit-def: $vgpr5
                                        ; implicit-def: $vgpr17
                                        ; implicit-def: $vgpr8
	s_delay_alu instid0(VALU_DEP_1)
	v_cmpx_ne_u32_e64 v2, v6
	s_cbranch_execz .LBB12_3067
; %bb.3047:                             ;   in Loop: Header=BB12_2954 Depth=3
	v_lshlrev_b32_e32 v5, 5, v7
	scratch_load_b32 v7, off, s33 offset:316 ; 4-byte Folded Reload
	s_mov_b32 s14, 0
	s_mov_b32 s79, exec_lo
	v_sub_nc_u32_e32 v8, v2, v6
	s_wait_loadcnt 0x0
	s_delay_alu instid0(VALU_DEP_1) | instskip(NEXT) | instid1(VALU_DEP_1)
	v_dual_ashrrev_i32 v10, 31, v8 :: v_dual_sub_nc_u32 v5, v7, v5
	v_ashrrev_i32_e32 v7, 31, v5
	s_delay_alu instid0(VALU_DEP_1) | instskip(NEXT) | instid1(VALU_DEP_1)
	v_lshrrev_b32_e32 v7, 27, v7
	v_add_nc_u32_e32 v7, v5, v7
	s_delay_alu instid0(VALU_DEP_1) | instskip(NEXT) | instid1(VALU_DEP_1)
	v_and_b32_e32 v9, 0xffffffe0, v7
	v_dual_sub_nc_u32 v22, v5, v9 :: v_dual_lshrrev_b32 v5, 23, v10
	s_delay_alu instid0(VALU_DEP_1) | instskip(NEXT) | instid1(VALU_DEP_2)
	v_dual_ashrrev_i32 v9, 5, v7 :: v_dual_lshlrev_b32 v7, 4, v22
	v_add_nc_u32_e32 v5, v8, v5
	s_delay_alu instid0(VALU_DEP_2) | instskip(NEXT) | instid1(VALU_DEP_2)
	v_lshl_add_u32 v12, v9, 9, v7
	v_and_b32_e32 v7, 0xfffffe00, v5
	s_delay_alu instid0(VALU_DEP_2) | instskip(NEXT) | instid1(VALU_DEP_1)
	v_dual_ashrrev_i32 v5, 9, v5 :: v_dual_add_nc_u32 v10, v12, v6
	v_dual_sub_nc_u32 v23, v8, v7 :: v_dual_ashrrev_i32 v11, 31, v10
	s_delay_alu instid0(VALU_DEP_1) | instskip(NEXT) | instid1(VALU_DEP_2)
	v_cmp_lt_i32_e64 s13, 15, v23
	v_add_nc_u64_e32 v[16:17], v[10:11], v[72:73]
	s_delay_alu instid0(VALU_DEP_2) | instskip(SKIP_1) | instid1(VALU_DEP_2)
	v_add_co_ci_u32_e64 v13, null, 0, v5, s13
	v_add_nc_u64_e32 v[18:19], v[10:11], v[52:53]
	v_dual_sub_nc_u32 v5, v8, v12 :: v_dual_sub_nc_u32 v24, v13, v9
                                        ; implicit-def: $vgpr8_vgpr9
	s_wait_xcnt 0x0
	s_delay_alu instid0(VALU_DEP_1)
	v_cmpx_lt_i32_e32 15, v5
	s_cbranch_execz .LBB12_3061
; %bb.3048:                             ;   in Loop: Header=BB12_2954 Depth=3
	v_add_nc_u64_e32 v[20:21], v[10:11], v[118:119]
	s_mov_b32 s90, 0
	s_mov_b32 s88, 0
                                        ; implicit-def: $sgpr89
                                        ; implicit-def: $vgpr8_vgpr9
	s_branch .LBB12_3050
.LBB12_3049:                            ;   in Loop: Header=BB12_3050 Depth=4
	s_or_b32 exec_lo, exec_lo, s14
	s_delay_alu instid0(VALU_DEP_1) | instskip(SKIP_3) | instid1(SALU_CYCLE_1)
	v_cmp_gt_i32_e32 vcc_lo, 16, v5
	s_or_b32 s88, vcc_lo, s88
	s_and_not1_b32 s14, s89, exec_lo
	s_and_b32 s15, s90, exec_lo
	s_or_b32 s89, s14, s15
	s_and_not1_b32 exec_lo, exec_lo, s88
	s_cbranch_execz .LBB12_3060
.LBB12_3050:                            ;   Parent Loop BB12_47 Depth=1
                                        ;     Parent Loop BB12_2951 Depth=2
                                        ;       Parent Loop BB12_2954 Depth=3
                                        ; =>      This Loop Header: Depth=4
                                        ;           Child Loop BB12_3052 Depth 5
                                        ;           Child Loop BB12_3057 Depth 5
	global_load_b128 v[12:15], v[20:21], off th:TH_LOAD_NT
	s_wait_xcnt 0x0
	s_and_saveexec_b32 s91, s90
	s_cbranch_execz .LBB12_3054
; %bb.3051:                             ;   in Loop: Header=BB12_3050 Depth=4
	s_mov_b64 s[40:41], 0
	s_mov_b32 s90, -1
.LBB12_3052:                            ;   Parent Loop BB12_47 Depth=1
                                        ;     Parent Loop BB12_2951 Depth=2
                                        ;       Parent Loop BB12_2954 Depth=3
                                        ;         Parent Loop BB12_3050 Depth=4
                                        ; =>        This Inner Loop Header: Depth=5
	s_cmp_eq_u32 s40, 1
	s_cselect_b32 vcc_lo, -1, 0
	s_cmp_eq_u32 s40, 0
	s_wait_xcnt 0x0
	v_dual_cndmask_b32 v27, v17, v19 :: v_dual_cndmask_b32 v26, v16, v18
	s_cselect_b32 s14, -1, 0
	s_and_b32 s15, exec_lo, s90
	s_mov_b64 s[40:41], 1
	s_mov_b32 s90, 0
	v_add_nc_u64_e32 v[32:33], 0x200, v[26:27]
	global_store_b128 v[26:27], v[8:11], off th:TH_STORE_NT
	v_dual_cndmask_b32 v19, v19, v33 :: v_dual_cndmask_b32 v18, v18, v32
	v_dual_cndmask_b32 v17, v17, v33, s14 :: v_dual_cndmask_b32 v16, v16, v32, s14
	s_mov_b32 vcc_lo, s15
	s_cbranch_vccnz .LBB12_3052
; %bb.3053:                             ;   in Loop: Header=BB12_3050 Depth=4
	s_delay_alu instid0(VALU_DEP_1)
	v_add_nc_u64_e32 v[16:17], v[16:17], v[90:91]
	v_add_nc_u64_e32 v[18:19], v[18:19], v[90:91]
.LBB12_3054:                            ;   in Loop: Header=BB12_3050 Depth=4
	s_wait_xcnt 0x0
	s_or_b32 exec_lo, exec_lo, s91
	v_add_nc_u64_e32 v[26:27], 0x200, v[90:91]
	v_sub_nc_u32_e32 v5, v5, v121
	s_delay_alu instid0(VALU_DEP_1) | instskip(NEXT) | instid1(VALU_DEP_3)
	v_cmp_lt_i32_e64 s90, 15, v5
	v_add_nc_u64_e32 v[20:21], v[26:27], v[20:21]
	s_and_saveexec_b32 s14, s90
	s_cbranch_execz .LBB12_3056
; %bb.3055:                             ;   in Loop: Header=BB12_3050 Depth=4
	global_load_b128 v[8:11], v[20:21], off th:TH_LOAD_NT
	s_wait_xcnt 0x0
	v_add_nc_u64_e32 v[20:21], 0x200, v[20:21]
.LBB12_3056:                            ;   in Loop: Header=BB12_3050 Depth=4
	s_or_b32 exec_lo, exec_lo, s14
	s_mov_b64 s[40:41], 0
	s_mov_b32 s91, -1
.LBB12_3057:                            ;   Parent Loop BB12_47 Depth=1
                                        ;     Parent Loop BB12_2951 Depth=2
                                        ;       Parent Loop BB12_2954 Depth=3
                                        ;         Parent Loop BB12_3050 Depth=4
                                        ; =>        This Inner Loop Header: Depth=5
	s_cmp_eq_u32 s40, 1
	s_cselect_b32 vcc_lo, -1, 0
	s_cmp_eq_u32 s40, 0
	s_wait_xcnt 0x0
	v_dual_cndmask_b32 v27, v17, v19 :: v_dual_cndmask_b32 v26, v16, v18
	s_cselect_b32 s14, -1, 0
	s_and_b32 s15, exec_lo, s91
	s_mov_b64 s[40:41], 1
	s_mov_b32 s91, 0
	v_add_nc_u64_e32 v[32:33], 0x200, v[26:27]
	s_wait_loadcnt 0x0
	global_store_b128 v[26:27], v[12:15], off th:TH_STORE_NT
	v_dual_cndmask_b32 v19, v19, v33 :: v_dual_cndmask_b32 v18, v18, v32
	v_dual_cndmask_b32 v17, v17, v33, s14 :: v_dual_cndmask_b32 v16, v16, v32, s14
	s_mov_b32 vcc_lo, s15
	s_cbranch_vccnz .LBB12_3057
; %bb.3058:                             ;   in Loop: Header=BB12_3050 Depth=4
	v_sub_nc_u32_e32 v24, v24, v60
	s_wait_xcnt 0x0
	s_and_saveexec_b32 s14, s90
	s_cbranch_execz .LBB12_3049
; %bb.3059:                             ;   in Loop: Header=BB12_3050 Depth=4
	v_add_nc_u64_e32 v[16:17], v[16:17], v[90:91]
	v_add_nc_u64_e32 v[18:19], v[18:19], v[90:91]
	;; [unrolled: 1-line block ×3, first 2 shown]
	v_dual_sub_nc_u32 v5, v5, v121 :: v_dual_sub_nc_u32 v24, v24, v60
	s_branch .LBB12_3049
.LBB12_3060:                            ;   in Loop: Header=BB12_2954 Depth=3
	s_or_b32 exec_lo, exec_lo, s88
	s_delay_alu instid0(SALU_CYCLE_1)
	s_and_b32 s14, s89, exec_lo
.LBB12_3061:                            ;   in Loop: Header=BB12_2954 Depth=3
	s_or_b32 exec_lo, exec_lo, s79
	s_and_saveexec_b32 s79, s14
	s_cbranch_execz .LBB12_3064
; %bb.3062:                             ;   in Loop: Header=BB12_2954 Depth=3
	s_mov_b64 s[40:41], 0
	s_mov_b32 s88, -1
.LBB12_3063:                            ;   Parent Loop BB12_47 Depth=1
                                        ;     Parent Loop BB12_2951 Depth=2
                                        ;       Parent Loop BB12_2954 Depth=3
                                        ; =>      This Inner Loop Header: Depth=4
	s_cmp_eq_u32 s40, 1
	s_cselect_b32 vcc_lo, -1, 0
	s_cmp_eq_u32 s40, 0
	s_wait_xcnt 0x0
	v_dual_cndmask_b32 v13, v17, v19 :: v_dual_cndmask_b32 v12, v16, v18
	s_cselect_b32 s14, -1, 0
	s_and_b32 s15, exec_lo, s88
	s_mov_b64 s[40:41], 1
	s_mov_b32 s88, 0
	v_add_nc_u64_e32 v[14:15], 0x200, v[12:13]
	global_store_b128 v[12:13], v[8:11], off th:TH_STORE_NT
	v_dual_cndmask_b32 v19, v19, v15 :: v_dual_cndmask_b32 v18, v18, v14
	v_dual_cndmask_b32 v17, v17, v15, s14 :: v_dual_cndmask_b32 v16, v16, v14, s14
	s_mov_b32 vcc_lo, s15
	s_cbranch_vccnz .LBB12_3063
.LBB12_3064:                            ;   in Loop: Header=BB12_2954 Depth=3
	s_wait_xcnt 0x0
	s_or_b32 exec_lo, exec_lo, s79
	v_and_b32_e32 v9, 14, v2
	s_mov_b32 s15, s77
	s_mov_b32 s14, exec_lo
                                        ; implicit-def: $vgpr5
                                        ; implicit-def: $vgpr17
                                        ; implicit-def: $vgpr8
	s_delay_alu instid0(VALU_DEP_1) | instskip(NEXT) | instid1(VALU_DEP_1)
	v_cndmask_b32_e64 v16, v23, v9, s13
	v_cmpx_ne_u32_e32 0, v16
	s_cbranch_execz .LBB12_3066
; %bb.3065:                             ;   in Loop: Header=BB12_2954 Depth=3
	v_cmp_lt_i32_e32 vcc_lo, 0, v24
	s_or_b32 s15, s77, exec_lo
	v_dual_cndmask_b32 v5, 0, v60 :: v_dual_sub_nc_u32 v8, v23, v9
	s_delay_alu instid0(VALU_DEP_1) | instskip(NEXT) | instid1(VALU_DEP_1)
	v_sub_nc_u32_e32 v5, v5, v24
	v_lshl_add_u32 v10, v5, 5, v22
	s_delay_alu instid0(VALU_DEP_1) | instskip(NEXT) | instid1(VALU_DEP_1)
	v_ashrrev_i32_e32 v5, 31, v10
	v_lshrrev_b32_e32 v5, 27, v5
	s_delay_alu instid0(VALU_DEP_1) | instskip(NEXT) | instid1(VALU_DEP_1)
	v_dual_add_nc_u32 v9, v10, v5 :: v_dual_cndmask_b32 v5, 0, v8, s13
	v_and_b32_e32 v11, 0xffffffe0, v9
	s_delay_alu instid0(VALU_DEP_2) | instskip(NEXT) | instid1(VALU_DEP_2)
	v_add3_u32 v5, v7, v6, v5
	v_dual_ashrrev_i32 v8, 5, v9 :: v_dual_sub_nc_u32 v17, v10, v11
.LBB12_3066:                            ;   in Loop: Header=BB12_2954 Depth=3
	s_or_b32 exec_lo, exec_lo, s14
	s_delay_alu instid0(SALU_CYCLE_1) | instskip(SKIP_1) | instid1(SALU_CYCLE_1)
	s_and_not1_b32 s13, s77, exec_lo
	s_and_b32 s14, s15, exec_lo
	s_or_b32 s77, s13, s14
.LBB12_3067:                            ;   in Loop: Header=BB12_2954 Depth=3
	s_or_b32 exec_lo, exec_lo, s78
	s_and_saveexec_b32 s15, s77
	s_cbranch_execz .LBB12_3093
.LBB12_3068:                            ;   in Loop: Header=BB12_2954 Depth=3
	s_wait_loadcnt 0x1
	v_dual_ashrrev_i32 v6, 31, v16 :: v_dual_lshlrev_b32 v9, 1, v17
	s_mov_b32 s14, 0
	s_mov_b32 s13, exec_lo
                                        ; implicit-def: $vgpr18
                                        ; implicit-def: $vgpr19
                                        ; implicit-def: $vgpr20
                                        ; implicit-def: $vgpr21
                                        ; implicit-def: $vgpr22
                                        ; implicit-def: $vgpr23
                                        ; implicit-def: $vgpr24
                                        ; implicit-def: $vgpr25
                                        ; implicit-def: $vgpr26
                                        ; implicit-def: $vgpr27
                                        ; implicit-def: $vgpr31
                                        ; implicit-def: $vgpr32
                                        ; implicit-def: $vgpr33
                                        ; implicit-def: $vgpr34
                                        ; implicit-def: $vgpr35
	s_wait_loadcnt 0x0
	s_delay_alu instid0(VALU_DEP_1) | instskip(NEXT) | instid1(VALU_DEP_1)
	v_dual_lshlrev_b32 v7, 10, v8 :: v_dual_lshrrev_b32 v6, 22, v6
	v_add3_u32 v12, v5, v9, v7
	s_delay_alu instid0(VALU_DEP_2) | instskip(NEXT) | instid1(VALU_DEP_1)
	v_add_nc_u32_e32 v6, v16, v6
                                        ; implicit-def: $vgpr7
	v_dual_ashrrev_i32 v13, 31, v12 :: v_dual_ashrrev_i32 v6, 10, v6
	s_delay_alu instid0(VALU_DEP_1) | instskip(NEXT) | instid1(VALU_DEP_2)
	v_add_nc_u64_e32 v[10:11], v[72:73], v[12:13]
	v_sub_nc_u32_e32 v36, v6, v8
	v_add_nc_u64_e32 v[8:9], v[52:53], v[12:13]
	s_delay_alu instid0(VALU_DEP_2)
	v_cmpx_lt_i32_e32 0, v36
	s_cbranch_execz .LBB12_3076
; %bb.3069:                             ;   in Loop: Header=BB12_2954 Depth=3
	v_add_nc_u64_e32 v[12:13], v[12:13], v[118:119]
	s_mov_b32 s41, 0
                                        ; implicit-def: $sgpr40
                                        ; implicit-def: $vgpr7
                                        ; implicit-def: $vgpr18
                                        ; implicit-def: $vgpr19
                                        ; implicit-def: $vgpr20
                                        ; implicit-def: $vgpr21
                                        ; implicit-def: $vgpr22
                                        ; implicit-def: $vgpr23
                                        ; implicit-def: $vgpr24
                                        ; implicit-def: $vgpr25
                                        ; implicit-def: $vgpr26
                                        ; implicit-def: $vgpr27
                                        ; implicit-def: $vgpr31
                                        ; implicit-def: $vgpr32
                                        ; implicit-def: $vgpr33
                                        ; implicit-def: $vgpr34
                                        ; implicit-def: $vgpr35
	s_branch .LBB12_3071
.LBB12_3070:                            ;   in Loop: Header=BB12_3071 Depth=4
	s_or_b32 exec_lo, exec_lo, s77
	s_wait_loadcnt_dscnt 0xf0f
	flat_store_b16 v[10:11], v55 th:TH_STORE_NT
	s_wait_loadcnt_dscnt 0xe0f
	flat_store_b16 v[10:11], v64 offset:64 th:TH_STORE_NT
	s_wait_loadcnt_dscnt 0xd0f
	flat_store_b16 v[10:11], v65 offset:128 th:TH_STORE_NT
	;; [unrolled: 2-line block ×15, first 2 shown]
	s_wait_xcnt 0x0
	v_add_nc_u64_e32 v[10:11], 0x400, v[10:11]
	v_add_nc_u64_e32 v[80:81], 0x400, v[8:9]
	s_clause 0x7
	flat_store_b16 v[8:9], v55 th:TH_STORE_NT
	flat_store_b16 v[8:9], v64 offset:64 th:TH_STORE_NT
	flat_store_b16 v[8:9], v65 offset:128 th:TH_STORE_NT
	;; [unrolled: 1-line block ×7, first 2 shown]
	v_add_nc_u64_e32 v[12:13], v[12:13], v[14:15]
	s_clause 0x7
	flat_store_b16 v[8:9], v37 offset:512 th:TH_STORE_NT
	flat_store_b16 v[8:9], v38 offset:576 th:TH_STORE_NT
	;; [unrolled: 1-line block ×8, first 2 shown]
	s_wait_xcnt 0xd
	v_add_nc_u64_e32 v[64:65], v[10:11], v[78:79]
	v_sub_nc_u32_e32 v36, v36, v71
	s_wait_xcnt 0xb
	v_add_nc_u64_e32 v[66:67], v[80:81], v[78:79]
	s_delay_alu instid0(VALU_DEP_3) | instskip(NEXT) | instid1(VALU_DEP_3)
	v_cndmask_b32_e64 v11, v11, v65, s41
	v_cmp_gt_i32_e32 vcc_lo, 1, v36
	s_wait_xcnt 0x0
	s_delay_alu instid0(VALU_DEP_3) | instskip(NEXT) | instid1(VALU_DEP_4)
	v_dual_cndmask_b32 v10, v10, v64, s41 :: v_dual_cndmask_b32 v9, v81, v67, s41
	v_cndmask_b32_e64 v8, v80, v66, s41
	s_or_b32 s14, vcc_lo, s14
	s_and_not1_b32 s40, s40, exec_lo
	s_and_b32 s77, s41, exec_lo
	s_delay_alu instid0(SALU_CYCLE_1)
	s_or_b32 s40, s40, s77
	s_and_not1_b32 exec_lo, exec_lo, s14
	s_cbranch_execz .LBB12_3075
.LBB12_3071:                            ;   Parent Loop BB12_47 Depth=1
                                        ;     Parent Loop BB12_2951 Depth=2
                                        ;       Parent Loop BB12_2954 Depth=3
                                        ; =>      This Inner Loop Header: Depth=4
	s_clause 0xf
	flat_load_u16 v55, v[12:13] th:TH_LOAD_NT
	flat_load_u16 v64, v[12:13] offset:64 th:TH_LOAD_NT
	flat_load_u16 v65, v[12:13] offset:128 th:TH_LOAD_NT
	;; [unrolled: 1-line block ×15, first 2 shown]
	s_wait_xcnt 0x0
	s_and_saveexec_b32 s77, s41
	s_cbranch_execz .LBB12_3073
; %bb.3072:                             ;   in Loop: Header=BB12_3071 Depth=4
	s_clause 0xf
	flat_store_b16 v[10:11], v7 th:TH_STORE_NT
	flat_store_b16 v[10:11], v18 offset:64 th:TH_STORE_NT
	flat_store_b16 v[10:11], v19 offset:128 th:TH_STORE_NT
	;; [unrolled: 1-line block ×15, first 2 shown]
	s_clause 0xf
	flat_store_b16 v[8:9], v7 th:TH_STORE_NT
	flat_store_b16 v[8:9], v18 offset:64 th:TH_STORE_NT
	flat_store_b16 v[8:9], v19 offset:128 th:TH_STORE_NT
	;; [unrolled: 1-line block ×15, first 2 shown]
	s_wait_xcnt 0x10
	v_add_nc_u64_e32 v[10:11], v[10:11], v[104:105]
	s_wait_xcnt 0x0
	v_add_nc_u64_e32 v[8:9], v[8:9], v[104:105]
.LBB12_3073:                            ;   in Loop: Header=BB12_3071 Depth=4
	s_or_b32 exec_lo, exec_lo, s77
	v_dual_mov_b32 v71, 0 :: v_dual_sub_nc_u32 v36, v36, v60
	v_add_nc_u64_e32 v[12:13], v[12:13], v[104:105]
	v_mov_b64_e32 v[14:15], 0
	s_delay_alu instid0(VALU_DEP_3)
	v_cmp_lt_i32_e64 s41, 0, v36
	s_and_saveexec_b32 s77, s41
	s_cbranch_execz .LBB12_3070
; %bb.3074:                             ;   in Loop: Header=BB12_3071 Depth=4
	s_clause 0xf
	flat_load_u16 v7, v[12:13] th:TH_LOAD_NT
	flat_load_u16 v18, v[12:13] offset:64 th:TH_LOAD_NT
	flat_load_u16 v19, v[12:13] offset:128 th:TH_LOAD_NT
	;; [unrolled: 1-line block ×15, first 2 shown]
	s_wait_xcnt 0x0
	v_add_nc_u64_e32 v[12:13], 0x400, v[12:13]
	v_mov_b64_e32 v[14:15], v[78:79]
	v_mov_b32_e32 v71, v60
	s_branch .LBB12_3070
.LBB12_3075:                            ;   in Loop: Header=BB12_2954 Depth=3
	s_or_b32 exec_lo, exec_lo, s14
	s_delay_alu instid0(SALU_CYCLE_1)
	s_and_b32 s14, s40, exec_lo
.LBB12_3076:                            ;   in Loop: Header=BB12_2954 Depth=3
	s_or_b32 exec_lo, exec_lo, s13
	s_and_saveexec_b32 s13, s14
	s_cbranch_execz .LBB12_3078
; %bb.3077:                             ;   in Loop: Header=BB12_2954 Depth=3
	s_clause 0xf
	flat_store_b16 v[10:11], v7 th:TH_STORE_NT
	flat_store_b16 v[10:11], v18 offset:64 th:TH_STORE_NT
	flat_store_b16 v[10:11], v19 offset:128 th:TH_STORE_NT
	flat_store_b16 v[10:11], v20 offset:192 th:TH_STORE_NT
	flat_store_b16 v[10:11], v21 offset:256 th:TH_STORE_NT
	flat_store_b16 v[10:11], v22 offset:320 th:TH_STORE_NT
	flat_store_b16 v[10:11], v23 offset:384 th:TH_STORE_NT
	flat_store_b16 v[10:11], v24 offset:448 th:TH_STORE_NT
	flat_store_b16 v[10:11], v25 offset:512 th:TH_STORE_NT
	flat_store_b16 v[10:11], v26 offset:576 th:TH_STORE_NT
	flat_store_b16 v[10:11], v27 offset:640 th:TH_STORE_NT
	flat_store_b16 v[10:11], v31 offset:704 th:TH_STORE_NT
	flat_store_b16 v[10:11], v32 offset:768 th:TH_STORE_NT
	flat_store_b16 v[10:11], v33 offset:832 th:TH_STORE_NT
	flat_store_b16 v[10:11], v34 offset:896 th:TH_STORE_NT
	flat_store_b16 v[10:11], v35 offset:960 th:TH_STORE_NT
	s_clause 0xf
	flat_store_b16 v[8:9], v7 th:TH_STORE_NT
	flat_store_b16 v[8:9], v18 offset:64 th:TH_STORE_NT
	flat_store_b16 v[8:9], v19 offset:128 th:TH_STORE_NT
	;; [unrolled: 1-line block ×15, first 2 shown]
.LBB12_3078:                            ;   in Loop: Header=BB12_2954 Depth=3
	s_wait_xcnt 0x0
	s_or_b32 exec_lo, exec_lo, s13
	v_lshlrev_b32_e32 v6, 10, v6
	s_delay_alu instid0(VALU_DEP_1)
	v_cmp_ne_u32_e32 vcc_lo, v16, v6
	s_and_b32 exec_lo, exec_lo, vcc_lo
	s_cbranch_execz .LBB12_3093
; %bb.3079:                             ;   in Loop: Header=BB12_2954 Depth=3
	v_lshlrev_b32_e32 v7, 5, v36
	s_delay_alu instid0(VALU_DEP_1) | instskip(NEXT) | instid1(VALU_DEP_1)
	v_sub_nc_u32_e32 v7, v17, v7
	v_ashrrev_i32_e32 v8, 31, v7
	s_delay_alu instid0(VALU_DEP_1) | instskip(NEXT) | instid1(VALU_DEP_1)
	v_lshrrev_b32_e32 v8, 27, v8
	v_add_nc_u32_e32 v8, v7, v8
	s_delay_alu instid0(VALU_DEP_1) | instskip(NEXT) | instid1(VALU_DEP_1)
	v_and_b32_e32 v9, 0x7fffffe0, v8
	v_sub_nc_u32_e32 v7, v7, v9
	s_delay_alu instid0(VALU_DEP_1) | instskip(NEXT) | instid1(VALU_DEP_1)
	v_dual_lshlrev_b32 v7, 1, v7 :: v_dual_lshlrev_b32 v8, 1, v8
	v_and_b32_e32 v8, 0xffffffc0, v8
	s_delay_alu instid0(VALU_DEP_1) | instskip(NEXT) | instid1(VALU_DEP_1)
	v_add3_u32 v6, v8, v7, v6
	v_sub_nc_u32_e32 v7, v16, v6
	s_delay_alu instid0(VALU_DEP_1)
	v_cmp_lt_i32_e32 vcc_lo, 1, v7
	s_and_b32 exec_lo, exec_lo, vcc_lo
	s_cbranch_execz .LBB12_3093
; %bb.3080:                             ;   in Loop: Header=BB12_2954 Depth=3
	s_trap 2
	ds_load_b64 v[12:13], v0
	v_add_nc_u32_e32 v14, v6, v5
	s_mov_b32 s79, 0
	s_mov_b32 s77, 0
                                        ; implicit-def: $sgpr78
                                        ; implicit-def: $vgpr5
	s_delay_alu instid0(VALU_DEP_1) | instskip(NEXT) | instid1(VALU_DEP_1)
	v_ashrrev_i32_e32 v15, 31, v14
	v_add_nc_u64_e32 v[8:9], v[72:73], v[14:15]
	v_add_nc_u64_e32 v[10:11], v[52:53], v[14:15]
	s_wait_dscnt 0x0
	v_add_nc_u64_e32 v[12:13], v[12:13], v[14:15]
.LBB12_3081:                            ;   Parent Loop BB12_47 Depth=1
                                        ;     Parent Loop BB12_2951 Depth=2
                                        ;       Parent Loop BB12_2954 Depth=3
                                        ; =>      This Loop Header: Depth=4
                                        ;           Child Loop BB12_3083 Depth 5
                                        ;           Child Loop BB12_3088 Depth 5
	flat_load_u16 v6, v[12:13] th:TH_LOAD_NT
	s_wait_xcnt 0x0
	s_and_saveexec_b32 s88, s79
	s_cbranch_execz .LBB12_3085
; %bb.3082:                             ;   in Loop: Header=BB12_3081 Depth=4
	s_mov_b64 s[40:41], 0
	s_mov_b32 s79, -1
.LBB12_3083:                            ;   Parent Loop BB12_47 Depth=1
                                        ;     Parent Loop BB12_2951 Depth=2
                                        ;       Parent Loop BB12_2954 Depth=3
                                        ;         Parent Loop BB12_3081 Depth=4
                                        ; =>        This Inner Loop Header: Depth=5
	s_cmp_eq_u32 s40, 1
	s_cselect_b32 vcc_lo, -1, 0
	s_cmp_eq_u32 s40, 0
	s_wait_xcnt 0x0
	v_dual_cndmask_b32 v15, v9, v11 :: v_dual_cndmask_b32 v14, v8, v10
	s_cselect_b32 s13, -1, 0
	s_and_b32 s14, exec_lo, s79
	s_mov_b64 s[40:41], 1
	s_mov_b32 s79, 0
	v_add_nc_u64_e32 v[16:17], 64, v[14:15]
	flat_store_b16 v[14:15], v5 th:TH_STORE_NT
	v_dual_cndmask_b32 v11, v11, v17 :: v_dual_cndmask_b32 v10, v10, v16
	v_dual_cndmask_b32 v9, v9, v17, s13 :: v_dual_cndmask_b32 v8, v8, v16, s13
	s_mov_b32 vcc_lo, s14
	s_cbranch_vccnz .LBB12_3083
; %bb.3084:                             ;   in Loop: Header=BB12_3081 Depth=4
	s_delay_alu instid0(VALU_DEP_1)
	v_add_nc_u64_e32 v[8:9], v[8:9], v[92:93]
	v_add_nc_u64_e32 v[10:11], v[10:11], v[92:93]
.LBB12_3085:                            ;   in Loop: Header=BB12_3081 Depth=4
	s_wait_xcnt 0x0
	s_or_b32 exec_lo, exec_lo, s88
	v_add_nc_u64_e32 v[14:15], 64, v[92:93]
	v_sub_nc_u32_e32 v7, v7, v76
	s_delay_alu instid0(VALU_DEP_1) | instskip(NEXT) | instid1(VALU_DEP_3)
	v_cmp_lt_i32_e64 s79, 1, v7
	v_add_nc_u64_e32 v[12:13], v[14:15], v[12:13]
	s_and_saveexec_b32 s13, s79
	s_cbranch_execz .LBB12_3087
; %bb.3086:                             ;   in Loop: Header=BB12_3081 Depth=4
	flat_load_u16 v5, v[12:13] th:TH_LOAD_NT
	s_wait_xcnt 0x0
	v_add_nc_u64_e32 v[12:13], 64, v[12:13]
.LBB12_3087:                            ;   in Loop: Header=BB12_3081 Depth=4
	s_or_b32 exec_lo, exec_lo, s13
	s_mov_b64 s[40:41], 0
	s_mov_b32 s88, -1
.LBB12_3088:                            ;   Parent Loop BB12_47 Depth=1
                                        ;     Parent Loop BB12_2951 Depth=2
                                        ;       Parent Loop BB12_2954 Depth=3
                                        ;         Parent Loop BB12_3081 Depth=4
                                        ; =>        This Inner Loop Header: Depth=5
	s_cmp_eq_u32 s40, 1
	s_cselect_b32 vcc_lo, -1, 0
	s_cmp_eq_u32 s40, 0
	s_wait_xcnt 0x0
	v_dual_cndmask_b32 v15, v9, v11 :: v_dual_cndmask_b32 v14, v8, v10
	s_cselect_b32 s13, -1, 0
	s_and_b32 s14, exec_lo, s88
	s_mov_b64 s[40:41], 1
	s_mov_b32 s88, 0
	v_add_nc_u64_e32 v[16:17], 64, v[14:15]
	s_wait_loadcnt_dscnt 0x0
	flat_store_b16 v[14:15], v6 th:TH_STORE_NT
	v_dual_cndmask_b32 v11, v11, v17 :: v_dual_cndmask_b32 v10, v10, v16
	v_dual_cndmask_b32 v9, v9, v17, s13 :: v_dual_cndmask_b32 v8, v8, v16, s13
	s_mov_b32 vcc_lo, s14
	s_cbranch_vccnz .LBB12_3088
; %bb.3089:                             ;   in Loop: Header=BB12_3081 Depth=4
	s_wait_xcnt 0x0
	v_dual_cndmask_b32 v6, 0, v76, s79 :: v_dual_cndmask_b32 v19, 0, v93, s79
	v_cndmask_b32_e64 v18, 0, v92, s79
	v_add_nc_u64_e32 v[14:15], v[10:11], v[92:93]
	v_add_nc_u64_e32 v[16:17], v[8:9], v[92:93]
	s_delay_alu instid0(VALU_DEP_4) | instskip(NEXT) | instid1(VALU_DEP_4)
	v_sub_nc_u32_e32 v7, v7, v6
	v_add_nc_u64_e32 v[12:13], v[12:13], v[18:19]
	s_delay_alu instid0(VALU_DEP_4) | instskip(NEXT) | instid1(VALU_DEP_3)
	v_dual_cndmask_b32 v11, v11, v15, s79 :: v_dual_cndmask_b32 v10, v10, v14, s79
	v_cmp_gt_i32_e32 vcc_lo, 2, v7
	v_dual_cndmask_b32 v9, v9, v17, s79 :: v_dual_cndmask_b32 v8, v8, v16, s79
	s_or_b32 s77, vcc_lo, s77
	s_and_not1_b32 s13, s78, exec_lo
	s_and_b32 s14, s79, exec_lo
	s_delay_alu instid0(SALU_CYCLE_1)
	s_or_b32 s78, s13, s14
	s_and_not1_b32 exec_lo, exec_lo, s77
	s_cbranch_execnz .LBB12_3081
; %bb.3090:                             ;   in Loop: Header=BB12_2954 Depth=3
	s_or_b32 exec_lo, exec_lo, s77
	s_delay_alu instid0(SALU_CYCLE_1)
	s_and_b32 exec_lo, exec_lo, s78
	s_cbranch_execz .LBB12_3093
; %bb.3091:                             ;   in Loop: Header=BB12_2954 Depth=3
	s_mov_b64 s[40:41], 0
	s_mov_b32 s77, -1
.LBB12_3092:                            ;   Parent Loop BB12_47 Depth=1
                                        ;     Parent Loop BB12_2951 Depth=2
                                        ;       Parent Loop BB12_2954 Depth=3
                                        ; =>      This Inner Loop Header: Depth=4
	s_cmp_eq_u32 s40, 1
	s_cselect_b32 vcc_lo, -1, 0
	s_cmp_eq_u32 s40, 0
	s_wait_xcnt 0x0
	v_dual_cndmask_b32 v7, v17, v15 :: v_dual_cndmask_b32 v6, v16, v14
	s_cselect_b32 s13, -1, 0
	s_and_b32 s14, exec_lo, s77
	s_mov_b64 s[40:41], 1
	s_mov_b32 s77, 0
	v_add_nc_u64_e32 v[8:9], 64, v[6:7]
	flat_store_b16 v[6:7], v5 th:TH_STORE_NT
	v_dual_cndmask_b32 v17, v17, v9, s13 :: v_dual_cndmask_b32 v16, v16, v8, s13
	v_dual_cndmask_b32 v15, v15, v9 :: v_dual_cndmask_b32 v14, v14, v8
	s_mov_b32 vcc_lo, s14
	s_cbranch_vccnz .LBB12_3092
.LBB12_3093:                            ;   in Loop: Header=BB12_2954 Depth=3
	s_wait_xcnt 0x0
	s_or_b32 exec_lo, exec_lo, s15
	s_mov_b32 s13, 0
.LBB12_3094:                            ;   in Loop: Header=BB12_2954 Depth=3
	s_delay_alu instid0(SALU_CYCLE_1)
	s_and_b32 vcc_lo, exec_lo, s13
	s_cbranch_vccz .LBB12_3108
; %bb.3095:                             ;   in Loop: Header=BB12_2954 Depth=3
	s_mov_b32 s13, -1
	s_and_saveexec_b32 s14, s11
	s_cbranch_execz .LBB12_3097
; %bb.3096:                             ;   in Loop: Header=BB12_2954 Depth=3
	ds_load_b32 v5, v0 offset:720
	s_wait_dscnt 0x0
	v_and_b32_e32 v5, 15, v5
	s_delay_alu instid0(VALU_DEP_1)
	v_cmp_eq_u32_e32 vcc_lo, 0, v5
	s_or_not1_b32 s13, vcc_lo, exec_lo
.LBB12_3097:                            ;   in Loop: Header=BB12_2954 Depth=3
	s_or_b32 exec_lo, exec_lo, s14
	s_and_saveexec_b32 s14, s7
	s_cbranch_execz .LBB12_3099
; %bb.3098:                             ;   in Loop: Header=BB12_2954 Depth=3
	ds_load_b32 v5, v0 offset:784
	s_wait_dscnt 0x0
	v_and_b32_e32 v5, 15, v5
	s_delay_alu instid0(VALU_DEP_1) | instskip(SKIP_3) | instid1(SALU_CYCLE_1)
	v_cmp_eq_u32_e32 vcc_lo, 0, v5
	s_and_b32 s15, s13, vcc_lo
	s_and_not1_b32 s13, s13, exec_lo
	s_and_b32 s15, s15, exec_lo
	s_or_b32 s13, s13, s15
.LBB12_3099:                            ;   in Loop: Header=BB12_2954 Depth=3
	s_or_b32 exec_lo, exec_lo, s14
	s_xor_b32 s13, s13, -1
	s_delay_alu instid0(SALU_CYCLE_1) | instskip(SKIP_1) | instid1(VALU_DEP_1)
	v_cndmask_b32_e64 v5, 0, 1, s13
	s_mov_b32 s13, -1
	v_cmp_ne_u32_e32 vcc_lo, 0, v5
	s_cbranch_vccz .LBB12_3109
; %bb.3100:                             ;   in Loop: Header=BB12_2954 Depth=3
	s_mov_b32 s14, -1
	v_mov_b32_e32 v5, 0
	s_cbranch_execnz .LBB12_3110
.LBB12_3101:                            ;   in Loop: Header=BB12_2954 Depth=3
	scratch_load_b32 v6, off, s33 offset:312 ; 4-byte Folded Reload
	s_wait_loadcnt 0x1
	scratch_load_b64 v[8:9], off, s33 offset:336 ; 8-byte Folded Reload
	v_ashrrev_i32_e32 v5, 31, v2
	s_mov_b32 s15, 0
	s_mov_b32 s13, exec_lo
                                        ; implicit-def: $vgpr12_vgpr13
                                        ; implicit-def: $vgpr16_vgpr17
                                        ; implicit-def: $vgpr20_vgpr21
                                        ; implicit-def: $vgpr24_vgpr25
                                        ; implicit-def: $vgpr32_vgpr33
                                        ; implicit-def: $vgpr36_vgpr37
                                        ; implicit-def: $vgpr48_vgpr49
	s_delay_alu instid0(VALU_DEP_1) | instskip(NEXT) | instid1(VALU_DEP_1)
	v_lshrrev_b32_e32 v5, 20, v5
	v_add_nc_u32_e32 v5, v2, v5
	s_delay_alu instid0(VALU_DEP_1) | instskip(SKIP_1) | instid1(VALU_DEP_1)
	v_ashrrev_i32_e32 v5, 12, v5
	s_wait_loadcnt 0x1
	v_sub_nc_u32_e32 v6, v5, v6
	s_wait_loadcnt 0x0
	v_add_nc_u64_e32 v[62:63], v[72:73], v[8:9]
                                        ; implicit-def: $vgpr8_vgpr9
	s_wait_xcnt 0x0
	s_delay_alu instid0(VALU_DEP_2)
	v_cmpx_lt_i32_e32 0, v6
	s_cbranch_execz .LBB12_3112
; %bb.3102:                             ;   in Loop: Header=BB12_2954 Depth=3
	scratch_load_b64 v[8:9], off, s33 offset:336 ; 8-byte Folded Reload
	s_mov_b32 s41, 0
                                        ; implicit-def: $sgpr40
                                        ; implicit-def: $vgpr12_vgpr13
                                        ; implicit-def: $vgpr16_vgpr17
                                        ; implicit-def: $vgpr20_vgpr21
                                        ; implicit-def: $vgpr24_vgpr25
                                        ; implicit-def: $vgpr32_vgpr33
                                        ; implicit-def: $vgpr36_vgpr37
                                        ; implicit-def: $vgpr48_vgpr49
	s_wait_loadcnt 0x0
	v_add_nc_u64_e32 v[74:75], v[118:119], v[8:9]
                                        ; implicit-def: $vgpr8_vgpr9
	s_branch .LBB12_3104
.LBB12_3103:                            ;   in Loop: Header=BB12_3104 Depth=4
	s_wait_xcnt 0x0
	s_or_b32 exec_lo, exec_lo, s77
	s_delay_alu instid0(VALU_DEP_1)
	v_sub_nc_u32_e32 v6, v6, v7
	s_clause 0x1
	global_store_b128 v[62:63], v[100:103], off th:TH_STORE_NT
	global_store_b128 v[62:63], v[112:115], off offset:512 th:TH_STORE_NT
	s_wait_loadcnt 0x0
	s_wait_xcnt 0x1
	v_add_nc_u64_e32 v[100:101], v[62:63], v[110:111]
	s_clause 0x5
	global_store_b128 v[62:63], v[68:71], off offset:1024 th:TH_STORE_NT
	global_store_b128 v[62:63], v[80:83], off offset:1536 th:TH_STORE_NT
	;; [unrolled: 1-line block ×6, first 2 shown]
	v_cmp_gt_i32_e32 vcc_lo, 1, v6
	v_add_nc_u64_e32 v[74:75], v[74:75], v[110:111]
	s_wait_xcnt 0x0
	v_add_nc_u64_e32 v[62:63], 0x1000, v[100:101]
	s_or_b32 s15, vcc_lo, s15
	s_and_not1_b32 s40, s40, exec_lo
	s_and_b32 s77, s41, exec_lo
	s_delay_alu instid0(SALU_CYCLE_1)
	s_or_b32 s40, s40, s77
	s_and_not1_b32 exec_lo, exec_lo, s15
	s_cbranch_execz .LBB12_3111
.LBB12_3104:                            ;   Parent Loop BB12_47 Depth=1
                                        ;     Parent Loop BB12_2951 Depth=2
                                        ;       Parent Loop BB12_2954 Depth=3
                                        ; =>      This Inner Loop Header: Depth=4
	s_clause 0x7
	global_load_b128 v[100:103], v[74:75], off th:TH_LOAD_NT
	global_load_b128 v[112:115], v[74:75], off offset:512 th:TH_LOAD_NT
	global_load_b128 v[68:71], v[74:75], off offset:1024 th:TH_LOAD_NT
	;; [unrolled: 1-line block ×7, first 2 shown]
	s_wait_xcnt 0x0
	s_and_saveexec_b32 s77, s41
	s_cbranch_execz .LBB12_3106
; %bb.3105:                             ;   in Loop: Header=BB12_3104 Depth=4
	s_clause 0x7
	global_store_b128 v[62:63], v[8:11], off th:TH_STORE_NT
	global_store_b128 v[62:63], v[12:15], off offset:512 th:TH_STORE_NT
	global_store_b128 v[62:63], v[16:19], off offset:1024 th:TH_STORE_NT
	;; [unrolled: 1-line block ×7, first 2 shown]
	scratch_load_b64 v[42:43], off, s33 offset:256 ; 8-byte Folded Reload
	s_wait_loadcnt 0x0
	s_wait_xcnt 0x1
	v_add_nc_u64_e32 v[62:63], v[62:63], v[42:43]
.LBB12_3106:                            ;   in Loop: Header=BB12_3104 Depth=4
	s_wait_xcnt 0x0
	s_or_b32 exec_lo, exec_lo, s77
	scratch_load_b64 v[42:43], off, s33 offset:256 ; 8-byte Folded Reload
	v_dual_mov_b32 v7, 0 :: v_dual_sub_nc_u32 v6, v6, v60
	v_mov_b64_e32 v[110:111], 0
	s_delay_alu instid0(VALU_DEP_2)
	v_cmp_lt_i32_e64 s41, 0, v6
	s_wait_loadcnt 0x0
	v_add_nc_u64_e32 v[74:75], v[74:75], v[42:43]
	s_wait_xcnt 0x0
	s_and_saveexec_b32 s77, s41
	s_cbranch_execz .LBB12_3103
; %bb.3107:                             ;   in Loop: Header=BB12_3104 Depth=4
	s_clause 0x7
	global_load_b128 v[8:11], v[74:75], off th:TH_LOAD_NT
	global_load_b128 v[12:15], v[74:75], off offset:512 th:TH_LOAD_NT
	global_load_b128 v[16:19], v[74:75], off offset:1024 th:TH_LOAD_NT
	;; [unrolled: 1-line block ×7, first 2 shown]
	scratch_load_b64 v[110:111], off, s33 offset:304 ; 8-byte Folded Reload
	s_wait_xcnt 0x1
	v_add_nc_u64_e32 v[74:75], 0x1000, v[74:75]
	v_mov_b32_e32 v7, v60
	s_branch .LBB12_3103
.LBB12_3108:                            ;   in Loop: Header=BB12_2954 Depth=3
	v_cmp_lt_i32_e64 s13, 0, v1
	s_and_saveexec_b32 s14, s2
	s_cbranch_execnz .LBB12_3152
	s_branch .LBB12_3037
.LBB12_3109:                            ;   in Loop: Header=BB12_2954 Depth=3
	s_mov_b32 s14, 0
	v_mov_b32_e32 v5, 0
	s_and_not1_b32 vcc_lo, exec_lo, s13
	s_cbranch_vccz .LBB12_3101
.LBB12_3110:                            ;   in Loop: Header=BB12_2954 Depth=3
	s_wait_loadcnt 0x1
	scratch_load_b32 v14, off, s33 offset:316 ; 4-byte Folded Reload
	s_wait_loadcnt 0x1
	scratch_load_b32 v8, off, s33 offset:312 ; 4-byte Folded Reload
	s_wait_xcnt 0x0
	s_and_saveexec_b32 s13, s14
	s_cbranch_execnz .LBB12_3131
	s_branch .LBB12_3151
.LBB12_3111:                            ;   in Loop: Header=BB12_2954 Depth=3
	s_or_b32 exec_lo, exec_lo, s15
	s_delay_alu instid0(SALU_CYCLE_1)
	s_and_b32 s15, s40, exec_lo
.LBB12_3112:                            ;   in Loop: Header=BB12_2954 Depth=3
	s_or_b32 exec_lo, exec_lo, s13
	s_and_saveexec_b32 s13, s15
	s_cbranch_execz .LBB12_3114
; %bb.3113:                             ;   in Loop: Header=BB12_2954 Depth=3
	s_clause 0x7
	global_store_b128 v[62:63], v[8:11], off th:TH_STORE_NT
	global_store_b128 v[62:63], v[12:15], off offset:512 th:TH_STORE_NT
	global_store_b128 v[62:63], v[16:19], off offset:1024 th:TH_STORE_NT
	;; [unrolled: 1-line block ×7, first 2 shown]
.LBB12_3114:                            ;   in Loop: Header=BB12_2954 Depth=3
	s_wait_xcnt 0x0
	s_or_b32 exec_lo, exec_lo, s13
	v_lshlrev_b32_e32 v7, 12, v5
	s_mov_b32 s15, exec_lo
                                        ; implicit-def: $vgpr5
                                        ; implicit-def: $vgpr14
                                        ; implicit-def: $vgpr8
	s_delay_alu instid0(VALU_DEP_1)
	v_cmpx_ne_u32_e64 v2, v7
	s_cbranch_execz .LBB12_3130
; %bb.3115:                             ;   in Loop: Header=BB12_2954 Depth=3
	v_lshlrev_b32_e32 v5, 5, v6
	scratch_load_b32 v6, off, s33 offset:316 ; 4-byte Folded Reload
	v_sub_nc_u32_e32 v8, v2, v7
	s_mov_b32 s41, 0
	s_mov_b32 s40, exec_lo
	s_wait_loadcnt 0x0
	s_delay_alu instid0(VALU_DEP_1) | instskip(NEXT) | instid1(VALU_DEP_1)
	v_dual_ashrrev_i32 v10, 31, v8 :: v_dual_sub_nc_u32 v5, v6, v5
	v_ashrrev_i32_e32 v6, 31, v5
	s_delay_alu instid0(VALU_DEP_1) | instskip(NEXT) | instid1(VALU_DEP_1)
	v_lshrrev_b32_e32 v6, 27, v6
	v_add_nc_u32_e32 v6, v5, v6
	s_delay_alu instid0(VALU_DEP_1) | instskip(NEXT) | instid1(VALU_DEP_1)
	v_and_b32_e32 v9, 0xffffffe0, v6
	v_dual_sub_nc_u32 v20, v5, v9 :: v_dual_lshrrev_b32 v5, 23, v10
	s_delay_alu instid0(VALU_DEP_1) | instskip(NEXT) | instid1(VALU_DEP_2)
	v_dual_ashrrev_i32 v9, 5, v6 :: v_dual_lshlrev_b32 v6, 4, v20
	v_add_nc_u32_e32 v5, v8, v5
	s_delay_alu instid0(VALU_DEP_2) | instskip(NEXT) | instid1(VALU_DEP_2)
	v_lshl_add_u32 v12, v9, 9, v6
	v_and_b32_e32 v6, 0xfffffe00, v5
	s_delay_alu instid0(VALU_DEP_2) | instskip(NEXT) | instid1(VALU_DEP_2)
	v_dual_ashrrev_i32 v5, 9, v5 :: v_dual_add_nc_u32 v10, v12, v7
	v_sub_nc_u32_e32 v21, v8, v6
	s_delay_alu instid0(VALU_DEP_1) | instskip(NEXT) | instid1(VALU_DEP_3)
	v_cmp_lt_i32_e32 vcc_lo, 15, v21
	v_add_co_ci_u32_e64 v13, null, 0, v5, vcc_lo
	s_delay_alu instid0(VALU_DEP_4) | instskip(NEXT) | instid1(VALU_DEP_2)
	v_dual_ashrrev_i32 v11, 31, v10 :: v_dual_sub_nc_u32 v5, v8, v12
	v_sub_nc_u32_e32 v22, v13, v9
                                        ; implicit-def: $vgpr8_vgpr9
	s_delay_alu instid0(VALU_DEP_2) | instskip(SKIP_1) | instid1(VALU_DEP_3)
	v_add_nc_u64_e32 v[16:17], v[10:11], v[72:73]
	s_wait_xcnt 0x0
	v_cmpx_lt_i32_e32 15, v5
	s_cbranch_execz .LBB12_3125
; %bb.3116:                             ;   in Loop: Header=BB12_2954 Depth=3
	v_add_nc_u64_e32 v[18:19], v[10:11], v[118:119]
	s_mov_b32 s78, 0
                                        ; implicit-def: $sgpr77
                                        ; implicit-def: $vgpr8_vgpr9
	s_branch .LBB12_3118
.LBB12_3117:                            ;   in Loop: Header=BB12_3118 Depth=4
	s_or_b32 exec_lo, exec_lo, s13
	s_delay_alu instid0(VALU_DEP_1) | instskip(SKIP_3) | instid1(SALU_CYCLE_1)
	v_cmp_gt_i32_e64 s13, 16, v5
	s_or_b32 s41, s13, s41
	s_and_not1_b32 s13, s77, exec_lo
	s_and_b32 s77, s78, exec_lo
	s_or_b32 s77, s13, s77
	s_and_not1_b32 exec_lo, exec_lo, s41
	s_cbranch_execz .LBB12_3124
.LBB12_3118:                            ;   Parent Loop BB12_47 Depth=1
                                        ;     Parent Loop BB12_2951 Depth=2
                                        ;       Parent Loop BB12_2954 Depth=3
                                        ; =>      This Inner Loop Header: Depth=4
	global_load_b128 v[12:15], v[18:19], off th:TH_LOAD_NT
	s_wait_xcnt 0x0
	s_and_saveexec_b32 s13, s78
	s_cbranch_execz .LBB12_3120
; %bb.3119:                             ;   in Loop: Header=BB12_3118 Depth=4
	v_add_nc_u64_e32 v[24:25], 0x200, v[90:91]
	global_store_b128 v[16:17], v[8:11], off th:TH_STORE_NT
	v_add_nc_u64_e32 v[24:25], v[16:17], v[24:25]
	s_wait_xcnt 0x0
	s_delay_alu instid0(VALU_DEP_1)
	v_mov_b64_e32 v[16:17], v[24:25]
.LBB12_3120:                            ;   in Loop: Header=BB12_3118 Depth=4
	s_or_b32 exec_lo, exec_lo, s13
	v_add_nc_u64_e32 v[24:25], 0x200, v[90:91]
	v_sub_nc_u32_e32 v5, v5, v121
	s_delay_alu instid0(VALU_DEP_1) | instskip(NEXT) | instid1(VALU_DEP_3)
	v_cmp_lt_i32_e64 s78, 15, v5
	v_add_nc_u64_e32 v[18:19], v[18:19], v[24:25]
	s_and_saveexec_b32 s13, s78
	s_cbranch_execz .LBB12_3122
; %bb.3121:                             ;   in Loop: Header=BB12_3118 Depth=4
	global_load_b128 v[8:11], v[18:19], off th:TH_LOAD_NT
	s_wait_xcnt 0x0
	v_add_nc_u64_e32 v[18:19], 0x200, v[18:19]
.LBB12_3122:                            ;   in Loop: Header=BB12_3118 Depth=4
	s_or_b32 exec_lo, exec_lo, s13
	s_wait_loadcnt 0x0
	global_store_b128 v[16:17], v[12:15], off th:TH_STORE_NT
	s_wait_xcnt 0x0
	v_add_nc_u64_e32 v[16:17], 0x200, v[16:17]
	v_sub_nc_u32_e32 v22, v22, v60
	s_and_saveexec_b32 s13, s78
	s_cbranch_execz .LBB12_3117
; %bb.3123:                             ;   in Loop: Header=BB12_3118 Depth=4
	v_add_nc_u64_e32 v[18:19], v[18:19], v[90:91]
	s_delay_alu instid0(VALU_DEP_3)
	v_add_nc_u64_e32 v[16:17], v[16:17], v[90:91]
	v_dual_sub_nc_u32 v22, v22, v60 :: v_dual_sub_nc_u32 v5, v5, v121
	s_branch .LBB12_3117
.LBB12_3124:                            ;   in Loop: Header=BB12_2954 Depth=3
	s_or_b32 exec_lo, exec_lo, s41
	s_delay_alu instid0(SALU_CYCLE_1)
	s_and_b32 s41, s77, exec_lo
.LBB12_3125:                            ;   in Loop: Header=BB12_2954 Depth=3
	s_or_b32 exec_lo, exec_lo, s40
	s_and_saveexec_b32 s13, s41
	s_cbranch_execz .LBB12_3127
; %bb.3126:                             ;   in Loop: Header=BB12_2954 Depth=3
	global_store_b128 v[16:17], v[8:11], off th:TH_STORE_NT
.LBB12_3127:                            ;   in Loop: Header=BB12_2954 Depth=3
	s_wait_xcnt 0x0
	s_or_b32 exec_lo, exec_lo, s13
	v_and_b32_e32 v9, 14, v2
	s_mov_b32 s41, s14
	s_mov_b32 s40, exec_lo
                                        ; implicit-def: $vgpr5
                                        ; implicit-def: $vgpr14
                                        ; implicit-def: $vgpr8
	s_delay_alu instid0(VALU_DEP_1) | instskip(NEXT) | instid1(VALU_DEP_1)
	v_cndmask_b32_e32 v2, v21, v9, vcc_lo
	v_cmpx_ne_u32_e32 0, v2
	s_cbranch_execz .LBB12_3129
; %bb.3128:                             ;   in Loop: Header=BB12_2954 Depth=3
	v_cmp_lt_i32_e64 s13, 0, v22
	s_or_b32 s41, s14, exec_lo
	v_dual_sub_nc_u32 v8, v21, v9 :: v_dual_cndmask_b32 v5, 0, v60, s13
	s_delay_alu instid0(VALU_DEP_1) | instskip(NEXT) | instid1(VALU_DEP_1)
	v_sub_nc_u32_e32 v5, v5, v22
	v_lshl_add_u32 v10, v5, 5, v20
	s_delay_alu instid0(VALU_DEP_1) | instskip(NEXT) | instid1(VALU_DEP_1)
	v_ashrrev_i32_e32 v5, 31, v10
	v_lshrrev_b32_e32 v5, 27, v5
	s_delay_alu instid0(VALU_DEP_1) | instskip(NEXT) | instid1(VALU_DEP_1)
	v_dual_add_nc_u32 v9, v10, v5 :: v_dual_cndmask_b32 v5, 0, v8, vcc_lo
	v_and_b32_e32 v11, 0xffffffe0, v9
	s_delay_alu instid0(VALU_DEP_2) | instskip(NEXT) | instid1(VALU_DEP_2)
	v_add3_u32 v5, v6, v7, v5
	v_dual_ashrrev_i32 v8, 5, v9 :: v_dual_sub_nc_u32 v14, v10, v11
.LBB12_3129:                            ;   in Loop: Header=BB12_2954 Depth=3
	s_or_b32 exec_lo, exec_lo, s40
	s_delay_alu instid0(SALU_CYCLE_1) | instskip(SKIP_1) | instid1(SALU_CYCLE_1)
	s_and_not1_b32 s13, s14, exec_lo
	s_and_b32 s14, s41, exec_lo
	s_or_b32 s14, s13, s14
.LBB12_3130:                            ;   in Loop: Header=BB12_2954 Depth=3
	s_or_b32 exec_lo, exec_lo, s15
	s_and_saveexec_b32 s13, s14
	s_cbranch_execz .LBB12_3151
.LBB12_3131:                            ;   in Loop: Header=BB12_2954 Depth=3
	s_wait_loadcnt 0x0
	v_dual_ashrrev_i32 v6, 31, v2 :: v_dual_lshlrev_b32 v7, 10, v8
	s_mov_b32 s15, 0
	s_mov_b32 s14, exec_lo
                                        ; implicit-def: $vgpr15
                                        ; implicit-def: $vgpr16
                                        ; implicit-def: $vgpr17
                                        ; implicit-def: $vgpr18
                                        ; implicit-def: $vgpr19
                                        ; implicit-def: $vgpr20
                                        ; implicit-def: $vgpr21
                                        ; implicit-def: $vgpr22
                                        ; implicit-def: $vgpr23
                                        ; implicit-def: $vgpr24
                                        ; implicit-def: $vgpr25
                                        ; implicit-def: $vgpr26
                                        ; implicit-def: $vgpr27
                                        ; implicit-def: $vgpr31
                                        ; implicit-def: $vgpr32
	s_delay_alu instid0(VALU_DEP_1) | instskip(NEXT) | instid1(VALU_DEP_1)
	v_lshrrev_b32_e32 v6, 22, v6
	v_add_nc_u32_e32 v6, v2, v6
	s_delay_alu instid0(VALU_DEP_1) | instskip(NEXT) | instid1(VALU_DEP_1)
	v_ashrrev_i32_e32 v6, 10, v6
	v_dual_lshlrev_b32 v9, 1, v14 :: v_dual_sub_nc_u32 v12, v6, v8
	s_delay_alu instid0(VALU_DEP_1) | instskip(NEXT) | instid1(VALU_DEP_1)
	v_add3_u32 v10, v5, v9, v7
                                        ; implicit-def: $vgpr7
	v_ashrrev_i32_e32 v11, 31, v10
	s_delay_alu instid0(VALU_DEP_1) | instskip(NEXT) | instid1(VALU_DEP_4)
	v_add_nc_u64_e32 v[8:9], v[72:73], v[10:11]
	v_cmpx_lt_i32_e32 0, v12
	s_cbranch_execz .LBB12_3139
; %bb.3132:                             ;   in Loop: Header=BB12_2954 Depth=3
	v_add_nc_u64_e32 v[10:11], v[10:11], v[118:119]
	s_mov_b32 s41, 0
                                        ; implicit-def: $sgpr40
                                        ; implicit-def: $vgpr7
                                        ; implicit-def: $vgpr15
                                        ; implicit-def: $vgpr16
                                        ; implicit-def: $vgpr17
                                        ; implicit-def: $vgpr18
                                        ; implicit-def: $vgpr19
                                        ; implicit-def: $vgpr20
                                        ; implicit-def: $vgpr21
                                        ; implicit-def: $vgpr22
                                        ; implicit-def: $vgpr23
                                        ; implicit-def: $vgpr24
                                        ; implicit-def: $vgpr25
                                        ; implicit-def: $vgpr26
                                        ; implicit-def: $vgpr27
                                        ; implicit-def: $vgpr31
                                        ; implicit-def: $vgpr32
	s_branch .LBB12_3134
.LBB12_3133:                            ;   in Loop: Header=BB12_3134 Depth=4
	s_or_b32 exec_lo, exec_lo, s77
	s_wait_loadcnt_dscnt 0xf0f
	flat_store_b16 v[8:9], v35 th:TH_STORE_NT
	s_wait_loadcnt_dscnt 0xe0f
	flat_store_b16 v[8:9], v36 offset:64 th:TH_STORE_NT
	s_wait_loadcnt_dscnt 0xd0f
	flat_store_b16 v[8:9], v37 offset:128 th:TH_STORE_NT
	s_wait_loadcnt_dscnt 0xc0f
	flat_store_b16 v[8:9], v38 offset:192 th:TH_STORE_NT
	s_wait_loadcnt_dscnt 0xb0f
	flat_store_b16 v[8:9], v39 offset:256 th:TH_STORE_NT
	s_wait_loadcnt_dscnt 0xa0f
	flat_store_b16 v[8:9], v48 offset:320 th:TH_STORE_NT
	s_wait_loadcnt_dscnt 0x90f
	flat_store_b16 v[8:9], v49 offset:384 th:TH_STORE_NT
	s_wait_loadcnt_dscnt 0x80f
	flat_store_b16 v[8:9], v50 offset:448 th:TH_STORE_NT
	s_wait_loadcnt_dscnt 0x70f
	flat_store_b16 v[8:9], v51 offset:512 th:TH_STORE_NT
	s_wait_loadcnt_dscnt 0x60f
	flat_store_b16 v[8:9], v52 offset:576 th:TH_STORE_NT
	s_wait_loadcnt_dscnt 0x50f
	flat_store_b16 v[8:9], v53 offset:640 th:TH_STORE_NT
	s_wait_loadcnt_dscnt 0x40f
	flat_store_b16 v[8:9], v54 offset:704 th:TH_STORE_NT
	s_wait_loadcnt_dscnt 0x30f
	flat_store_b16 v[8:9], v55 offset:768 th:TH_STORE_NT
	s_wait_loadcnt_dscnt 0x20f
	flat_store_b16 v[8:9], v64 offset:832 th:TH_STORE_NT
	s_wait_loadcnt_dscnt 0x10f
	flat_store_b16 v[8:9], v65 offset:896 th:TH_STORE_NT
	s_wait_loadcnt_dscnt 0xf
	flat_store_b16 v[8:9], v66 offset:960 th:TH_STORE_NT
	s_wait_xcnt 0x0
	v_add_nc_u64_e32 v[8:9], v[8:9], v[12:13]
	v_add_nc_u64_e32 v[10:11], v[10:11], v[12:13]
	v_sub_nc_u32_e32 v12, v33, v34
	s_delay_alu instid0(VALU_DEP_1) | instskip(NEXT) | instid1(VALU_DEP_4)
	v_cmp_gt_i32_e32 vcc_lo, 1, v12
	v_add_nc_u64_e32 v[8:9], 0x400, v[8:9]
	s_or_b32 s15, vcc_lo, s15
	s_and_not1_b32 s40, s40, exec_lo
	s_and_b32 s77, s41, exec_lo
	s_delay_alu instid0(SALU_CYCLE_1)
	s_or_b32 s40, s40, s77
	s_and_not1_b32 exec_lo, exec_lo, s15
	s_cbranch_execz .LBB12_3138
.LBB12_3134:                            ;   Parent Loop BB12_47 Depth=1
                                        ;     Parent Loop BB12_2951 Depth=2
                                        ;       Parent Loop BB12_2954 Depth=3
                                        ; =>      This Inner Loop Header: Depth=4
	s_clause 0xf
	flat_load_u16 v35, v[10:11] th:TH_LOAD_NT
	flat_load_u16 v36, v[10:11] offset:64 th:TH_LOAD_NT
	flat_load_u16 v37, v[10:11] offset:128 th:TH_LOAD_NT
	;; [unrolled: 1-line block ×15, first 2 shown]
	s_wait_xcnt 0x0
	s_and_saveexec_b32 s77, s41
	s_cbranch_execz .LBB12_3136
; %bb.3135:                             ;   in Loop: Header=BB12_3134 Depth=4
	s_clause 0xf
	flat_store_b16 v[8:9], v7 th:TH_STORE_NT
	flat_store_b16 v[8:9], v15 offset:64 th:TH_STORE_NT
	flat_store_b16 v[8:9], v16 offset:128 th:TH_STORE_NT
	;; [unrolled: 1-line block ×15, first 2 shown]
	s_wait_xcnt 0x0
	v_add_nc_u64_e32 v[8:9], v[8:9], v[104:105]
.LBB12_3136:                            ;   in Loop: Header=BB12_3134 Depth=4
	s_or_b32 exec_lo, exec_lo, s77
	v_dual_mov_b32 v34, 0 :: v_dual_sub_nc_u32 v33, v12, v60
	v_add_nc_u64_e32 v[10:11], v[10:11], v[104:105]
	v_mov_b64_e32 v[12:13], 0
	s_delay_alu instid0(VALU_DEP_3)
	v_cmp_lt_i32_e64 s41, 0, v33
	s_and_saveexec_b32 s77, s41
	s_cbranch_execz .LBB12_3133
; %bb.3137:                             ;   in Loop: Header=BB12_3134 Depth=4
	s_clause 0xf
	flat_load_u16 v7, v[10:11] th:TH_LOAD_NT
	flat_load_u16 v15, v[10:11] offset:64 th:TH_LOAD_NT
	flat_load_u16 v16, v[10:11] offset:128 th:TH_LOAD_NT
	;; [unrolled: 1-line block ×15, first 2 shown]
	s_wait_xcnt 0x0
	v_add_nc_u64_e32 v[10:11], 0x400, v[10:11]
	v_mov_b64_e32 v[12:13], v[78:79]
	v_mov_b32_e32 v34, v60
	s_branch .LBB12_3133
.LBB12_3138:                            ;   in Loop: Header=BB12_2954 Depth=3
	s_or_b32 exec_lo, exec_lo, s15
	s_delay_alu instid0(SALU_CYCLE_1)
	s_and_b32 s15, s40, exec_lo
.LBB12_3139:                            ;   in Loop: Header=BB12_2954 Depth=3
	s_or_b32 exec_lo, exec_lo, s14
	s_and_saveexec_b32 s14, s15
	s_cbranch_execz .LBB12_3141
; %bb.3140:                             ;   in Loop: Header=BB12_2954 Depth=3
	s_clause 0xf
	flat_store_b16 v[8:9], v7 th:TH_STORE_NT
	flat_store_b16 v[8:9], v15 offset:64 th:TH_STORE_NT
	flat_store_b16 v[8:9], v16 offset:128 th:TH_STORE_NT
	;; [unrolled: 1-line block ×15, first 2 shown]
.LBB12_3141:                            ;   in Loop: Header=BB12_2954 Depth=3
	s_wait_xcnt 0x0
	s_or_b32 exec_lo, exec_lo, s14
	v_lshlrev_b32_e32 v6, 10, v6
	s_delay_alu instid0(VALU_DEP_1)
	v_cmp_ne_u32_e32 vcc_lo, v2, v6
	s_and_b32 exec_lo, exec_lo, vcc_lo
	s_cbranch_execz .LBB12_3151
; %bb.3142:                             ;   in Loop: Header=BB12_2954 Depth=3
	v_lshlrev_b32_e32 v7, 5, v12
	s_delay_alu instid0(VALU_DEP_1) | instskip(NEXT) | instid1(VALU_DEP_1)
	v_sub_nc_u32_e32 v7, v14, v7
	v_ashrrev_i32_e32 v8, 31, v7
	s_delay_alu instid0(VALU_DEP_1) | instskip(NEXT) | instid1(VALU_DEP_1)
	v_lshrrev_b32_e32 v8, 27, v8
	v_add_nc_u32_e32 v8, v7, v8
	s_delay_alu instid0(VALU_DEP_1) | instskip(NEXT) | instid1(VALU_DEP_1)
	v_and_b32_e32 v9, 0x7fffffe0, v8
	v_sub_nc_u32_e32 v7, v7, v9
	s_delay_alu instid0(VALU_DEP_1) | instskip(NEXT) | instid1(VALU_DEP_1)
	v_dual_lshlrev_b32 v7, 1, v7 :: v_dual_lshlrev_b32 v8, 1, v8
	v_and_b32_e32 v8, 0xffffffc0, v8
	s_delay_alu instid0(VALU_DEP_1) | instskip(NEXT) | instid1(VALU_DEP_1)
	v_add3_u32 v7, v8, v7, v6
	v_sub_nc_u32_e32 v6, v2, v7
	s_delay_alu instid0(VALU_DEP_1)
	v_cmp_lt_i32_e32 vcc_lo, 1, v6
	s_and_b32 exec_lo, exec_lo, vcc_lo
	s_cbranch_execz .LBB12_3151
; %bb.3143:                             ;   in Loop: Header=BB12_2954 Depth=3
	v_add_nc_u32_e32 v10, v7, v5
	s_mov_b32 s40, 0
	s_mov_b32 s14, 0
                                        ; implicit-def: $sgpr15
                                        ; implicit-def: $vgpr2
	s_delay_alu instid0(VALU_DEP_1) | instskip(NEXT) | instid1(VALU_DEP_1)
	v_ashrrev_i32_e32 v11, 31, v10
	v_add_nc_u64_e32 v[8:9], v[72:73], v[10:11]
	v_add_nc_u64_e32 v[10:11], v[10:11], v[118:119]
	s_branch .LBB12_3145
.LBB12_3144:                            ;   in Loop: Header=BB12_3145 Depth=4
	s_or_b32 exec_lo, exec_lo, s41
	s_delay_alu instid0(VALU_DEP_1) | instskip(NEXT) | instid1(VALU_DEP_2)
	v_sub_nc_u32_e32 v6, v6, v7
	v_add_nc_u64_e32 v[14:15], v[8:9], v[12:13]
	s_wait_loadcnt_dscnt 0x0
	flat_store_b16 v[8:9], v5 th:TH_STORE_NT
	v_add_nc_u64_e32 v[10:11], v[10:11], v[12:13]
	v_cmp_gt_i32_e32 vcc_lo, 2, v6
	s_wait_xcnt 0x0
	v_add_nc_u64_e32 v[8:9], 64, v[14:15]
	s_or_b32 s14, vcc_lo, s14
	s_and_not1_b32 s15, s15, exec_lo
	s_and_b32 s41, s40, exec_lo
	s_delay_alu instid0(SALU_CYCLE_1)
	s_or_b32 s15, s15, s41
	s_and_not1_b32 exec_lo, exec_lo, s14
	s_cbranch_execz .LBB12_3149
.LBB12_3145:                            ;   Parent Loop BB12_47 Depth=1
                                        ;     Parent Loop BB12_2951 Depth=2
                                        ;       Parent Loop BB12_2954 Depth=3
                                        ; =>      This Inner Loop Header: Depth=4
	flat_load_u16 v5, v[10:11] th:TH_LOAD_NT
	s_wait_xcnt 0x0
	s_and_saveexec_b32 s41, s40
	s_cbranch_execz .LBB12_3147
; %bb.3146:                             ;   in Loop: Header=BB12_3145 Depth=4
	v_add_nc_u64_e32 v[12:13], 64, v[92:93]
	flat_store_b16 v[8:9], v2 th:TH_STORE_NT
	v_add_nc_u64_e32 v[12:13], v[8:9], v[12:13]
	s_wait_xcnt 0x0
	s_delay_alu instid0(VALU_DEP_1)
	v_mov_b64_e32 v[8:9], v[12:13]
.LBB12_3147:                            ;   in Loop: Header=BB12_3145 Depth=4
	s_or_b32 exec_lo, exec_lo, s41
	v_add_nc_u64_e32 v[12:13], 64, v[92:93]
	v_dual_mov_b32 v7, 0 :: v_dual_sub_nc_u32 v6, v6, v76
	s_delay_alu instid0(VALU_DEP_1) | instskip(NEXT) | instid1(VALU_DEP_3)
	v_cmp_lt_i32_e64 s40, 1, v6
	v_add_nc_u64_e32 v[10:11], v[10:11], v[12:13]
	v_mov_b64_e32 v[12:13], 0
	s_and_saveexec_b32 s41, s40
	s_cbranch_execz .LBB12_3144
; %bb.3148:                             ;   in Loop: Header=BB12_3145 Depth=4
	flat_load_u16 v2, v[10:11] th:TH_LOAD_NT
	s_wait_xcnt 0x0
	v_add_nc_u64_e32 v[10:11], 64, v[10:11]
	v_mov_b64_e32 v[12:13], v[92:93]
	v_mov_b32_e32 v7, v76
	s_branch .LBB12_3144
.LBB12_3149:                            ;   in Loop: Header=BB12_2954 Depth=3
	s_or_b32 exec_lo, exec_lo, s14
	s_delay_alu instid0(SALU_CYCLE_1)
	s_and_b32 exec_lo, exec_lo, s15
	s_cbranch_execz .LBB12_3151
; %bb.3150:                             ;   in Loop: Header=BB12_2954 Depth=3
	flat_store_b16 v[8:9], v2 th:TH_STORE_NT
.LBB12_3151:                            ;   in Loop: Header=BB12_2954 Depth=3
	s_wait_xcnt 0x0
	s_or_b32 exec_lo, exec_lo, s13
	v_cmp_lt_i32_e64 s13, 0, v1
	s_and_saveexec_b32 s14, s2
	s_cbranch_execz .LBB12_3037
.LBB12_3152:                            ;   in Loop: Header=BB12_2954 Depth=3
	s_and_saveexec_b32 s15, s3
	s_delay_alu instid0(SALU_CYCLE_1)
	s_xor_b32 s15, exec_lo, s15
	s_cbranch_execz .LBB12_3167
; %bb.3153:                             ;   in Loop: Header=BB12_2954 Depth=3
	s_and_saveexec_b32 s40, s6
	s_cbranch_execz .LBB12_3166
; %bb.3154:                             ;   in Loop: Header=BB12_2954 Depth=3
	s_mov_b32 s77, exec_lo
	s_mov_b32 s41, exec_lo
	v_mbcnt_lo_u32_b32 v1, s77, 0
	global_wb scope:SCOPE_DEV
	s_wait_storecnt 0x0
	s_wait_loadcnt_dscnt 0x0
	global_inv scope:SCOPE_DEV
	v_cmpx_eq_u32_e32 0, v1
	s_cbranch_execz .LBB12_3156
; %bb.3155:                             ;   in Loop: Header=BB12_2954 Depth=3
	s_bcnt1_i32_b32 s77, s77
	s_delay_alu instid0(SALU_CYCLE_1)
	v_mov_b32_e32 v2, s77
	s_wait_loadcnt 0x0
	ds_add_u64 v0, v[2:3]
	s_trap 2
.LBB12_3156:                            ;   in Loop: Header=BB12_2954 Depth=3
	s_or_b32 exec_lo, exec_lo, s41
	s_trap 2
	ds_load_b64 v[6:7], v0
	s_wait_dscnt 0x0
	v_add_nc_u64_e32 v[56:57], v[56:57], v[60:61]
	s_mov_b32 s41, exec_lo
	s_delay_alu instid0(VALU_DEP_1)
	v_cmpx_lt_u64_e64 v[6:7], v[56:57]
	s_cbranch_execz .LBB12_3165
; %bb.3157:                             ;   in Loop: Header=BB12_2954 Depth=3
	s_mov_b32 s77, 0
	s_mov_b32 s88, 0
                                        ; implicit-def: $sgpr78
                                        ; implicit-def: $sgpr79
	s_branch .LBB12_3159
.LBB12_3158:                            ;   in Loop: Header=BB12_3159 Depth=4
	s_or_b32 exec_lo, exec_lo, s90
	s_delay_alu instid0(SALU_CYCLE_1) | instskip(NEXT) | instid1(SALU_CYCLE_1)
	s_and_b32 s89, exec_lo, s91
	s_or_b32 s77, s89, s77
	s_and_not1_b32 s78, s78, exec_lo
	s_and_b32 s89, s79, exec_lo
	s_delay_alu instid0(SALU_CYCLE_1)
	s_or_b32 s78, s78, s89
	s_and_not1_b32 exec_lo, exec_lo, s77
	s_cbranch_execz .LBB12_3163
.LBB12_3159:                            ;   Parent Loop BB12_47 Depth=1
                                        ;     Parent Loop BB12_2951 Depth=2
                                        ;       Parent Loop BB12_2954 Depth=3
                                        ; =>      This Inner Loop Header: Depth=4
	s_add_co_i32 s88, s88, 1
	s_delay_alu instid0(SALU_CYCLE_1) | instskip(SKIP_1) | instid1(SALU_CYCLE_1)
	s_cmp_lg_u32 s88, 0x2710
	s_cselect_b32 s89, -1, 0
	s_and_b32 vcc_lo, exec_lo, s89
	s_cbranch_vccz .LBB12_3161
; %bb.3160:                             ;   in Loop: Header=BB12_3159 Depth=4
	s_mov_b32 s91, -1
	s_or_b32 s79, s79, exec_lo
	s_and_saveexec_b32 s90, s89
	s_cbranch_execz .LBB12_3158
	s_branch .LBB12_3162
.LBB12_3161:                            ;   in Loop: Header=BB12_3159 Depth=4
	s_trap 2
	ds_load_b64 v[6:7], v0
	s_and_not1_b32 s89, s89, exec_lo
	s_mov_b32 s88, 0
	s_wait_loadcnt_dscnt 0x0
	flat_load_b32 v1, v[6:7] scope:SCOPE_SYS
	s_wait_loadcnt_dscnt 0x0
	global_inv scope:SCOPE_SYS
	v_cmp_eq_u32_e32 vcc_lo, 0, v1
	s_and_b32 s90, vcc_lo, exec_lo
	s_delay_alu instid0(SALU_CYCLE_1)
	s_or_b32 s89, s89, s90
	s_mov_b32 s91, -1
	s_or_b32 s79, s79, exec_lo
	s_and_saveexec_b32 s90, s89
	s_cbranch_execz .LBB12_3158
.LBB12_3162:                            ;   in Loop: Header=BB12_3159 Depth=4
	s_sleep 1
	s_trap 2
	ds_load_b64 v[6:7], v0
	s_wait_dscnt 0x0
	s_and_not1_b32 s79, s79, exec_lo
	v_cmp_ge_u64_e32 vcc_lo, v[6:7], v[56:57]
	s_or_not1_b32 s91, vcc_lo, exec_lo
	s_branch .LBB12_3158
.LBB12_3163:                            ;   in Loop: Header=BB12_2954 Depth=3
	s_or_b32 exec_lo, exec_lo, s77
	s_and_saveexec_b32 s77, s78
	s_delay_alu instid0(SALU_CYCLE_1)
	s_xor_b32 s77, exec_lo, s77
	s_cbranch_execz .LBB12_3165
; %bb.3164:                             ;   in Loop: Header=BB12_2954 Depth=3
	v_mov_b32_e32 v1, 1
	ds_store_b32 v0, v1
	s_trap 2
.LBB12_3165:                            ;   in Loop: Header=BB12_2954 Depth=3
	s_or_b32 exec_lo, exec_lo, s41
	;;#ASMSTART
	s_wakeup
	;;#ASMEND
.LBB12_3166:                            ;   in Loop: Header=BB12_2954 Depth=3
	s_or_b32 exec_lo, exec_lo, s40
.LBB12_3167:                            ;   in Loop: Header=BB12_2954 Depth=3
	s_and_not1_saveexec_b32 s15, s15
	s_cbranch_execz .LBB12_3169
; %bb.3168:                             ;   in Loop: Header=BB12_2954 Depth=3
	global_wb scope:SCOPE_DEV
	s_wait_storecnt 0x0
	s_wait_loadcnt_dscnt 0x0
	global_inv scope:SCOPE_DEV
	s_barrier_signal -1
	s_barrier_wait -1
.LBB12_3169:                            ;   in Loop: Header=BB12_2954 Depth=3
	s_or_b32 exec_lo, exec_lo, s15
	s_delay_alu instid0(SALU_CYCLE_1) | instskip(SKIP_1) | instid1(SALU_CYCLE_1)
	s_or_b32 exec_lo, exec_lo, s14
                                        ; implicit-def: $vgpr1
	s_and_saveexec_b32 s14, s10
	s_xor_b32 s14, exec_lo, s14
	s_cbranch_execnz .LBB12_3038
.LBB12_3170:                            ;   in Loop: Header=BB12_2954 Depth=3
	s_and_not1_saveexec_b32 s13, s14
	s_cbranch_execz .LBB12_3189
.LBB12_3171:                            ;   in Loop: Header=BB12_2954 Depth=3
	s_and_saveexec_b32 s14, s3
	s_delay_alu instid0(SALU_CYCLE_1)
	s_xor_b32 s14, exec_lo, s14
	s_cbranch_execz .LBB12_3186
; %bb.3172:                             ;   in Loop: Header=BB12_2954 Depth=3
	s_and_saveexec_b32 s15, s6
	s_cbranch_execz .LBB12_3185
; %bb.3173:                             ;   in Loop: Header=BB12_2954 Depth=3
	s_mov_b32 s41, exec_lo
	s_mov_b32 s40, exec_lo
	v_mbcnt_lo_u32_b32 v1, s41, 0
	;;#ASMSTART
	s_waitcnt lgkmcnt(0) vmcnt(0)
	;;#ASMEND
	s_delay_alu instid0(VALU_DEP_1)
	v_cmpx_eq_u32_e32 0, v1
	s_cbranch_execz .LBB12_3175
; %bb.3174:                             ;   in Loop: Header=BB12_2954 Depth=3
	s_bcnt1_i32_b32 s41, s41
	s_delay_alu instid0(SALU_CYCLE_1)
	v_mov_b32_e32 v2, s41
	s_wait_storecnt 0x0
	s_wait_loadcnt_dscnt 0x0
	ds_add_u64 v0, v[2:3]
	s_trap 2
.LBB12_3175:                            ;   in Loop: Header=BB12_2954 Depth=3
	s_or_b32 exec_lo, exec_lo, s40
	s_trap 2
	ds_load_b64 v[6:7], v0
	s_wait_dscnt 0x0
	v_add_nc_u64_e32 v[56:57], v[56:57], v[60:61]
	s_mov_b32 s40, exec_lo
	s_delay_alu instid0(VALU_DEP_1)
	v_cmpx_lt_u64_e64 v[6:7], v[56:57]
	s_cbranch_execz .LBB12_3184
; %bb.3176:                             ;   in Loop: Header=BB12_2954 Depth=3
	s_mov_b32 s41, 0
	s_mov_b32 s79, 0
                                        ; implicit-def: $sgpr77
                                        ; implicit-def: $sgpr78
	s_branch .LBB12_3178
.LBB12_3177:                            ;   in Loop: Header=BB12_3178 Depth=4
	s_or_b32 exec_lo, exec_lo, s89
	s_delay_alu instid0(SALU_CYCLE_1) | instskip(NEXT) | instid1(SALU_CYCLE_1)
	s_and_b32 s88, exec_lo, s90
	s_or_b32 s41, s88, s41
	s_and_not1_b32 s77, s77, exec_lo
	s_and_b32 s88, s78, exec_lo
	s_delay_alu instid0(SALU_CYCLE_1)
	s_or_b32 s77, s77, s88
	s_and_not1_b32 exec_lo, exec_lo, s41
	s_cbranch_execz .LBB12_3182
.LBB12_3178:                            ;   Parent Loop BB12_47 Depth=1
                                        ;     Parent Loop BB12_2951 Depth=2
                                        ;       Parent Loop BB12_2954 Depth=3
                                        ; =>      This Inner Loop Header: Depth=4
	s_add_co_i32 s79, s79, 1
	s_delay_alu instid0(SALU_CYCLE_1) | instskip(SKIP_1) | instid1(SALU_CYCLE_1)
	s_cmp_lg_u32 s79, 0x2710
	s_cselect_b32 s88, -1, 0
	s_and_b32 vcc_lo, exec_lo, s88
	s_cbranch_vccz .LBB12_3180
; %bb.3179:                             ;   in Loop: Header=BB12_3178 Depth=4
	s_mov_b32 s90, -1
	s_or_b32 s78, s78, exec_lo
	s_and_saveexec_b32 s89, s88
	s_cbranch_execz .LBB12_3177
	s_branch .LBB12_3181
.LBB12_3180:                            ;   in Loop: Header=BB12_3178 Depth=4
	s_trap 2
	ds_load_b64 v[6:7], v0
	s_and_not1_b32 s88, s88, exec_lo
	s_mov_b32 s79, 0
	s_wait_storecnt 0x0
	s_wait_loadcnt_dscnt 0x0
	flat_load_b32 v1, v[6:7] scope:SCOPE_SYS
	s_wait_loadcnt_dscnt 0x0
	global_inv scope:SCOPE_SYS
	v_cmp_eq_u32_e32 vcc_lo, 0, v1
	s_and_b32 s89, vcc_lo, exec_lo
	s_delay_alu instid0(SALU_CYCLE_1)
	s_or_b32 s88, s88, s89
	s_mov_b32 s90, -1
	s_or_b32 s78, s78, exec_lo
	s_and_saveexec_b32 s89, s88
	s_cbranch_execz .LBB12_3177
.LBB12_3181:                            ;   in Loop: Header=BB12_3178 Depth=4
	s_sleep 1
	s_trap 2
	ds_load_b64 v[6:7], v0
	s_wait_dscnt 0x0
	s_and_not1_b32 s78, s78, exec_lo
	v_cmp_ge_u64_e32 vcc_lo, v[6:7], v[56:57]
	s_or_not1_b32 s90, vcc_lo, exec_lo
	s_branch .LBB12_3177
.LBB12_3182:                            ;   in Loop: Header=BB12_2954 Depth=3
	s_or_b32 exec_lo, exec_lo, s41
	s_and_saveexec_b32 s41, s77
	s_delay_alu instid0(SALU_CYCLE_1)
	s_xor_b32 s41, exec_lo, s41
	s_cbranch_execz .LBB12_3184
; %bb.3183:                             ;   in Loop: Header=BB12_2954 Depth=3
	v_mov_b32_e32 v1, 1
	ds_store_b32 v0, v1
	s_trap 2
.LBB12_3184:                            ;   in Loop: Header=BB12_2954 Depth=3
	s_or_b32 exec_lo, exec_lo, s40
	;;#ASMSTART
	s_wakeup
	;;#ASMEND
.LBB12_3185:                            ;   in Loop: Header=BB12_2954 Depth=3
	s_or_b32 exec_lo, exec_lo, s15
.LBB12_3186:                            ;   in Loop: Header=BB12_2954 Depth=3
	s_and_not1_saveexec_b32 s14, s14
	s_cbranch_execz .LBB12_3188
; %bb.3187:                             ;   in Loop: Header=BB12_2954 Depth=3
	;;#ASMSTART
	s_waitcnt lgkmcnt(0) vmcnt(0)
	;;#ASMEND
	s_barrier_signal -1
	s_barrier_wait -1
.LBB12_3188:                            ;   in Loop: Header=BB12_2954 Depth=3
	s_or_b32 exec_lo, exec_lo, s14
	v_and_b32_e32 v1, 16, v126
.LBB12_3189:                            ;   in Loop: Header=BB12_2954 Depth=3
	s_or_b32 exec_lo, exec_lo, s13
	s_delay_alu instid0(VALU_DEP_1) | instskip(SKIP_1) | instid1(SALU_CYCLE_1)
	v_cmp_ne_u32_e32 vcc_lo, 0, v1
	s_xor_b32 s13, s4, -1
	s_and_b32 s14, vcc_lo, s13
	s_delay_alu instid0(SALU_CYCLE_1)
	s_and_saveexec_b32 s13, s14
	s_cbranch_execz .LBB12_3191
; %bb.3190:                             ;   in Loop: Header=BB12_2954 Depth=3
	scratch_load_b64 v[6:7], off, s33 offset:288 ; 8-byte Folded Reload
	v_mov_b32_e32 v1, 1
	global_wb scope:SCOPE_SYS
	s_wait_storecnt 0x0
	s_wait_xcnt 0x0
	s_wait_loadcnt_dscnt 0x0
	flat_store_b32 v[6:7], v1 scope:SCOPE_SYS
.LBB12_3191:                            ;   in Loop: Header=BB12_2954 Depth=3
	s_wait_xcnt 0x0
	s_or_b32 exec_lo, exec_lo, s13
	v_and_b32_e32 v1, 48, v126
	s_mov_b32 s13, exec_lo
	s_delay_alu instid0(VALU_DEP_1)
	v_cmpx_ne_u32_e32 0, v1
	s_cbranch_execz .LBB12_2953
; %bb.3192:                             ;   in Loop: Header=BB12_2954 Depth=3
	v_add_nc_u64_e32 v[116:117], 2, v[116:117]
	global_wb scope:SCOPE_SYS
	s_wait_storecnt 0x0
	s_wait_loadcnt_dscnt 0x0
	flat_store_b64 v[40:41], v[116:117] scope:SCOPE_SYS
	s_branch .LBB12_2953
.LBB12_3193:                            ;   in Loop: Header=BB12_2951 Depth=2
	s_or_b32 exec_lo, exec_lo, s74
.LBB12_3194:                            ;   in Loop: Header=BB12_2951 Depth=2
	s_delay_alu instid0(SALU_CYCLE_1) | instskip(NEXT) | instid1(SALU_CYCLE_1)
	s_or_b32 exec_lo, exec_lo, s27
	s_mov_b32 s14, exec_lo
	v_cmpx_gt_i32_e32 2, v1
	s_cbranch_execz .LBB12_3270
; %bb.3195:                             ;   in Loop: Header=BB12_2951 Depth=2
	v_cmp_eq_u32_e64 s27, 0, v1
	s_mov_b32 s15, 0
	s_branch .LBB12_3197
.LBB12_3196:                            ;   in Loop: Header=BB12_3197 Depth=3
	s_wait_xcnt 0x0
	s_or_b32 exec_lo, exec_lo, s13
	v_add_nc_u32_e32 v4, v0, v4
	s_mov_b32 s27, 0
	s_and_not1_b32 exec_lo, exec_lo, s15
	s_cbranch_execz .LBB12_3269
.LBB12_3197:                            ;   Parent Loop BB12_47 Depth=1
                                        ;     Parent Loop BB12_2951 Depth=2
                                        ; =>    This Loop Header: Depth=3
                                        ;         Child Loop BB12_3203 Depth 4
                                        ;         Child Loop BB12_3231 Depth 4
                                        ;         Child Loop BB12_3254 Depth 4
	s_delay_alu instid0(VALU_DEP_1) | instskip(SKIP_1) | instid1(VALU_DEP_1)
	v_dual_sub_nc_u32 v1, v30, v4 :: v_dual_bitop2_b32 v2, 12, v126 bitop3:0x40
	s_mov_b32 s40, exec_lo
	v_min_i32_e32 v0, v0, v1
	s_delay_alu instid0(VALU_DEP_2)
	v_cmpx_ne_u32_e32 0, v2
	s_cbranch_execz .LBB12_3223
; %bb.3198:                             ;   in Loop: Header=BB12_3197 Depth=3
	v_and_b32_e32 v2, 8, v126
	s_wait_loadcnt 0x0
	v_add_nc_u64_e32 v[8:9], 2, v[116:117]
	s_mov_b32 s41, exec_lo
	s_wait_dscnt 0x1
	v_add_nc_u64_e32 v[6:7], v[58:59], v[2:3]
	s_delay_alu instid0(VALU_DEP_1)
	v_cmpx_lt_u64_e64 v[6:7], v[8:9]
	s_cbranch_execz .LBB12_3210
; %bb.3199:                             ;   in Loop: Header=BB12_3197 Depth=3
	v_and_b32_e32 v1, 64, v126
	s_mov_b32 s74, 0
	s_mov_b32 s78, 0
                                        ; implicit-def: $sgpr75
                                        ; implicit-def: $sgpr76
                                        ; implicit-def: $sgpr77
	s_delay_alu instid0(VALU_DEP_1)
	v_cmp_eq_u32_e32 vcc_lo, 0, v1
	s_branch .LBB12_3203
.LBB12_3200:                            ;   in Loop: Header=BB12_3203 Depth=4
	s_wait_loadcnt_dscnt 0x0
	v_add_nc_u64_e32 v[6:7], v[58:59], v[2:3]
	s_or_b32 s89, s89, exec_lo
	s_delay_alu instid0(VALU_DEP_1)
	v_cmp_ge_u64_e64 s13, v[6:7], v[8:9]
	s_or_not1_b32 s88, s13, exec_lo
.LBB12_3201:                            ;   in Loop: Header=BB12_3203 Depth=4
	s_or_b32 exec_lo, exec_lo, s91
	s_delay_alu instid0(SALU_CYCLE_1)
	s_and_not1_b32 s13, s77, exec_lo
	s_and_b32 s77, s89, exec_lo
	s_and_not1_b32 s76, s76, exec_lo
	s_and_b32 s88, s88, exec_lo
	s_or_b32 s77, s13, s77
	s_or_b32 s76, s76, s88
.LBB12_3202:                            ;   in Loop: Header=BB12_3203 Depth=4
	s_or_b32 exec_lo, exec_lo, s79
	s_delay_alu instid0(SALU_CYCLE_1) | instskip(NEXT) | instid1(SALU_CYCLE_1)
	s_and_b32 s13, exec_lo, s76
	s_or_b32 s74, s13, s74
	s_and_not1_b32 s13, s75, exec_lo
	s_and_b32 s75, s77, exec_lo
	s_delay_alu instid0(SALU_CYCLE_1)
	s_or_b32 s75, s13, s75
	s_and_not1_b32 exec_lo, exec_lo, s74
	s_cbranch_execz .LBB12_3207
.LBB12_3203:                            ;   Parent Loop BB12_47 Depth=1
                                        ;     Parent Loop BB12_2951 Depth=2
                                        ;       Parent Loop BB12_3197 Depth=3
                                        ; =>      This Inner Loop Header: Depth=4
	s_sleep 1
	s_wait_loadcnt_dscnt 0x0
	flat_load_b64 v[58:59], v[40:41] scope:SCOPE_SYS
	s_or_b32 s77, s77, exec_lo
	s_or_b32 s76, s76, exec_lo
                                        ; implicit-def: $vgpr1
	s_wait_xcnt 0x0
	s_and_saveexec_b32 s79, vcc_lo
	s_cbranch_execz .LBB12_3202
; %bb.3204:                             ;   in Loop: Header=BB12_3203 Depth=4
	s_cmp_lt_i32 s78, 0x270f
	s_mov_b32 s88, -1
	s_cselect_b32 s90, -1, 0
	s_cmp_gt_i32 s78, 0x270e
	s_cbranch_scc0 .LBB12_3206
; %bb.3205:                             ;   in Loop: Header=BB12_3203 Depth=4
	s_trap 2
	ds_load_b64 v[6:7], v0
	s_and_not1_b32 s78, s90, exec_lo
	s_mov_b32 s89, 0
	s_wait_storecnt 0x0
	s_wait_loadcnt_dscnt 0x0
	flat_load_b32 v1, v[6:7] scope:SCOPE_SYS
	s_wait_loadcnt_dscnt 0x0
	global_inv scope:SCOPE_SYS
	v_cmp_eq_u32_e64 s13, 0, v1
	s_and_b32 s13, s13, exec_lo
	s_delay_alu instid0(SALU_CYCLE_1)
	s_or_b32 s90, s78, s13
	s_mov_b32 s78, 0
	s_and_saveexec_b32 s91, s90
	s_cbranch_execz .LBB12_3201
	s_branch .LBB12_3200
.LBB12_3206:                            ;   in Loop: Header=BB12_3203 Depth=4
	s_add_co_i32 s78, s78, 1
	s_mov_b32 s89, -1
                                        ; implicit-def: $vgpr1
	s_and_saveexec_b32 s91, s90
	s_cbranch_execz .LBB12_3201
	s_branch .LBB12_3200
.LBB12_3207:                            ;   in Loop: Header=BB12_3197 Depth=3
	s_or_b32 exec_lo, exec_lo, s74
	s_xor_b32 s13, s75, -1
	s_delay_alu instid0(SALU_CYCLE_1) | instskip(NEXT) | instid1(SALU_CYCLE_1)
	s_and_saveexec_b32 s74, s13
	s_xor_b32 s13, exec_lo, s74
	s_cbranch_execz .LBB12_3209
; %bb.3208:                             ;   in Loop: Header=BB12_3197 Depth=3
	v_or_b32_e32 v126, 64, v126
	s_wait_storecnt 0x0
	s_wait_loadcnt_dscnt 0x0
	ds_store_b32 v0, v1
	s_trap 2
.LBB12_3209:                            ;   in Loop: Header=BB12_3197 Depth=3
	s_or_b32 exec_lo, exec_lo, s13
.LBB12_3210:                            ;   in Loop: Header=BB12_3197 Depth=3
	s_delay_alu instid0(SALU_CYCLE_1) | instskip(SKIP_3) | instid1(VALU_DEP_1)
	s_or_b32 exec_lo, exec_lo, s41
	v_and_b32_e32 v1, 0x108, v126
	s_mov_b32 s13, exec_lo
	;;#ASMSTART
	s_wakeup
	;;#ASMEND
                                        ; implicit-def: $vgpr10_vgpr11
	v_cmpx_ne_u32_e32 0x108, v1
	s_xor_b32 s13, exec_lo, s13
; %bb.3211:                             ;   in Loop: Header=BB12_3197 Depth=3
	v_dual_mov_b32 v11, v3 :: v_dual_bitop2_b32 v10, 7, v116 bitop3:0x40
                                        ; implicit-def: $vgpr116_vgpr117
; %bb.3212:                             ;   in Loop: Header=BB12_3197 Depth=3
	s_and_not1_saveexec_b32 s13, s13
	s_cbranch_execz .LBB12_3214
; %bb.3213:                             ;   in Loop: Header=BB12_3197 Depth=3
	scratch_load_b128 v[12:15], off, s33 offset:272 ; 16-byte Folded Reload
	v_dual_mov_b32 v11, v3 :: v_dual_bitop2_b32 v10, 7, v116 bitop3:0x40
	v_ashrrev_i32_e32 v1, 31, v0
	s_wait_loadcnt 0x0
	s_delay_alu instid0(VALU_DEP_2) | instskip(NEXT) | instid1(VALU_DEP_2)
	v_mad_nc_u64_u32 v[6:7], v10, 24, v[12:13]
	v_lshlrev_b64_e32 v[12:13], 1, v[0:1]
	flat_store_b64 v[6:7], v[12:13] offset:8
.LBB12_3214:                            ;   in Loop: Header=BB12_3197 Depth=3
	s_wait_xcnt 0x0
	s_or_b32 exec_lo, exec_lo, s13
	v_and_b32_e32 v1, 0x100, v126
	s_mov_b32 s13, -1
	s_mov_b32 s41, exec_lo
                                        ; implicit-def: $vgpr12_vgpr13
	s_delay_alu instid0(VALU_DEP_1)
	v_cmpx_ne_u32_e32 0, v1
	s_cbranch_execz .LBB12_3218
; %bb.3215:                             ;   in Loop: Header=BB12_3197 Depth=3
	scratch_load_b128 v[12:15], off, s33 offset:272 ; 16-byte Folded Reload
	s_mov_b32 s74, exec_lo
	s_wait_loadcnt 0x0
	v_mad_nc_u64_u32 v[14:15], v10, 24, v[12:13]
                                        ; implicit-def: $vgpr12_vgpr13
	s_delay_alu instid0(VALU_DEP_1)
	v_mad_u32 v15, v11, 24, v15
	flat_load_b32 v1, v[14:15]
	s_wait_loadcnt_dscnt 0x0
	v_cmp_ne_u32_e32 vcc_lo, 1, v1
	s_wait_xcnt 0x0
	v_cmpx_eq_u32_e32 1, v1
	s_cbranch_execz .LBB12_3217
; %bb.3216:                             ;   in Loop: Header=BB12_3197 Depth=3
	flat_load_b32 v6, v[14:15] offset:4 scope:SCOPE_SYS
	s_wait_loadcnt_dscnt 0x0
	v_ashrrev_i32_e32 v7, 31, v6
	s_delay_alu instid0(VALU_DEP_1)
	v_lshrrev_b64 v[12:13], 1, v[6:7]
.LBB12_3217:                            ;   in Loop: Header=BB12_3197 Depth=3
	s_wait_xcnt 0x0
	s_or_b32 exec_lo, exec_lo, s74
	s_delay_alu instid0(SALU_CYCLE_1)
	s_or_not1_b32 s13, vcc_lo, exec_lo
.LBB12_3218:                            ;   in Loop: Header=BB12_3197 Depth=3
	s_or_b32 exec_lo, exec_lo, s41
	s_and_saveexec_b32 s41, s13
	s_cbranch_execz .LBB12_3220
; %bb.3219:                             ;   in Loop: Header=BB12_3197 Depth=3
	scratch_load_b64 v[6:7], off, s33 offset:296 ; 8-byte Folded Reload
	s_wait_loadcnt 0x0
	v_mul_u64_e32 v[12:13], v[10:11], v[6:7]
.LBB12_3220:                            ;   in Loop: Header=BB12_3197 Depth=3
	s_wait_xcnt 0x0
	s_or_b32 exec_lo, exec_lo, s41
	scratch_load_b64 v[6:7], off, s33 offset:264 ; 8-byte Folded Reload
	v_cmp_eq_u32_e32 vcc_lo, 0, v2
	v_mov_b32_e32 v1, 0x88
	v_and_b32_e32 v2, 0x2000, v126
	s_mov_b32 s13, exec_lo
	s_delay_alu instid0(VALU_DEP_2) | instskip(NEXT) | instid1(VALU_DEP_1)
	v_cndmask_b32_e32 v1, 0xd0, v1, vcc_lo
	v_add_nc_u32_e32 v1, v0, v1
	s_wait_loadcnt 0x0
	v_lshl_add_u64 v[6:7], v[12:13], 1, v[6:7]
	ds_store_b64 v1, v[6:7] offset:584
	s_wait_xcnt 0x0
	v_cmpx_ne_u32_e32 0, v2
	s_cbranch_execz .LBB12_3222
; %bb.3221:                             ;   in Loop: Header=BB12_3197 Depth=3
	ds_load_b64 v[6:7], v0 offset:872
	s_wait_dscnt 0x0
	v_add_nc_u64_e32 v[6:7], 1, v[6:7]
	ds_store_b64 v0, v[6:7] offset:872
.LBB12_3222:                            ;   in Loop: Header=BB12_3197 Depth=3
	s_or_b32 exec_lo, exec_lo, s13
	v_mov_b64_e32 v[116:117], v[8:9]
.LBB12_3223:                            ;   in Loop: Header=BB12_3197 Depth=3
	s_or_b32 exec_lo, exec_lo, s40
	s_xor_b32 s13, s27, -1
	s_delay_alu instid0(SALU_CYCLE_1) | instskip(NEXT) | instid1(SALU_CYCLE_1)
	s_and_b32 s13, exec_lo, s13
	s_or_b32 s15, s13, s15
	s_and_saveexec_b32 s13, s2
	s_cbranch_execz .LBB12_3242
; %bb.3224:                             ;   in Loop: Header=BB12_3197 Depth=3
	s_and_saveexec_b32 s27, s3
	s_delay_alu instid0(SALU_CYCLE_1)
	s_xor_b32 s27, exec_lo, s27
	s_cbranch_execz .LBB12_3239
; %bb.3225:                             ;   in Loop: Header=BB12_3197 Depth=3
	s_and_saveexec_b32 s40, s6
	s_cbranch_execz .LBB12_3238
; %bb.3226:                             ;   in Loop: Header=BB12_3197 Depth=3
	s_mov_b32 s74, exec_lo
	s_mov_b32 s41, exec_lo
	v_mbcnt_lo_u32_b32 v1, s74, 0
	global_wb scope:SCOPE_DEV
	s_wait_storecnt 0x0
	s_wait_loadcnt_dscnt 0x0
	global_inv scope:SCOPE_DEV
	v_cmpx_eq_u32_e32 0, v1
	s_cbranch_execz .LBB12_3228
; %bb.3227:                             ;   in Loop: Header=BB12_3197 Depth=3
	s_bcnt1_i32_b32 s74, s74
	s_delay_alu instid0(SALU_CYCLE_1)
	v_mov_b32_e32 v2, s74
	s_wait_loadcnt 0x0
	ds_add_u64 v0, v[2:3]
	s_trap 2
.LBB12_3228:                            ;   in Loop: Header=BB12_3197 Depth=3
	s_or_b32 exec_lo, exec_lo, s41
	s_trap 2
	ds_load_b64 v[6:7], v0
	s_wait_dscnt 0x0
	v_add_nc_u64_e32 v[56:57], v[56:57], v[60:61]
	s_mov_b32 s41, exec_lo
	s_delay_alu instid0(VALU_DEP_1)
	v_cmpx_lt_u64_e64 v[6:7], v[56:57]
	s_cbranch_execz .LBB12_3237
; %bb.3229:                             ;   in Loop: Header=BB12_3197 Depth=3
	s_mov_b32 s74, 0
	s_mov_b32 s77, 0
                                        ; implicit-def: $sgpr75
                                        ; implicit-def: $sgpr76
	s_branch .LBB12_3231
.LBB12_3230:                            ;   in Loop: Header=BB12_3231 Depth=4
	s_or_b32 exec_lo, exec_lo, s79
	s_delay_alu instid0(SALU_CYCLE_1) | instskip(NEXT) | instid1(SALU_CYCLE_1)
	s_and_b32 s78, exec_lo, s88
	s_or_b32 s74, s78, s74
	s_and_not1_b32 s75, s75, exec_lo
	s_and_b32 s78, s76, exec_lo
	s_delay_alu instid0(SALU_CYCLE_1)
	s_or_b32 s75, s75, s78
	s_and_not1_b32 exec_lo, exec_lo, s74
	s_cbranch_execz .LBB12_3235
.LBB12_3231:                            ;   Parent Loop BB12_47 Depth=1
                                        ;     Parent Loop BB12_2951 Depth=2
                                        ;       Parent Loop BB12_3197 Depth=3
                                        ; =>      This Inner Loop Header: Depth=4
	s_add_co_i32 s77, s77, 1
	s_delay_alu instid0(SALU_CYCLE_1) | instskip(SKIP_1) | instid1(SALU_CYCLE_1)
	s_cmp_lg_u32 s77, 0x2710
	s_cselect_b32 s78, -1, 0
	s_and_b32 vcc_lo, exec_lo, s78
	s_cbranch_vccz .LBB12_3233
; %bb.3232:                             ;   in Loop: Header=BB12_3231 Depth=4
	s_mov_b32 s88, -1
	s_or_b32 s76, s76, exec_lo
	s_and_saveexec_b32 s79, s78
	s_cbranch_execz .LBB12_3230
	s_branch .LBB12_3234
.LBB12_3233:                            ;   in Loop: Header=BB12_3231 Depth=4
	s_trap 2
	ds_load_b64 v[6:7], v0
	s_and_not1_b32 s78, s78, exec_lo
	s_mov_b32 s77, 0
	s_wait_loadcnt_dscnt 0x0
	flat_load_b32 v1, v[6:7] scope:SCOPE_SYS
	s_wait_loadcnt_dscnt 0x0
	global_inv scope:SCOPE_SYS
	v_cmp_eq_u32_e32 vcc_lo, 0, v1
	s_and_b32 s79, vcc_lo, exec_lo
	s_delay_alu instid0(SALU_CYCLE_1)
	s_or_b32 s78, s78, s79
	s_mov_b32 s88, -1
	s_or_b32 s76, s76, exec_lo
	s_and_saveexec_b32 s79, s78
	s_cbranch_execz .LBB12_3230
.LBB12_3234:                            ;   in Loop: Header=BB12_3231 Depth=4
	s_sleep 1
	s_trap 2
	ds_load_b64 v[6:7], v0
	s_wait_dscnt 0x0
	s_and_not1_b32 s76, s76, exec_lo
	v_cmp_ge_u64_e32 vcc_lo, v[6:7], v[56:57]
	s_or_not1_b32 s88, vcc_lo, exec_lo
	s_branch .LBB12_3230
.LBB12_3235:                            ;   in Loop: Header=BB12_3197 Depth=3
	s_or_b32 exec_lo, exec_lo, s74
	s_and_saveexec_b32 s74, s75
	s_delay_alu instid0(SALU_CYCLE_1)
	s_xor_b32 s74, exec_lo, s74
	s_cbranch_execz .LBB12_3237
; %bb.3236:                             ;   in Loop: Header=BB12_3197 Depth=3
	v_mov_b32_e32 v1, 1
	ds_store_b32 v0, v1
	s_trap 2
.LBB12_3237:                            ;   in Loop: Header=BB12_3197 Depth=3
	s_or_b32 exec_lo, exec_lo, s41
	;;#ASMSTART
	s_wakeup
	;;#ASMEND
.LBB12_3238:                            ;   in Loop: Header=BB12_3197 Depth=3
	s_or_b32 exec_lo, exec_lo, s40
.LBB12_3239:                            ;   in Loop: Header=BB12_3197 Depth=3
	s_and_not1_saveexec_b32 s27, s27
	s_cbranch_execz .LBB12_3241
; %bb.3240:                             ;   in Loop: Header=BB12_3197 Depth=3
	global_wb scope:SCOPE_DEV
	s_wait_storecnt 0x0
	s_wait_loadcnt_dscnt 0x0
	global_inv scope:SCOPE_DEV
	s_barrier_signal -1
	s_barrier_wait -1
.LBB12_3241:                            ;   in Loop: Header=BB12_3197 Depth=3
	s_or_b32 exec_lo, exec_lo, s27
.LBB12_3242:                            ;   in Loop: Header=BB12_3197 Depth=3
	s_delay_alu instid0(SALU_CYCLE_1) | instskip(SKIP_1) | instid1(SALU_CYCLE_1)
	s_or_b32 exec_lo, exec_lo, s13
                                        ; implicit-def: $vgpr1
	s_and_saveexec_b32 s13, s10
	s_xor_b32 s27, exec_lo, s13
	s_cbranch_execz .LBB12_3246
; %bb.3243:                             ;   in Loop: Header=BB12_3197 Depth=3
	s_trap 2
	ds_load_b32 v1, v0
	v_cmp_lt_i32_e32 vcc_lo, 0, v0
	s_wait_dscnt 0x0
	v_readfirstlane_b32 s13, v1
	v_and_b32_e32 v1, 16, v126
	s_cmp_eq_u32 s13, 0
	s_delay_alu instid0(VALU_DEP_1) | instskip(SKIP_3) | instid1(SALU_CYCLE_1)
	v_cmp_ne_u32_e64 s13, 0, v1
	s_cselect_b32 s40, -1, 0
	v_and_b32_e32 v1, 16, v126
	s_and_b32 s40, vcc_lo, s40
	s_and_b32 s40, s13, s40
	s_delay_alu instid0(SALU_CYCLE_1)
	s_and_saveexec_b32 s13, s40
	s_cbranch_execz .LBB12_3245
; %bb.3244:                             ;   in Loop: Header=BB12_3197 Depth=3
	v_mov_b32_e32 v1, 1
	global_wb scope:SCOPE_SYS
	s_wait_loadcnt 0x0
	s_wait_storecnt 0x0
	global_inv scope:SCOPE_SYS
.LBB12_3245:                            ;   in Loop: Header=BB12_3197 Depth=3
	s_or_b32 exec_lo, exec_lo, s13
	s_and_not1_saveexec_b32 s13, s27
	s_cbranch_execz .LBB12_3265
	s_branch .LBB12_3247
.LBB12_3246:                            ;   in Loop: Header=BB12_3197 Depth=3
	s_and_not1_saveexec_b32 s13, s27
	s_cbranch_execz .LBB12_3265
.LBB12_3247:                            ;   in Loop: Header=BB12_3197 Depth=3
	s_and_saveexec_b32 s27, s3
	s_delay_alu instid0(SALU_CYCLE_1)
	s_xor_b32 s27, exec_lo, s27
	s_cbranch_execz .LBB12_3262
; %bb.3248:                             ;   in Loop: Header=BB12_3197 Depth=3
	s_and_saveexec_b32 s40, s6
	s_cbranch_execz .LBB12_3261
; %bb.3249:                             ;   in Loop: Header=BB12_3197 Depth=3
	s_mov_b32 s74, exec_lo
	s_mov_b32 s41, exec_lo
	v_mbcnt_lo_u32_b32 v1, s74, 0
	;;#ASMSTART
	s_waitcnt lgkmcnt(0) vmcnt(0)
	;;#ASMEND
	s_delay_alu instid0(VALU_DEP_1)
	v_cmpx_eq_u32_e32 0, v1
	s_cbranch_execz .LBB12_3251
; %bb.3250:                             ;   in Loop: Header=BB12_3197 Depth=3
	s_bcnt1_i32_b32 s74, s74
	s_delay_alu instid0(SALU_CYCLE_1)
	v_mov_b32_e32 v2, s74
	s_wait_storecnt 0x0
	s_wait_loadcnt_dscnt 0x0
	ds_add_u64 v0, v[2:3]
	s_trap 2
.LBB12_3251:                            ;   in Loop: Header=BB12_3197 Depth=3
	s_or_b32 exec_lo, exec_lo, s41
	s_trap 2
	ds_load_b64 v[6:7], v0
	s_wait_dscnt 0x0
	v_add_nc_u64_e32 v[56:57], v[56:57], v[60:61]
	s_mov_b32 s41, exec_lo
	s_delay_alu instid0(VALU_DEP_1)
	v_cmpx_lt_u64_e64 v[6:7], v[56:57]
	s_cbranch_execz .LBB12_3260
; %bb.3252:                             ;   in Loop: Header=BB12_3197 Depth=3
	s_mov_b32 s74, 0
	s_mov_b32 s77, 0
                                        ; implicit-def: $sgpr75
                                        ; implicit-def: $sgpr76
	s_branch .LBB12_3254
.LBB12_3253:                            ;   in Loop: Header=BB12_3254 Depth=4
	s_or_b32 exec_lo, exec_lo, s79
	s_delay_alu instid0(SALU_CYCLE_1) | instskip(NEXT) | instid1(SALU_CYCLE_1)
	s_and_b32 s78, exec_lo, s88
	s_or_b32 s74, s78, s74
	s_and_not1_b32 s75, s75, exec_lo
	s_and_b32 s78, s76, exec_lo
	s_delay_alu instid0(SALU_CYCLE_1)
	s_or_b32 s75, s75, s78
	s_and_not1_b32 exec_lo, exec_lo, s74
	s_cbranch_execz .LBB12_3258
.LBB12_3254:                            ;   Parent Loop BB12_47 Depth=1
                                        ;     Parent Loop BB12_2951 Depth=2
                                        ;       Parent Loop BB12_3197 Depth=3
                                        ; =>      This Inner Loop Header: Depth=4
	s_add_co_i32 s77, s77, 1
	s_delay_alu instid0(SALU_CYCLE_1) | instskip(SKIP_1) | instid1(SALU_CYCLE_1)
	s_cmp_lg_u32 s77, 0x2710
	s_cselect_b32 s78, -1, 0
	s_and_b32 vcc_lo, exec_lo, s78
	s_cbranch_vccz .LBB12_3256
; %bb.3255:                             ;   in Loop: Header=BB12_3254 Depth=4
	s_mov_b32 s88, -1
	s_or_b32 s76, s76, exec_lo
	s_and_saveexec_b32 s79, s78
	s_cbranch_execz .LBB12_3253
	s_branch .LBB12_3257
.LBB12_3256:                            ;   in Loop: Header=BB12_3254 Depth=4
	s_trap 2
	ds_load_b64 v[6:7], v0
	s_and_not1_b32 s78, s78, exec_lo
	s_mov_b32 s77, 0
	s_wait_storecnt 0x0
	s_wait_loadcnt_dscnt 0x0
	flat_load_b32 v1, v[6:7] scope:SCOPE_SYS
	s_wait_loadcnt_dscnt 0x0
	global_inv scope:SCOPE_SYS
	v_cmp_eq_u32_e32 vcc_lo, 0, v1
	s_and_b32 s79, vcc_lo, exec_lo
	s_delay_alu instid0(SALU_CYCLE_1)
	s_or_b32 s78, s78, s79
	s_mov_b32 s88, -1
	s_or_b32 s76, s76, exec_lo
	s_and_saveexec_b32 s79, s78
	s_cbranch_execz .LBB12_3253
.LBB12_3257:                            ;   in Loop: Header=BB12_3254 Depth=4
	s_sleep 1
	s_trap 2
	ds_load_b64 v[6:7], v0
	s_wait_dscnt 0x0
	s_and_not1_b32 s76, s76, exec_lo
	v_cmp_ge_u64_e32 vcc_lo, v[6:7], v[56:57]
	s_or_not1_b32 s88, vcc_lo, exec_lo
	s_branch .LBB12_3253
.LBB12_3258:                            ;   in Loop: Header=BB12_3197 Depth=3
	s_or_b32 exec_lo, exec_lo, s74
	s_and_saveexec_b32 s74, s75
	s_delay_alu instid0(SALU_CYCLE_1)
	s_xor_b32 s74, exec_lo, s74
	s_cbranch_execz .LBB12_3260
; %bb.3259:                             ;   in Loop: Header=BB12_3197 Depth=3
	v_mov_b32_e32 v1, 1
	ds_store_b32 v0, v1
	s_trap 2
.LBB12_3260:                            ;   in Loop: Header=BB12_3197 Depth=3
	s_or_b32 exec_lo, exec_lo, s41
	;;#ASMSTART
	s_wakeup
	;;#ASMEND
.LBB12_3261:                            ;   in Loop: Header=BB12_3197 Depth=3
	s_or_b32 exec_lo, exec_lo, s40
.LBB12_3262:                            ;   in Loop: Header=BB12_3197 Depth=3
	s_and_not1_saveexec_b32 s27, s27
	s_cbranch_execz .LBB12_3264
; %bb.3263:                             ;   in Loop: Header=BB12_3197 Depth=3
	;;#ASMSTART
	s_waitcnt lgkmcnt(0) vmcnt(0)
	;;#ASMEND
	s_barrier_signal -1
	s_barrier_wait -1
.LBB12_3264:                            ;   in Loop: Header=BB12_3197 Depth=3
	s_or_b32 exec_lo, exec_lo, s27
	v_and_b32_e32 v1, 16, v126
.LBB12_3265:                            ;   in Loop: Header=BB12_3197 Depth=3
	s_or_b32 exec_lo, exec_lo, s13
	s_delay_alu instid0(VALU_DEP_1) | instskip(SKIP_1) | instid1(SALU_CYCLE_1)
	v_cmp_ne_u32_e32 vcc_lo, 0, v1
	s_xor_b32 s13, s4, -1
	s_and_b32 s27, vcc_lo, s13
	s_delay_alu instid0(SALU_CYCLE_1)
	s_and_saveexec_b32 s13, s27
	s_cbranch_execz .LBB12_3267
; %bb.3266:                             ;   in Loop: Header=BB12_3197 Depth=3
	scratch_load_b64 v[6:7], off, s33 offset:288 ; 8-byte Folded Reload
	v_mov_b32_e32 v1, 1
	global_wb scope:SCOPE_SYS
	s_wait_storecnt 0x0
	s_wait_xcnt 0x0
	s_wait_loadcnt_dscnt 0x0
	flat_store_b32 v[6:7], v1 scope:SCOPE_SYS
.LBB12_3267:                            ;   in Loop: Header=BB12_3197 Depth=3
	s_wait_xcnt 0x0
	s_or_b32 exec_lo, exec_lo, s13
	v_and_b32_e32 v1, 48, v126
	s_mov_b32 s13, exec_lo
	s_delay_alu instid0(VALU_DEP_1)
	v_cmpx_ne_u32_e32 0, v1
	s_cbranch_execz .LBB12_3196
; %bb.3268:                             ;   in Loop: Header=BB12_3197 Depth=3
	v_add_nc_u64_e32 v[116:117], 2, v[116:117]
	global_wb scope:SCOPE_SYS
	s_wait_storecnt 0x0
	s_wait_loadcnt_dscnt 0x0
	flat_store_b64 v[40:41], v[116:117] scope:SCOPE_SYS
	s_branch .LBB12_3196
.LBB12_3269:                            ;   in Loop: Header=BB12_2951 Depth=2
	s_or_b32 exec_lo, exec_lo, s15
.LBB12_3270:                            ;   in Loop: Header=BB12_2951 Depth=2
	s_delay_alu instid0(SALU_CYCLE_1)
	s_or_b32 exec_lo, exec_lo, s14
	s_add_co_i32 s13, s18, 1
	s_cmp_eq_u32 s18, s62
	s_cbranch_scc1 .LBB12_3272
; %bb.3271:                             ;   in Loop: Header=BB12_2951 Depth=2
	s_mov_b32 s18, s13
	s_branch .LBB12_2951
.LBB12_3272:                            ;   in Loop: Header=BB12_47 Depth=1
	s_clause 0x1
	scratch_load_b64 v[6:7], off, s33 offset:352
	scratch_load_b64 v[0:1], off, s33 offset:344 th:TH_LOAD_LU
	s_wait_loadcnt 0x1
	v_mul_u64_e32 v[4:5], s[28:29], v[6:7]
	s_wait_loadcnt 0x0
	s_delay_alu instid0(VALU_DEP_1) | instskip(NEXT) | instid1(VALU_DEP_1)
	v_sub_nc_u64_e32 v[0:1], v[0:1], v[4:5]
	v_min_i64 v[0:1], v[6:7], v[0:1]
	s_delay_alu instid0(VALU_DEP_1) | instskip(SKIP_1) | instid1(VALU_DEP_2)
	v_max_i32_e32 v74, 0, v0
	v_cmp_lt_i32_e32 vcc_lo, 0, v0
	v_dual_mov_b32 v0, 0 :: v_dual_add_nc_u32 v1, 31, v74
	s_and_b32 s13, s63, vcc_lo
	s_delay_alu instid0(VALU_DEP_1) | instskip(NEXT) | instid1(VALU_DEP_1)
	v_lshrrev_b32_e32 v1, 1, v1
	v_and_b32_e32 v2, 0x3ffffff0, v1
	s_delay_alu instid0(VALU_DEP_1)
	v_dual_mov_b32 v1, 0 :: v_dual_max_i32 v75, s45, v2
	s_wait_xcnt 0x0
	s_and_saveexec_b32 s14, s13
	s_cbranch_execz .LBB12_3441
; %bb.3273:                             ;   in Loop: Header=BB12_47 Depth=1
	scratch_load_b64 v[0:1], off, s33 offset:320 th:TH_LOAD_LU ; 8-byte Folded Reload
	s_mov_b32 s27, 1
	s_mov_b32 s18, -1
	s_mov_b32 s15, 0
	s_wait_loadcnt 0x0
	v_add_nc_u64_e32 v[0:1], v[4:5], v[0:1]
	s_delay_alu instid0(VALU_DEP_1)
	v_lshlrev_b64_e32 v[4:5], 1, v[0:1]
	v_mov_b32_e32 v0, 0
	s_branch .LBB12_3275
.LBB12_3274:                            ;   in Loop: Header=BB12_3275 Depth=2
	s_wait_xcnt 0x0
	s_or_b32 exec_lo, exec_lo, s13
	v_dual_mov_b32 v1, s27 :: v_dual_add_nc_u32 v0, v75, v0
	s_xor_b32 s13, s18, -1
	s_mov_b32 s18, 0
	s_mov_b32 s27, 2
	s_delay_alu instid0(VALU_DEP_1) | instskip(SKIP_1) | instid1(SALU_CYCLE_1)
	v_cmp_ge_i32_e32 vcc_lo, v0, v74
	s_or_b32 s13, s13, vcc_lo
	s_and_b32 s13, exec_lo, s13
	s_delay_alu instid0(SALU_CYCLE_1) | instskip(NEXT) | instid1(SALU_CYCLE_1)
	s_or_b32 s15, s13, s15
	s_and_not1_b32 exec_lo, exec_lo, s15
	s_cbranch_execz .LBB12_3440
.LBB12_3275:                            ;   Parent Loop BB12_47 Depth=1
                                        ; =>  This Loop Header: Depth=2
                                        ;       Child Loop BB12_3283 Depth 3
                                        ;       Child Loop BB12_3307 Depth 3
	;; [unrolled: 1-line block ×9, first 2 shown]
	s_wait_xcnt 0x0
	s_and_saveexec_b32 s13, s0
	s_cbranch_execz .LBB12_3277
; %bb.3276:                             ;   in Loop: Header=BB12_3275 Depth=2
	s_trap 2
	s_wait_loadcnt 0x0
	ds_load_b128 v[6:9], v0
	s_wait_dscnt 0x0
	v_cmp_ne_u64_e32 vcc_lo, 0, v[8:9]
	v_ashrrev_i32_e32 v1, 31, v0
	v_add_nc_u64_e32 v[12:13], v[8:9], v[4:5]
	v_add_nc_u64_e32 v[6:7], v[6:7], v[4:5]
	s_delay_alu instid0(VALU_DEP_3) | instskip(NEXT) | instid1(VALU_DEP_1)
	v_lshlrev_b64_e32 v[10:11], 1, v[0:1]
	v_add_nc_u64_e32 v[12:13], v[12:13], v[10:11]
	s_delay_alu instid0(VALU_DEP_3) | instskip(NEXT) | instid1(VALU_DEP_2)
	v_add_nc_u64_e32 v[6:7], v[6:7], v[10:11]
	v_dual_cndmask_b32 v9, 0, v13 :: v_dual_cndmask_b32 v8, 0, v12
	ds_store_b64 v0, v[6:7]
	ds_store_b64 v0, v[8:9]
.LBB12_3277:                            ;   in Loop: Header=BB12_3275 Depth=2
	s_or_b32 exec_lo, exec_lo, s13
	v_and_b32_e32 v1, 4, v126
	s_mov_b32 s40, exec_lo
	s_delay_alu instid0(VALU_DEP_1)
	v_cmpx_ne_u32_e32 0, v1
	s_cbranch_execz .LBB12_3299
; %bb.3278:                             ;   in Loop: Header=BB12_3275 Depth=2
	s_wait_loadcnt 0x0
	v_add_nc_u64_e32 v[8:9], 2, v[116:117]
	s_mov_b32 s41, exec_lo
	s_wait_dscnt 0x1
	s_delay_alu instid0(VALU_DEP_1)
	v_cmpx_lt_u64_e64 v[58:59], v[8:9]
	s_cbranch_execz .LBB12_3290
; %bb.3279:                             ;   in Loop: Header=BB12_3275 Depth=2
	v_and_b32_e32 v1, 64, v126
	s_mov_b32 s74, 0
	s_mov_b32 s78, 0
                                        ; implicit-def: $sgpr75
                                        ; implicit-def: $sgpr76
                                        ; implicit-def: $sgpr77
	s_delay_alu instid0(VALU_DEP_1)
	v_cmp_eq_u32_e32 vcc_lo, 0, v1
	s_branch .LBB12_3283
.LBB12_3280:                            ;   in Loop: Header=BB12_3283 Depth=3
	s_wait_loadcnt_dscnt 0x0
	v_cmp_ge_u64_e64 s13, v[58:59], v[8:9]
	s_or_b32 s89, s89, exec_lo
	s_or_not1_b32 s88, s13, exec_lo
.LBB12_3281:                            ;   in Loop: Header=BB12_3283 Depth=3
	s_or_b32 exec_lo, exec_lo, s91
	s_delay_alu instid0(SALU_CYCLE_1)
	s_and_not1_b32 s13, s77, exec_lo
	s_and_b32 s77, s89, exec_lo
	s_and_not1_b32 s76, s76, exec_lo
	s_and_b32 s88, s88, exec_lo
	s_or_b32 s77, s13, s77
	s_or_b32 s76, s76, s88
.LBB12_3282:                            ;   in Loop: Header=BB12_3283 Depth=3
	s_or_b32 exec_lo, exec_lo, s79
	s_delay_alu instid0(SALU_CYCLE_1) | instskip(NEXT) | instid1(SALU_CYCLE_1)
	s_and_b32 s13, exec_lo, s76
	s_or_b32 s74, s13, s74
	s_and_not1_b32 s13, s75, exec_lo
	s_and_b32 s75, s77, exec_lo
	s_delay_alu instid0(SALU_CYCLE_1)
	s_or_b32 s75, s13, s75
	s_and_not1_b32 exec_lo, exec_lo, s74
	s_cbranch_execz .LBB12_3287
.LBB12_3283:                            ;   Parent Loop BB12_47 Depth=1
                                        ;     Parent Loop BB12_3275 Depth=2
                                        ; =>    This Inner Loop Header: Depth=3
	s_sleep 1
	s_wait_loadcnt_dscnt 0x0
	flat_load_b64 v[58:59], v[40:41] scope:SCOPE_SYS
	s_or_b32 s77, s77, exec_lo
	s_or_b32 s76, s76, exec_lo
                                        ; implicit-def: $vgpr1
	s_wait_xcnt 0x0
	s_and_saveexec_b32 s79, vcc_lo
	s_cbranch_execz .LBB12_3282
; %bb.3284:                             ;   in Loop: Header=BB12_3283 Depth=3
	s_cmp_lt_i32 s78, 0x270f
	s_mov_b32 s88, -1
	s_cselect_b32 s90, -1, 0
	s_cmp_gt_i32 s78, 0x270e
	s_cbranch_scc0 .LBB12_3286
; %bb.3285:                             ;   in Loop: Header=BB12_3283 Depth=3
	s_trap 2
	ds_load_b64 v[6:7], v0
	s_and_not1_b32 s78, s90, exec_lo
	s_mov_b32 s89, 0
	s_wait_storecnt 0x0
	s_wait_loadcnt_dscnt 0x0
	flat_load_b32 v1, v[6:7] scope:SCOPE_SYS
	s_wait_loadcnt_dscnt 0x0
	global_inv scope:SCOPE_SYS
	v_cmp_eq_u32_e64 s13, 0, v1
	s_and_b32 s13, s13, exec_lo
	s_delay_alu instid0(SALU_CYCLE_1)
	s_or_b32 s90, s78, s13
	s_mov_b32 s78, 0
	s_wait_xcnt 0x0
	s_and_saveexec_b32 s91, s90
	s_cbranch_execz .LBB12_3281
	s_branch .LBB12_3280
.LBB12_3286:                            ;   in Loop: Header=BB12_3283 Depth=3
	s_add_co_i32 s78, s78, 1
	s_mov_b32 s89, -1
                                        ; implicit-def: $vgpr1
	s_and_saveexec_b32 s91, s90
	s_cbranch_execz .LBB12_3281
	s_branch .LBB12_3280
.LBB12_3287:                            ;   in Loop: Header=BB12_3275 Depth=2
	s_or_b32 exec_lo, exec_lo, s74
	s_xor_b32 s13, s75, -1
	s_delay_alu instid0(SALU_CYCLE_1) | instskip(NEXT) | instid1(SALU_CYCLE_1)
	s_and_saveexec_b32 s74, s13
	s_xor_b32 s13, exec_lo, s74
	s_cbranch_execz .LBB12_3289
; %bb.3288:                             ;   in Loop: Header=BB12_3275 Depth=2
	v_or_b32_e32 v126, 64, v126
	s_wait_storecnt 0x0
	s_wait_loadcnt_dscnt 0x0
	ds_store_b32 v0, v1
	s_trap 2
.LBB12_3289:                            ;   in Loop: Header=BB12_3275 Depth=2
	s_or_b32 exec_lo, exec_lo, s13
.LBB12_3290:                            ;   in Loop: Header=BB12_3275 Depth=2
	s_delay_alu instid0(SALU_CYCLE_1)
	s_or_b32 exec_lo, exec_lo, s41
	v_and_b32_e32 v1, 0x100, v126
	v_and_b32_e32 v2, 7, v116
	s_mov_b32 s13, -1
	s_mov_b32 s41, exec_lo
	;;#ASMSTART
	s_wakeup
	;;#ASMEND
                                        ; implicit-def: $vgpr10_vgpr11
	v_cmpx_ne_u32_e32 0, v1
	s_cbranch_execz .LBB12_3294
; %bb.3291:                             ;   in Loop: Header=BB12_3275 Depth=2
	scratch_load_b128 v[10:13], off, s33 offset:272 ; 16-byte Folded Reload
	s_mov_b32 s74, exec_lo
	s_wait_loadcnt 0x0
	v_mad_nc_u64_u32 v[12:13], v2, 24, v[10:11]
                                        ; implicit-def: $vgpr10_vgpr11
	flat_load_b32 v1, v[12:13]
	s_wait_loadcnt_dscnt 0x0
	v_cmp_ne_u32_e32 vcc_lo, 1, v1
	s_wait_xcnt 0x0
	v_cmpx_eq_u32_e32 1, v1
	s_cbranch_execz .LBB12_3293
; %bb.3292:                             ;   in Loop: Header=BB12_3275 Depth=2
	flat_load_b32 v6, v[12:13] offset:4 scope:SCOPE_SYS
	s_wait_loadcnt_dscnt 0x0
	v_ashrrev_i32_e32 v7, 31, v6
	s_delay_alu instid0(VALU_DEP_1)
	v_lshrrev_b64 v[10:11], 1, v[6:7]
.LBB12_3293:                            ;   in Loop: Header=BB12_3275 Depth=2
	s_wait_xcnt 0x0
	s_or_b32 exec_lo, exec_lo, s74
	s_delay_alu instid0(SALU_CYCLE_1)
	s_or_not1_b32 s13, vcc_lo, exec_lo
.LBB12_3294:                            ;   in Loop: Header=BB12_3275 Depth=2
	s_or_b32 exec_lo, exec_lo, s41
	s_and_saveexec_b32 s41, s13
	s_cbranch_execz .LBB12_3296
; %bb.3295:                             ;   in Loop: Header=BB12_3275 Depth=2
	scratch_load_b64 v[6:7], off, s33 offset:296 ; 8-byte Folded Reload
	s_wait_loadcnt 0x0
	v_mul_u64_e32 v[10:11], v[2:3], v[6:7]
.LBB12_3296:                            ;   in Loop: Header=BB12_3275 Depth=2
	s_wait_xcnt 0x0
	s_or_b32 exec_lo, exec_lo, s41
	scratch_load_b64 v[6:7], off, s33 offset:264 ; 8-byte Folded Reload
	v_and_b32_e32 v1, 0x2000, v126
	s_mov_b32 s13, exec_lo
	s_wait_loadcnt 0x0
	v_lshl_add_u64 v[6:7], v[10:11], 1, v[6:7]
	ds_store_b64 v0, v[6:7] offset:720
	s_wait_xcnt 0x0
	v_cmpx_ne_u32_e32 0, v1
	s_cbranch_execz .LBB12_3298
; %bb.3297:                             ;   in Loop: Header=BB12_3275 Depth=2
	ds_load_b64 v[6:7], v0 offset:872
	s_wait_dscnt 0x0
	v_add_nc_u64_e32 v[6:7], 1, v[6:7]
	ds_store_b64 v0, v[6:7] offset:872
.LBB12_3298:                            ;   in Loop: Header=BB12_3275 Depth=2
	s_or_b32 exec_lo, exec_lo, s13
	v_mov_b64_e32 v[116:117], v[8:9]
.LBB12_3299:                            ;   in Loop: Header=BB12_3275 Depth=2
	s_or_b32 exec_lo, exec_lo, s40
	s_and_saveexec_b32 s13, s2
	s_cbranch_execz .LBB12_3318
; %bb.3300:                             ;   in Loop: Header=BB12_3275 Depth=2
	s_and_saveexec_b32 s40, s3
	s_delay_alu instid0(SALU_CYCLE_1)
	s_xor_b32 s40, exec_lo, s40
	s_cbranch_execz .LBB12_3315
; %bb.3301:                             ;   in Loop: Header=BB12_3275 Depth=2
	s_and_saveexec_b32 s41, s6
	s_cbranch_execz .LBB12_3314
; %bb.3302:                             ;   in Loop: Header=BB12_3275 Depth=2
	s_mov_b32 s75, exec_lo
	s_mov_b32 s74, exec_lo
	v_mbcnt_lo_u32_b32 v1, s75, 0
	global_wb scope:SCOPE_DEV
	s_wait_storecnt_dscnt 0x0
	global_inv scope:SCOPE_DEV
	v_cmpx_eq_u32_e32 0, v1
	s_cbranch_execz .LBB12_3304
; %bb.3303:                             ;   in Loop: Header=BB12_3275 Depth=2
	s_bcnt1_i32_b32 s75, s75
	s_delay_alu instid0(SALU_CYCLE_1)
	v_mov_b32_e32 v2, s75
	s_wait_loadcnt 0x0
	ds_add_u64 v0, v[2:3]
	s_trap 2
.LBB12_3304:                            ;   in Loop: Header=BB12_3275 Depth=2
	s_or_b32 exec_lo, exec_lo, s74
	s_trap 2
	s_wait_loadcnt 0x2
	ds_load_b64 v[6:7], v0
	s_wait_dscnt 0x0
	v_add_nc_u64_e32 v[56:57], v[56:57], v[60:61]
	s_mov_b32 s74, exec_lo
	s_delay_alu instid0(VALU_DEP_1)
	v_cmpx_lt_u64_e64 v[6:7], v[56:57]
	s_cbranch_execz .LBB12_3313
; %bb.3305:                             ;   in Loop: Header=BB12_3275 Depth=2
	s_mov_b32 s75, 0
	s_mov_b32 s78, 0
                                        ; implicit-def: $sgpr76
                                        ; implicit-def: $sgpr77
	s_branch .LBB12_3307
.LBB12_3306:                            ;   in Loop: Header=BB12_3307 Depth=3
	s_or_b32 exec_lo, exec_lo, s88
	s_delay_alu instid0(SALU_CYCLE_1) | instskip(NEXT) | instid1(SALU_CYCLE_1)
	s_and_b32 s79, exec_lo, s89
	s_or_b32 s75, s79, s75
	s_and_not1_b32 s76, s76, exec_lo
	s_and_b32 s79, s77, exec_lo
	s_delay_alu instid0(SALU_CYCLE_1)
	s_or_b32 s76, s76, s79
	s_and_not1_b32 exec_lo, exec_lo, s75
	s_cbranch_execz .LBB12_3311
.LBB12_3307:                            ;   Parent Loop BB12_47 Depth=1
                                        ;     Parent Loop BB12_3275 Depth=2
                                        ; =>    This Inner Loop Header: Depth=3
	s_add_co_i32 s78, s78, 1
	s_delay_alu instid0(SALU_CYCLE_1) | instskip(SKIP_1) | instid1(SALU_CYCLE_1)
	s_cmp_lg_u32 s78, 0x2710
	s_cselect_b32 s79, -1, 0
	s_and_b32 vcc_lo, exec_lo, s79
	s_cbranch_vccz .LBB12_3309
; %bb.3308:                             ;   in Loop: Header=BB12_3307 Depth=3
	s_mov_b32 s89, -1
	s_or_b32 s77, s77, exec_lo
	s_and_saveexec_b32 s88, s79
	s_cbranch_execz .LBB12_3306
	s_branch .LBB12_3310
.LBB12_3309:                            ;   in Loop: Header=BB12_3307 Depth=3
	s_trap 2
	ds_load_b64 v[6:7], v0
	s_and_not1_b32 s79, s79, exec_lo
	s_mov_b32 s78, 0
	s_wait_loadcnt_dscnt 0x0
	flat_load_b32 v1, v[6:7] scope:SCOPE_SYS
	s_wait_loadcnt_dscnt 0x0
	global_inv scope:SCOPE_SYS
	v_cmp_eq_u32_e32 vcc_lo, 0, v1
	s_and_b32 s88, vcc_lo, exec_lo
	s_delay_alu instid0(SALU_CYCLE_1)
	s_or_b32 s79, s79, s88
	s_mov_b32 s89, -1
	s_or_b32 s77, s77, exec_lo
	s_wait_xcnt 0x0
	s_and_saveexec_b32 s88, s79
	s_cbranch_execz .LBB12_3306
.LBB12_3310:                            ;   in Loop: Header=BB12_3307 Depth=3
	s_sleep 1
	s_trap 2
	ds_load_b64 v[6:7], v0
	s_wait_dscnt 0x0
	s_and_not1_b32 s77, s77, exec_lo
	v_cmp_ge_u64_e32 vcc_lo, v[6:7], v[56:57]
	s_or_not1_b32 s89, vcc_lo, exec_lo
	s_branch .LBB12_3306
.LBB12_3311:                            ;   in Loop: Header=BB12_3275 Depth=2
	s_or_b32 exec_lo, exec_lo, s75
	s_and_saveexec_b32 s75, s76
	s_delay_alu instid0(SALU_CYCLE_1)
	s_xor_b32 s75, exec_lo, s75
	s_cbranch_execz .LBB12_3313
; %bb.3312:                             ;   in Loop: Header=BB12_3275 Depth=2
	v_mov_b32_e32 v1, 1
	ds_store_b32 v0, v1
	s_trap 2
.LBB12_3313:                            ;   in Loop: Header=BB12_3275 Depth=2
	s_or_b32 exec_lo, exec_lo, s74
	;;#ASMSTART
	s_wakeup
	;;#ASMEND
.LBB12_3314:                            ;   in Loop: Header=BB12_3275 Depth=2
	s_or_b32 exec_lo, exec_lo, s41
.LBB12_3315:                            ;   in Loop: Header=BB12_3275 Depth=2
	s_and_not1_saveexec_b32 s40, s40
	s_cbranch_execz .LBB12_3317
; %bb.3316:                             ;   in Loop: Header=BB12_3275 Depth=2
	global_wb scope:SCOPE_DEV
	s_wait_storecnt 0x0
	s_wait_loadcnt_dscnt 0x0
	global_inv scope:SCOPE_DEV
	s_barrier_signal -1
	s_barrier_wait -1
.LBB12_3317:                            ;   in Loop: Header=BB12_3275 Depth=2
	s_or_b32 exec_lo, exec_lo, s40
.LBB12_3318:                            ;   in Loop: Header=BB12_3275 Depth=2
	s_delay_alu instid0(SALU_CYCLE_1) | instskip(SKIP_4) | instid1(VALU_DEP_1)
	s_or_b32 exec_lo, exec_lo, s13
	s_trap 2
	ds_load_b32 v1, v0
	v_and_b32_e32 v2, 0x4000, v126
	s_xor_b32 s13, s1, -1
	v_cmp_ne_u32_e32 vcc_lo, 0, v2
	s_and_b32 s40, s13, vcc_lo
	s_delay_alu instid0(SALU_CYCLE_1)
	s_and_saveexec_b32 s13, s40
	s_cbranch_execz .LBB12_3337
; %bb.3319:                             ;   in Loop: Header=BB12_3275 Depth=2
	s_and_saveexec_b32 s40, s3
	s_delay_alu instid0(SALU_CYCLE_1)
	s_xor_b32 s40, exec_lo, s40
	s_cbranch_execz .LBB12_3334
; %bb.3320:                             ;   in Loop: Header=BB12_3275 Depth=2
	s_and_saveexec_b32 s41, s6
	s_cbranch_execz .LBB12_3333
; %bb.3321:                             ;   in Loop: Header=BB12_3275 Depth=2
	s_mov_b32 s75, exec_lo
	s_mov_b32 s74, exec_lo
	v_mbcnt_lo_u32_b32 v2, s75, 0
	global_wb scope:SCOPE_DEV
	s_wait_storecnt 0x0
	s_wait_loadcnt_dscnt 0x0
	global_inv scope:SCOPE_DEV
	v_cmpx_eq_u32_e32 0, v2
	s_cbranch_execz .LBB12_3323
; %bb.3322:                             ;   in Loop: Header=BB12_3275 Depth=2
	s_bcnt1_i32_b32 s75, s75
	s_delay_alu instid0(SALU_CYCLE_1)
	v_mov_b32_e32 v2, s75
	s_wait_loadcnt 0x0
	ds_add_u64 v0, v[2:3]
	s_trap 2
.LBB12_3323:                            ;   in Loop: Header=BB12_3275 Depth=2
	s_or_b32 exec_lo, exec_lo, s74
	s_trap 2
	ds_load_b64 v[6:7], v0
	s_wait_dscnt 0x0
	v_add_nc_u64_e32 v[56:57], v[56:57], v[60:61]
	s_mov_b32 s74, exec_lo
	s_delay_alu instid0(VALU_DEP_1)
	v_cmpx_lt_u64_e64 v[6:7], v[56:57]
	s_cbranch_execz .LBB12_3332
; %bb.3324:                             ;   in Loop: Header=BB12_3275 Depth=2
	s_mov_b32 s75, 0
	s_mov_b32 s78, 0
                                        ; implicit-def: $sgpr76
                                        ; implicit-def: $sgpr77
	s_branch .LBB12_3326
.LBB12_3325:                            ;   in Loop: Header=BB12_3326 Depth=3
	s_or_b32 exec_lo, exec_lo, s88
	s_delay_alu instid0(SALU_CYCLE_1) | instskip(NEXT) | instid1(SALU_CYCLE_1)
	s_and_b32 s79, exec_lo, s89
	s_or_b32 s75, s79, s75
	s_and_not1_b32 s76, s76, exec_lo
	s_and_b32 s79, s77, exec_lo
	s_delay_alu instid0(SALU_CYCLE_1)
	s_or_b32 s76, s76, s79
	s_and_not1_b32 exec_lo, exec_lo, s75
	s_cbranch_execz .LBB12_3330
.LBB12_3326:                            ;   Parent Loop BB12_47 Depth=1
                                        ;     Parent Loop BB12_3275 Depth=2
                                        ; =>    This Inner Loop Header: Depth=3
	s_add_co_i32 s78, s78, 1
	s_delay_alu instid0(SALU_CYCLE_1) | instskip(SKIP_1) | instid1(SALU_CYCLE_1)
	s_cmp_lg_u32 s78, 0x2710
	s_cselect_b32 s79, -1, 0
	s_and_b32 vcc_lo, exec_lo, s79
	s_cbranch_vccz .LBB12_3328
; %bb.3327:                             ;   in Loop: Header=BB12_3326 Depth=3
	s_mov_b32 s89, -1
	s_or_b32 s77, s77, exec_lo
	s_and_saveexec_b32 s88, s79
	s_cbranch_execz .LBB12_3325
	s_branch .LBB12_3329
.LBB12_3328:                            ;   in Loop: Header=BB12_3326 Depth=3
	s_trap 2
	ds_load_b64 v[6:7], v0
	s_and_not1_b32 s79, s79, exec_lo
	s_mov_b32 s78, 0
	s_wait_loadcnt_dscnt 0x0
	flat_load_b32 v2, v[6:7] scope:SCOPE_SYS
	s_wait_loadcnt_dscnt 0x0
	global_inv scope:SCOPE_SYS
	v_cmp_eq_u32_e32 vcc_lo, 0, v2
	s_and_b32 s88, vcc_lo, exec_lo
	s_delay_alu instid0(SALU_CYCLE_1)
	s_or_b32 s79, s79, s88
	s_mov_b32 s89, -1
	s_or_b32 s77, s77, exec_lo
	s_and_saveexec_b32 s88, s79
	s_cbranch_execz .LBB12_3325
.LBB12_3329:                            ;   in Loop: Header=BB12_3326 Depth=3
	s_sleep 1
	s_trap 2
	ds_load_b64 v[6:7], v0
	s_wait_dscnt 0x0
	s_and_not1_b32 s77, s77, exec_lo
	v_cmp_ge_u64_e32 vcc_lo, v[6:7], v[56:57]
	s_or_not1_b32 s89, vcc_lo, exec_lo
	s_branch .LBB12_3325
.LBB12_3330:                            ;   in Loop: Header=BB12_3275 Depth=2
	s_or_b32 exec_lo, exec_lo, s75
	s_and_saveexec_b32 s75, s76
	s_delay_alu instid0(SALU_CYCLE_1)
	s_xor_b32 s75, exec_lo, s75
	s_cbranch_execz .LBB12_3332
; %bb.3331:                             ;   in Loop: Header=BB12_3275 Depth=2
	v_mov_b32_e32 v2, 1
	ds_store_b32 v0, v2
	s_trap 2
.LBB12_3332:                            ;   in Loop: Header=BB12_3275 Depth=2
	s_or_b32 exec_lo, exec_lo, s74
	;;#ASMSTART
	s_wakeup
	;;#ASMEND
.LBB12_3333:                            ;   in Loop: Header=BB12_3275 Depth=2
	s_or_b32 exec_lo, exec_lo, s41
.LBB12_3334:                            ;   in Loop: Header=BB12_3275 Depth=2
	s_and_not1_saveexec_b32 s40, s40
	s_cbranch_execz .LBB12_3336
; %bb.3335:                             ;   in Loop: Header=BB12_3275 Depth=2
	global_wb scope:SCOPE_DEV
	s_wait_storecnt 0x0
	s_wait_loadcnt_dscnt 0x0
	global_inv scope:SCOPE_DEV
	s_barrier_signal -1
	s_barrier_wait -1
.LBB12_3336:                            ;   in Loop: Header=BB12_3275 Depth=2
	s_or_b32 exec_lo, exec_lo, s40
.LBB12_3337:                            ;   in Loop: Header=BB12_3275 Depth=2
	s_delay_alu instid0(SALU_CYCLE_1) | instskip(SKIP_3) | instid1(VALU_DEP_1)
	s_or_b32 exec_lo, exec_lo, s13
	s_trap 2
	ds_load_b64 v[28:29], v0
	v_sub_nc_u32_e32 v2, v74, v0
	v_min_i32_e32 v75, v75, v2
	s_wait_dscnt 0x0
	v_cmp_eq_u64_e32 vcc_lo, 0, v[28:29]
	s_cbranch_vccnz .LBB12_3345
; %bb.3338:                             ;   in Loop: Header=BB12_3275 Depth=2
	s_trap 2
	ds_load_b64 v[30:31], v0
	s_wait_dscnt 0x0
	v_cmp_eq_u64_e32 vcc_lo, 0, v[30:31]
	s_cbranch_vccnz .LBB12_3345
; %bb.3339:                             ;   in Loop: Header=BB12_3275 Depth=2
	s_mov_b32 s13, -1
	s_and_saveexec_b32 s40, s11
	s_cbranch_execz .LBB12_3341
; %bb.3340:                             ;   in Loop: Header=BB12_3275 Depth=2
	ds_load_b32 v2, v0 offset:720
	s_wait_dscnt 0x0
	v_and_b32_e32 v2, 15, v2
	s_delay_alu instid0(VALU_DEP_1)
	v_cmp_eq_u32_e32 vcc_lo, 0, v2
	s_or_not1_b32 s13, vcc_lo, exec_lo
.LBB12_3341:                            ;   in Loop: Header=BB12_3275 Depth=2
	s_or_b32 exec_lo, exec_lo, s40
	s_and_saveexec_b32 s40, s7
	s_cbranch_execz .LBB12_3343
; %bb.3342:                             ;   in Loop: Header=BB12_3275 Depth=2
	ds_load_b32 v2, v0 offset:784
	s_wait_dscnt 0x0
	v_and_b32_e32 v2, 15, v2
	s_delay_alu instid0(VALU_DEP_1) | instskip(SKIP_3) | instid1(SALU_CYCLE_1)
	v_cmp_eq_u32_e32 vcc_lo, 0, v2
	s_and_b32 s41, s13, vcc_lo
	s_and_not1_b32 s13, s13, exec_lo
	s_and_b32 s41, s41, exec_lo
	s_or_b32 s13, s13, s41
.LBB12_3343:                            ;   in Loop: Header=BB12_3275 Depth=2
	s_or_b32 exec_lo, exec_lo, s40
	s_xor_b32 s13, s13, -1
	s_mov_b32 s41, -1
	v_cndmask_b32_e64 v2, 0, 1, s13
	v_cmp_eq_u32_e64 s13, 0, v1
	s_delay_alu instid0(VALU_DEP_2)
	v_cmp_ne_u32_e32 vcc_lo, 0, v2
	s_cbranch_vccz .LBB12_3350
; %bb.3344:                             ;   in Loop: Header=BB12_3275 Depth=2
	s_mov_b32 s41, 0
	s_mov_b32 s40, -1
	s_branch .LBB12_3351
.LBB12_3345:                            ;   in Loop: Header=BB12_3275 Depth=2
	s_mov_b32 s13, 0
	s_and_saveexec_b32 s40, s2
	s_cbranch_execnz .LBB12_3401
.LBB12_3346:                            ;   in Loop: Header=BB12_3275 Depth=2
	s_or_b32 exec_lo, exec_lo, s40
	s_and_saveexec_b32 s40, s10
	s_delay_alu instid0(SALU_CYCLE_1)
	s_xor_b32 s40, exec_lo, s40
	s_cbranch_execz .LBB12_3419
.LBB12_3347:                            ;   in Loop: Header=BB12_3275 Depth=2
	v_and_b32_e32 v1, 16, v126
	s_delay_alu instid0(VALU_DEP_1) | instskip(SKIP_1) | instid1(SALU_CYCLE_1)
	v_cmp_ne_u32_e32 vcc_lo, 0, v1
	s_and_b32 s41, vcc_lo, s13
	s_and_saveexec_b32 s13, s41
	s_cbranch_execz .LBB12_3349
; %bb.3348:                             ;   in Loop: Header=BB12_3275 Depth=2
	global_wb scope:SCOPE_SYS
	s_wait_storecnt 0x0
	s_wait_loadcnt_dscnt 0x0
	global_inv scope:SCOPE_SYS
.LBB12_3349:                            ;   in Loop: Header=BB12_3275 Depth=2
	s_or_b32 exec_lo, exec_lo, s13
	s_and_not1_saveexec_b32 s13, s40
	s_cbranch_execz .LBB12_3438
	s_branch .LBB12_3420
.LBB12_3350:                            ;   in Loop: Header=BB12_3275 Depth=2
	s_mov_b32 s40, 0
.LBB12_3351:                            ;   in Loop: Header=BB12_3275 Depth=2
	v_dual_cndmask_b32 v1, 0, v75, s13 :: v_dual_mov_b32 v14, 0
	s_and_not1_b32 vcc_lo, exec_lo, s41
	s_delay_alu instid0(VALU_DEP_1)
	v_lshlrev_b32_e32 v2, 1, v1
	s_cbranch_vccnz .LBB12_3359
; %bb.3352:                             ;   in Loop: Header=BB12_3275 Depth=2
	scratch_load_b32 v7, off, s33 offset:312 ; 4-byte Folded Reload
	s_wait_loadcnt 0x1
	scratch_load_b64 v[8:9], off, s33 offset:336 ; 8-byte Folded Reload
	v_ashrrev_i32_e32 v6, 31, v2
	s_mov_b32 s41, 0
	s_mov_b32 s13, exec_lo
                                        ; implicit-def: $vgpr12_vgpr13
                                        ; implicit-def: $vgpr16_vgpr17
                                        ; implicit-def: $vgpr20_vgpr21
                                        ; implicit-def: $vgpr24_vgpr25
                                        ; implicit-def: $vgpr32_vgpr33
                                        ; implicit-def: $vgpr36_vgpr37
                                        ; implicit-def: $vgpr48_vgpr49
	s_delay_alu instid0(VALU_DEP_1) | instskip(NEXT) | instid1(VALU_DEP_1)
	v_lshrrev_b32_e32 v6, 20, v6
	v_add_nc_u32_e32 v6, v2, v6
	s_delay_alu instid0(VALU_DEP_1) | instskip(SKIP_1) | instid1(VALU_DEP_1)
	v_ashrrev_i32_e32 v6, 12, v6
	s_wait_loadcnt 0x1
	v_sub_nc_u32_e32 v7, v6, v7
	s_wait_loadcnt 0x0
	v_add_nc_u64_e32 v[118:119], v[30:31], v[8:9]
                                        ; implicit-def: $vgpr8_vgpr9
	s_wait_xcnt 0x0
	s_delay_alu instid0(VALU_DEP_2)
	v_cmpx_lt_i32_e32 0, v7
	s_cbranch_execz .LBB12_3361
; %bb.3353:                             ;   in Loop: Header=BB12_3275 Depth=2
	scratch_load_b64 v[8:9], off, s33 offset:336 ; 8-byte Folded Reload
	s_mov_b32 s75, 0
                                        ; implicit-def: $sgpr74
                                        ; implicit-def: $vgpr12_vgpr13
                                        ; implicit-def: $vgpr16_vgpr17
                                        ; implicit-def: $vgpr20_vgpr21
                                        ; implicit-def: $vgpr24_vgpr25
                                        ; implicit-def: $vgpr32_vgpr33
                                        ; implicit-def: $vgpr36_vgpr37
                                        ; implicit-def: $vgpr48_vgpr49
	s_wait_loadcnt 0x0
	v_add_nc_u64_e32 v[62:63], v[28:29], v[8:9]
                                        ; implicit-def: $vgpr8_vgpr9
	s_branch .LBB12_3355
.LBB12_3354:                            ;   in Loop: Header=BB12_3355 Depth=3
	s_wait_xcnt 0x0
	s_or_b32 exec_lo, exec_lo, s76
	s_delay_alu instid0(VALU_DEP_1)
	v_sub_nc_u32_e32 v7, v7, v42
	s_clause 0x1
	global_store_b128 v[118:119], v[100:103], off th:TH_STORE_NT
	global_store_b128 v[118:119], v[112:115], off offset:512 th:TH_STORE_NT
	s_wait_loadcnt 0x0
	s_wait_xcnt 0x1
	v_add_nc_u64_e32 v[100:101], v[118:119], v[72:73]
	s_clause 0x5
	global_store_b128 v[118:119], v[68:71], off offset:1024 th:TH_STORE_NT
	global_store_b128 v[118:119], v[80:83], off offset:1536 th:TH_STORE_NT
	;; [unrolled: 1-line block ×6, first 2 shown]
	v_cmp_gt_i32_e32 vcc_lo, 1, v7
	v_add_nc_u64_e32 v[62:63], v[62:63], v[72:73]
	s_wait_xcnt 0x0
	v_add_nc_u64_e32 v[118:119], 0x1000, v[100:101]
	s_or_b32 s41, vcc_lo, s41
	s_and_not1_b32 s74, s74, exec_lo
	s_and_b32 s76, s75, exec_lo
	s_delay_alu instid0(SALU_CYCLE_1)
	s_or_b32 s74, s74, s76
	s_and_not1_b32 exec_lo, exec_lo, s41
	s_cbranch_execz .LBB12_3360
.LBB12_3355:                            ;   Parent Loop BB12_47 Depth=1
                                        ;     Parent Loop BB12_3275 Depth=2
                                        ; =>    This Inner Loop Header: Depth=3
	s_clause 0x7
	global_load_b128 v[100:103], v[62:63], off th:TH_LOAD_NT
	global_load_b128 v[112:115], v[62:63], off offset:512 th:TH_LOAD_NT
	global_load_b128 v[68:71], v[62:63], off offset:1024 th:TH_LOAD_NT
	;; [unrolled: 1-line block ×7, first 2 shown]
	s_wait_xcnt 0x0
	s_and_saveexec_b32 s76, s75
	s_cbranch_execz .LBB12_3357
; %bb.3356:                             ;   in Loop: Header=BB12_3355 Depth=3
	s_clause 0x7
	global_store_b128 v[118:119], v[8:11], off th:TH_STORE_NT
	global_store_b128 v[118:119], v[12:15], off offset:512 th:TH_STORE_NT
	global_store_b128 v[118:119], v[16:19], off offset:1024 th:TH_STORE_NT
	;; [unrolled: 1-line block ×7, first 2 shown]
	scratch_load_b64 v[42:43], off, s33 offset:256 ; 8-byte Folded Reload
	s_wait_loadcnt 0x0
	s_wait_xcnt 0x1
	v_add_nc_u64_e32 v[118:119], v[118:119], v[42:43]
.LBB12_3357:                            ;   in Loop: Header=BB12_3355 Depth=3
	s_wait_xcnt 0x0
	s_or_b32 exec_lo, exec_lo, s76
	scratch_load_b64 v[42:43], off, s33 offset:256 ; 8-byte Folded Reload
	v_sub_nc_u32_e32 v7, v7, v60
	v_mov_b64_e32 v[72:73], 0
	s_wait_loadcnt 0x0
	v_add_nc_u64_e32 v[62:63], v[62:63], v[42:43]
	v_mov_b32_e32 v42, 0
	v_cmp_lt_i32_e64 s75, 0, v7
	s_wait_xcnt 0x0
	s_and_saveexec_b32 s76, s75
	s_cbranch_execz .LBB12_3354
; %bb.3358:                             ;   in Loop: Header=BB12_3355 Depth=3
	s_clause 0x7
	global_load_b128 v[8:11], v[62:63], off th:TH_LOAD_NT
	global_load_b128 v[12:15], v[62:63], off offset:512 th:TH_LOAD_NT
	global_load_b128 v[16:19], v[62:63], off offset:1024 th:TH_LOAD_NT
	;; [unrolled: 1-line block ×7, first 2 shown]
	scratch_load_b64 v[72:73], off, s33 offset:304 ; 8-byte Folded Reload
	s_wait_xcnt 0x1
	v_add_nc_u64_e32 v[62:63], 0x1000, v[62:63]
	v_mov_b32_e32 v42, v60
	s_branch .LBB12_3354
.LBB12_3359:                            ;   in Loop: Header=BB12_3275 Depth=2
	s_wait_loadcnt 0x1
	scratch_load_b32 v6, off, s33 offset:316 ; 4-byte Folded Reload
	s_wait_loadcnt 0x1
	scratch_load_b32 v8, off, s33 offset:312 ; 4-byte Folded Reload
	s_wait_xcnt 0x0
	s_and_saveexec_b32 s13, s40
	s_cbranch_execnz .LBB12_3380
	s_branch .LBB12_3400
.LBB12_3360:                            ;   in Loop: Header=BB12_3275 Depth=2
	s_or_b32 exec_lo, exec_lo, s41
	s_delay_alu instid0(SALU_CYCLE_1)
	s_and_b32 s41, s74, exec_lo
.LBB12_3361:                            ;   in Loop: Header=BB12_3275 Depth=2
	s_or_b32 exec_lo, exec_lo, s13
	s_and_saveexec_b32 s13, s41
	s_cbranch_execz .LBB12_3363
; %bb.3362:                             ;   in Loop: Header=BB12_3275 Depth=2
	s_clause 0x7
	global_store_b128 v[118:119], v[8:11], off th:TH_STORE_NT
	global_store_b128 v[118:119], v[12:15], off offset:512 th:TH_STORE_NT
	global_store_b128 v[118:119], v[16:19], off offset:1024 th:TH_STORE_NT
	;; [unrolled: 1-line block ×7, first 2 shown]
.LBB12_3363:                            ;   in Loop: Header=BB12_3275 Depth=2
	s_wait_xcnt 0x0
	s_or_b32 exec_lo, exec_lo, s13
	v_lshlrev_b32_e32 v20, 12, v6
	s_mov_b32 s41, exec_lo
                                        ; implicit-def: $vgpr14
                                        ; implicit-def: $vgpr6
                                        ; implicit-def: $vgpr8
	s_delay_alu instid0(VALU_DEP_1)
	v_cmpx_ne_u32_e64 v2, v20
	s_cbranch_execz .LBB12_3379
; %bb.3364:                             ;   in Loop: Header=BB12_3275 Depth=2
	v_lshlrev_b32_e32 v6, 5, v7
	scratch_load_b32 v7, off, s33 offset:316 ; 4-byte Folded Reload
	s_mov_b32 s75, 0
	s_mov_b32 s74, exec_lo
	v_sub_nc_u32_e32 v8, v2, v20
	s_wait_loadcnt 0x0
	s_delay_alu instid0(VALU_DEP_1) | instskip(NEXT) | instid1(VALU_DEP_1)
	v_dual_ashrrev_i32 v10, 31, v8 :: v_dual_sub_nc_u32 v6, v7, v6
	v_ashrrev_i32_e32 v7, 31, v6
	s_delay_alu instid0(VALU_DEP_1) | instskip(NEXT) | instid1(VALU_DEP_1)
	v_lshrrev_b32_e32 v7, 27, v7
	v_add_nc_u32_e32 v7, v6, v7
	s_delay_alu instid0(VALU_DEP_1) | instskip(NEXT) | instid1(VALU_DEP_1)
	v_and_b32_e32 v9, 0xffffffe0, v7
	v_dual_sub_nc_u32 v21, v6, v9 :: v_dual_lshrrev_b32 v6, 23, v10
	s_delay_alu instid0(VALU_DEP_1) | instskip(NEXT) | instid1(VALU_DEP_2)
	v_dual_ashrrev_i32 v9, 5, v7 :: v_dual_lshlrev_b32 v7, 4, v21
	v_add_nc_u32_e32 v6, v8, v6
	s_delay_alu instid0(VALU_DEP_2) | instskip(NEXT) | instid1(VALU_DEP_2)
	v_lshl_add_u32 v12, v9, 9, v7
	v_and_b32_e32 v7, 0xfffffe00, v6
	s_delay_alu instid0(VALU_DEP_2) | instskip(NEXT) | instid1(VALU_DEP_1)
	v_dual_ashrrev_i32 v6, 9, v6 :: v_dual_add_nc_u32 v10, v12, v20
	v_dual_sub_nc_u32 v22, v8, v7 :: v_dual_ashrrev_i32 v11, 31, v10
	s_delay_alu instid0(VALU_DEP_1) | instskip(NEXT) | instid1(VALU_DEP_2)
	v_cmp_lt_i32_e32 vcc_lo, 15, v22
	v_add_nc_u64_e32 v[16:17], v[10:11], v[30:31]
	s_delay_alu instid0(VALU_DEP_4) | instskip(NEXT) | instid1(VALU_DEP_1)
	v_add_co_ci_u32_e64 v13, null, 0, v6, vcc_lo
	v_dual_sub_nc_u32 v6, v8, v12 :: v_dual_sub_nc_u32 v23, v13, v9
                                        ; implicit-def: $vgpr8_vgpr9
	s_wait_xcnt 0x0
	s_delay_alu instid0(VALU_DEP_1)
	v_cmpx_lt_i32_e32 15, v6
	s_cbranch_execz .LBB12_3374
; %bb.3365:                             ;   in Loop: Header=BB12_3275 Depth=2
	v_add_nc_u64_e32 v[18:19], v[10:11], v[28:29]
	s_mov_b32 s77, 0
                                        ; implicit-def: $sgpr76
                                        ; implicit-def: $vgpr8_vgpr9
	s_branch .LBB12_3367
.LBB12_3366:                            ;   in Loop: Header=BB12_3367 Depth=3
	s_or_b32 exec_lo, exec_lo, s13
	s_delay_alu instid0(VALU_DEP_1) | instskip(SKIP_3) | instid1(SALU_CYCLE_1)
	v_cmp_gt_i32_e64 s13, 16, v6
	s_or_b32 s75, s13, s75
	s_and_not1_b32 s13, s76, exec_lo
	s_and_b32 s76, s77, exec_lo
	s_or_b32 s76, s13, s76
	s_and_not1_b32 exec_lo, exec_lo, s75
	s_cbranch_execz .LBB12_3373
.LBB12_3367:                            ;   Parent Loop BB12_47 Depth=1
                                        ;     Parent Loop BB12_3275 Depth=2
                                        ; =>    This Inner Loop Header: Depth=3
	global_load_b128 v[12:15], v[18:19], off th:TH_LOAD_NT
	s_wait_xcnt 0x0
	s_and_saveexec_b32 s13, s77
	s_cbranch_execz .LBB12_3369
; %bb.3368:                             ;   in Loop: Header=BB12_3367 Depth=3
	v_add_nc_u64_e32 v[24:25], 0x200, v[90:91]
	global_store_b128 v[16:17], v[8:11], off th:TH_STORE_NT
	v_add_nc_u64_e32 v[24:25], v[16:17], v[24:25]
	s_wait_xcnt 0x0
	s_delay_alu instid0(VALU_DEP_1)
	v_mov_b64_e32 v[16:17], v[24:25]
.LBB12_3369:                            ;   in Loop: Header=BB12_3367 Depth=3
	s_or_b32 exec_lo, exec_lo, s13
	v_add_nc_u64_e32 v[24:25], 0x200, v[90:91]
	v_sub_nc_u32_e32 v6, v6, v121
	s_delay_alu instid0(VALU_DEP_1) | instskip(NEXT) | instid1(VALU_DEP_3)
	v_cmp_lt_i32_e64 s77, 15, v6
	v_add_nc_u64_e32 v[18:19], v[18:19], v[24:25]
	s_and_saveexec_b32 s13, s77
	s_cbranch_execz .LBB12_3371
; %bb.3370:                             ;   in Loop: Header=BB12_3367 Depth=3
	global_load_b128 v[8:11], v[18:19], off th:TH_LOAD_NT
	s_wait_xcnt 0x0
	v_add_nc_u64_e32 v[18:19], 0x200, v[18:19]
.LBB12_3371:                            ;   in Loop: Header=BB12_3367 Depth=3
	s_or_b32 exec_lo, exec_lo, s13
	s_wait_loadcnt 0x0
	global_store_b128 v[16:17], v[12:15], off th:TH_STORE_NT
	s_wait_xcnt 0x0
	v_add_nc_u64_e32 v[16:17], 0x200, v[16:17]
	v_sub_nc_u32_e32 v23, v23, v60
	s_and_saveexec_b32 s13, s77
	s_cbranch_execz .LBB12_3366
; %bb.3372:                             ;   in Loop: Header=BB12_3367 Depth=3
	v_add_nc_u64_e32 v[18:19], v[18:19], v[90:91]
	s_delay_alu instid0(VALU_DEP_3)
	v_add_nc_u64_e32 v[16:17], v[16:17], v[90:91]
	v_dual_sub_nc_u32 v23, v23, v60 :: v_dual_sub_nc_u32 v6, v6, v121
	s_branch .LBB12_3366
.LBB12_3373:                            ;   in Loop: Header=BB12_3275 Depth=2
	s_or_b32 exec_lo, exec_lo, s75
	s_delay_alu instid0(SALU_CYCLE_1)
	s_and_b32 s75, s76, exec_lo
.LBB12_3374:                            ;   in Loop: Header=BB12_3275 Depth=2
	s_or_b32 exec_lo, exec_lo, s74
	s_and_saveexec_b32 s13, s75
	s_cbranch_execz .LBB12_3376
; %bb.3375:                             ;   in Loop: Header=BB12_3275 Depth=2
	global_store_b128 v[16:17], v[8:11], off th:TH_STORE_NT
.LBB12_3376:                            ;   in Loop: Header=BB12_3275 Depth=2
	s_wait_xcnt 0x0
	s_or_b32 exec_lo, exec_lo, s13
	v_and_b32_e32 v9, 14, v2
	s_mov_b32 s75, s40
	s_mov_b32 s74, exec_lo
                                        ; implicit-def: $vgpr14
                                        ; implicit-def: $vgpr6
                                        ; implicit-def: $vgpr8
	s_delay_alu instid0(VALU_DEP_1) | instskip(NEXT) | instid1(VALU_DEP_1)
	v_cndmask_b32_e32 v2, v22, v9, vcc_lo
	v_cmpx_ne_u32_e32 0, v2
	s_cbranch_execz .LBB12_3378
; %bb.3377:                             ;   in Loop: Header=BB12_3275 Depth=2
	v_cmp_lt_i32_e64 s13, 0, v23
	s_or_b32 s75, s40, exec_lo
	v_dual_sub_nc_u32 v9, v22, v9 :: v_dual_cndmask_b32 v6, 0, v60, s13
	s_delay_alu instid0(VALU_DEP_1) | instskip(NEXT) | instid1(VALU_DEP_1)
	v_dual_cndmask_b32 v9, 0, v9 :: v_dual_sub_nc_u32 v6, v6, v23
	v_add3_u32 v14, v7, v20, v9
	s_delay_alu instid0(VALU_DEP_2) | instskip(NEXT) | instid1(VALU_DEP_1)
	v_lshl_add_u32 v6, v6, 5, v21
	v_ashrrev_i32_e32 v8, 31, v6
	s_delay_alu instid0(VALU_DEP_1) | instskip(NEXT) | instid1(VALU_DEP_1)
	v_lshrrev_b32_e32 v8, 27, v8
	v_add_nc_u32_e32 v8, v6, v8
	s_delay_alu instid0(VALU_DEP_1) | instskip(NEXT) | instid1(VALU_DEP_1)
	v_and_b32_e32 v10, 0xffffffe0, v8
	v_dual_sub_nc_u32 v6, v6, v10 :: v_dual_ashrrev_i32 v8, 5, v8
.LBB12_3378:                            ;   in Loop: Header=BB12_3275 Depth=2
	s_or_b32 exec_lo, exec_lo, s74
	s_delay_alu instid0(SALU_CYCLE_1) | instskip(SKIP_1) | instid1(SALU_CYCLE_1)
	s_and_not1_b32 s13, s40, exec_lo
	s_and_b32 s40, s75, exec_lo
	s_or_b32 s40, s13, s40
.LBB12_3379:                            ;   in Loop: Header=BB12_3275 Depth=2
	s_or_b32 exec_lo, exec_lo, s41
	s_and_saveexec_b32 s13, s40
	s_cbranch_execz .LBB12_3400
.LBB12_3380:                            ;   in Loop: Header=BB12_3275 Depth=2
	s_wait_loadcnt 0x0
	v_dual_ashrrev_i32 v7, 31, v2 :: v_dual_lshlrev_b32 v9, 10, v8
	s_mov_b32 s41, 0
	s_mov_b32 s40, exec_lo
                                        ; implicit-def: $vgpr15
                                        ; implicit-def: $vgpr16
                                        ; implicit-def: $vgpr17
                                        ; implicit-def: $vgpr18
                                        ; implicit-def: $vgpr19
                                        ; implicit-def: $vgpr20
                                        ; implicit-def: $vgpr21
                                        ; implicit-def: $vgpr22
                                        ; implicit-def: $vgpr23
                                        ; implicit-def: $vgpr24
                                        ; implicit-def: $vgpr25
                                        ; implicit-def: $vgpr26
                                        ; implicit-def: $vgpr27
                                        ; implicit-def: $vgpr32
                                        ; implicit-def: $vgpr33
                                        ; implicit-def: $vgpr34
	s_delay_alu instid0(VALU_DEP_1) | instskip(NEXT) | instid1(VALU_DEP_1)
	v_dual_lshlrev_b32 v10, 1, v6 :: v_dual_lshrrev_b32 v7, 22, v7
	v_add3_u32 v10, v14, v10, v9
	s_delay_alu instid0(VALU_DEP_1) | instskip(NEXT) | instid1(VALU_DEP_1)
	v_dual_add_nc_u32 v7, v2, v7 :: v_dual_ashrrev_i32 v11, 31, v10
	v_ashrrev_i32_e32 v7, 10, v7
	s_delay_alu instid0(VALU_DEP_1) | instskip(NEXT) | instid1(VALU_DEP_3)
	v_sub_nc_u32_e32 v35, v7, v8
	v_add_nc_u64_e32 v[8:9], v[30:31], v[10:11]
	s_delay_alu instid0(VALU_DEP_2)
	v_cmpx_lt_i32_e32 0, v35
	s_cbranch_execz .LBB12_3388
; %bb.3381:                             ;   in Loop: Header=BB12_3275 Depth=2
	v_add_nc_u64_e32 v[10:11], v[10:11], v[28:29]
	s_mov_b32 s75, 0
                                        ; implicit-def: $sgpr74
                                        ; implicit-def: $vgpr15
                                        ; implicit-def: $vgpr16
                                        ; implicit-def: $vgpr17
                                        ; implicit-def: $vgpr18
                                        ; implicit-def: $vgpr19
                                        ; implicit-def: $vgpr20
                                        ; implicit-def: $vgpr21
                                        ; implicit-def: $vgpr22
                                        ; implicit-def: $vgpr23
                                        ; implicit-def: $vgpr24
                                        ; implicit-def: $vgpr25
                                        ; implicit-def: $vgpr26
                                        ; implicit-def: $vgpr27
                                        ; implicit-def: $vgpr32
                                        ; implicit-def: $vgpr33
                                        ; implicit-def: $vgpr34
	s_branch .LBB12_3383
.LBB12_3382:                            ;   in Loop: Header=BB12_3383 Depth=3
	s_or_b32 exec_lo, exec_lo, s76
	s_delay_alu instid0(VALU_DEP_1)
	v_sub_nc_u32_e32 v35, v35, v68
	s_wait_loadcnt_dscnt 0xf0f
	flat_store_b16 v[8:9], v52 th:TH_STORE_NT
	s_wait_loadcnt_dscnt 0xe0f
	flat_store_b16 v[8:9], v53 offset:64 th:TH_STORE_NT
	s_wait_loadcnt_dscnt 0xd0f
	flat_store_b16 v[8:9], v54 offset:128 th:TH_STORE_NT
	;; [unrolled: 2-line block ×7, first 2 shown]
	s_wait_xcnt 0x6
	v_add_nc_u64_e32 v[52:53], v[8:9], v[12:13]
	s_wait_loadcnt_dscnt 0x70f
	flat_store_b16 v[8:9], v36 offset:512 th:TH_STORE_NT
	s_wait_loadcnt_dscnt 0x60f
	flat_store_b16 v[8:9], v37 offset:576 th:TH_STORE_NT
	;; [unrolled: 2-line block ×8, first 2 shown]
	v_add_nc_u64_e32 v[10:11], v[10:11], v[12:13]
	v_cmp_gt_i32_e32 vcc_lo, 1, v35
	s_wait_xcnt 0x0
	v_add_nc_u64_e32 v[8:9], 0x400, v[52:53]
	s_or_b32 s41, vcc_lo, s41
	s_and_not1_b32 s74, s74, exec_lo
	s_and_b32 s76, s75, exec_lo
	s_delay_alu instid0(SALU_CYCLE_1)
	s_or_b32 s74, s74, s76
	s_and_not1_b32 exec_lo, exec_lo, s41
	s_cbranch_execz .LBB12_3387
.LBB12_3383:                            ;   Parent Loop BB12_47 Depth=1
                                        ;     Parent Loop BB12_3275 Depth=2
                                        ; =>    This Inner Loop Header: Depth=3
	s_clause 0xf
	flat_load_u16 v52, v[10:11] th:TH_LOAD_NT
	flat_load_u16 v53, v[10:11] offset:64 th:TH_LOAD_NT
	flat_load_u16 v54, v[10:11] offset:128 th:TH_LOAD_NT
	;; [unrolled: 1-line block ×15, first 2 shown]
	s_wait_xcnt 0x0
	s_and_saveexec_b32 s76, s75
	s_cbranch_execz .LBB12_3385
; %bb.3384:                             ;   in Loop: Header=BB12_3383 Depth=3
	s_clause 0xf
	flat_store_b16 v[8:9], v15 th:TH_STORE_NT
	flat_store_b16 v[8:9], v16 offset:64 th:TH_STORE_NT
	flat_store_b16 v[8:9], v17 offset:128 th:TH_STORE_NT
	;; [unrolled: 1-line block ×15, first 2 shown]
	s_wait_xcnt 0x0
	v_add_nc_u64_e32 v[8:9], v[8:9], v[104:105]
.LBB12_3385:                            ;   in Loop: Header=BB12_3383 Depth=3
	s_or_b32 exec_lo, exec_lo, s76
	v_dual_mov_b32 v68, 0 :: v_dual_sub_nc_u32 v35, v35, v60
	v_add_nc_u64_e32 v[10:11], v[10:11], v[104:105]
	v_mov_b64_e32 v[12:13], 0
	s_delay_alu instid0(VALU_DEP_3)
	v_cmp_lt_i32_e64 s75, 0, v35
	s_and_saveexec_b32 s76, s75
	s_cbranch_execz .LBB12_3382
; %bb.3386:                             ;   in Loop: Header=BB12_3383 Depth=3
	s_clause 0xf
	flat_load_u16 v15, v[10:11] th:TH_LOAD_NT
	flat_load_u16 v16, v[10:11] offset:64 th:TH_LOAD_NT
	flat_load_u16 v17, v[10:11] offset:128 th:TH_LOAD_NT
	flat_load_u16 v18, v[10:11] offset:192 th:TH_LOAD_NT
	flat_load_u16 v19, v[10:11] offset:256 th:TH_LOAD_NT
	flat_load_u16 v20, v[10:11] offset:320 th:TH_LOAD_NT
	flat_load_u16 v21, v[10:11] offset:384 th:TH_LOAD_NT
	flat_load_u16 v22, v[10:11] offset:448 th:TH_LOAD_NT
	flat_load_u16 v23, v[10:11] offset:512 th:TH_LOAD_NT
	flat_load_u16 v24, v[10:11] offset:576 th:TH_LOAD_NT
	flat_load_u16 v25, v[10:11] offset:640 th:TH_LOAD_NT
	flat_load_u16 v26, v[10:11] offset:704 th:TH_LOAD_NT
	flat_load_u16 v27, v[10:11] offset:768 th:TH_LOAD_NT
	flat_load_u16 v32, v[10:11] offset:832 th:TH_LOAD_NT
	flat_load_u16 v33, v[10:11] offset:896 th:TH_LOAD_NT
	flat_load_u16 v34, v[10:11] offset:960 th:TH_LOAD_NT
	s_wait_xcnt 0x0
	v_add_nc_u64_e32 v[10:11], 0x400, v[10:11]
	v_mov_b64_e32 v[12:13], v[78:79]
	v_mov_b32_e32 v68, v60
	s_branch .LBB12_3382
.LBB12_3387:                            ;   in Loop: Header=BB12_3275 Depth=2
	s_or_b32 exec_lo, exec_lo, s41
	s_delay_alu instid0(SALU_CYCLE_1)
	s_and_b32 s41, s74, exec_lo
.LBB12_3388:                            ;   in Loop: Header=BB12_3275 Depth=2
	s_or_b32 exec_lo, exec_lo, s40
	s_and_saveexec_b32 s40, s41
	s_cbranch_execz .LBB12_3390
; %bb.3389:                             ;   in Loop: Header=BB12_3275 Depth=2
	s_clause 0xf
	flat_store_b16 v[8:9], v15 th:TH_STORE_NT
	flat_store_b16 v[8:9], v16 offset:64 th:TH_STORE_NT
	flat_store_b16 v[8:9], v17 offset:128 th:TH_STORE_NT
	;; [unrolled: 1-line block ×15, first 2 shown]
.LBB12_3390:                            ;   in Loop: Header=BB12_3275 Depth=2
	s_wait_xcnt 0x0
	s_or_b32 exec_lo, exec_lo, s40
	v_lshlrev_b32_e32 v7, 10, v7
	s_delay_alu instid0(VALU_DEP_1)
	v_cmp_ne_u32_e32 vcc_lo, v2, v7
	s_and_b32 exec_lo, exec_lo, vcc_lo
	s_cbranch_execz .LBB12_3400
; %bb.3391:                             ;   in Loop: Header=BB12_3275 Depth=2
	v_lshlrev_b32_e32 v8, 5, v35
	s_delay_alu instid0(VALU_DEP_1) | instskip(NEXT) | instid1(VALU_DEP_1)
	v_sub_nc_u32_e32 v6, v6, v8
	v_ashrrev_i32_e32 v8, 31, v6
	s_delay_alu instid0(VALU_DEP_1) | instskip(NEXT) | instid1(VALU_DEP_1)
	v_lshrrev_b32_e32 v8, 27, v8
	v_add_nc_u32_e32 v8, v6, v8
	s_delay_alu instid0(VALU_DEP_1) | instskip(NEXT) | instid1(VALU_DEP_1)
	v_and_b32_e32 v9, 0x7fffffe0, v8
	v_dual_lshlrev_b32 v8, 1, v8 :: v_dual_sub_nc_u32 v6, v6, v9
	s_delay_alu instid0(VALU_DEP_1) | instskip(NEXT) | instid1(VALU_DEP_2)
	v_and_b32_e32 v8, 0xffffffc0, v8
	v_lshlrev_b32_e32 v6, 1, v6
	s_delay_alu instid0(VALU_DEP_1) | instskip(NEXT) | instid1(VALU_DEP_1)
	v_add3_u32 v7, v8, v6, v7
	v_sub_nc_u32_e32 v6, v2, v7
	s_delay_alu instid0(VALU_DEP_1)
	v_cmp_lt_i32_e32 vcc_lo, 1, v6
	s_and_b32 exec_lo, exec_lo, vcc_lo
	s_cbranch_execz .LBB12_3400
; %bb.3392:                             ;   in Loop: Header=BB12_3275 Depth=2
	v_add_nc_u32_e32 v10, v7, v14
	s_mov_b32 s74, 0
	s_mov_b32 s40, 0
                                        ; implicit-def: $sgpr41
                                        ; implicit-def: $vgpr2
	s_delay_alu instid0(VALU_DEP_1) | instskip(NEXT) | instid1(VALU_DEP_1)
	v_ashrrev_i32_e32 v11, 31, v10
	v_add_nc_u64_e32 v[8:9], v[30:31], v[10:11]
	v_add_nc_u64_e32 v[10:11], v[10:11], v[28:29]
	s_branch .LBB12_3394
.LBB12_3393:                            ;   in Loop: Header=BB12_3394 Depth=3
	s_or_b32 exec_lo, exec_lo, s75
	s_delay_alu instid0(VALU_DEP_1) | instskip(NEXT) | instid1(VALU_DEP_2)
	v_sub_nc_u32_e32 v6, v6, v14
	v_add_nc_u64_e32 v[14:15], v[8:9], v[12:13]
	s_wait_loadcnt_dscnt 0x0
	flat_store_b16 v[8:9], v7 th:TH_STORE_NT
	v_add_nc_u64_e32 v[10:11], v[10:11], v[12:13]
	v_cmp_gt_i32_e32 vcc_lo, 2, v6
	s_wait_xcnt 0x0
	v_add_nc_u64_e32 v[8:9], 64, v[14:15]
	s_or_b32 s40, vcc_lo, s40
	s_and_not1_b32 s41, s41, exec_lo
	s_and_b32 s75, s74, exec_lo
	s_delay_alu instid0(SALU_CYCLE_1)
	s_or_b32 s41, s41, s75
	s_and_not1_b32 exec_lo, exec_lo, s40
	s_cbranch_execz .LBB12_3398
.LBB12_3394:                            ;   Parent Loop BB12_47 Depth=1
                                        ;     Parent Loop BB12_3275 Depth=2
                                        ; =>    This Inner Loop Header: Depth=3
	flat_load_u16 v7, v[10:11] th:TH_LOAD_NT
	s_wait_xcnt 0x0
	s_and_saveexec_b32 s75, s74
	s_cbranch_execz .LBB12_3396
; %bb.3395:                             ;   in Loop: Header=BB12_3394 Depth=3
	v_add_nc_u64_e32 v[12:13], 64, v[92:93]
	flat_store_b16 v[8:9], v2 th:TH_STORE_NT
	v_add_nc_u64_e32 v[12:13], v[8:9], v[12:13]
	s_wait_xcnt 0x0
	s_delay_alu instid0(VALU_DEP_1)
	v_mov_b64_e32 v[8:9], v[12:13]
.LBB12_3396:                            ;   in Loop: Header=BB12_3394 Depth=3
	s_or_b32 exec_lo, exec_lo, s75
	v_add_nc_u64_e32 v[12:13], 64, v[92:93]
	v_dual_sub_nc_u32 v6, v6, v76 :: v_dual_mov_b32 v14, 0
	s_delay_alu instid0(VALU_DEP_1) | instskip(NEXT) | instid1(VALU_DEP_3)
	v_cmp_lt_i32_e64 s74, 1, v6
	v_add_nc_u64_e32 v[10:11], v[10:11], v[12:13]
	v_mov_b64_e32 v[12:13], 0
	s_and_saveexec_b32 s75, s74
	s_cbranch_execz .LBB12_3393
; %bb.3397:                             ;   in Loop: Header=BB12_3394 Depth=3
	flat_load_u16 v2, v[10:11] th:TH_LOAD_NT
	s_wait_xcnt 0x0
	v_add_nc_u64_e32 v[10:11], 64, v[10:11]
	v_mov_b64_e32 v[12:13], v[92:93]
	v_mov_b32_e32 v14, v76
	s_branch .LBB12_3393
.LBB12_3398:                            ;   in Loop: Header=BB12_3275 Depth=2
	s_or_b32 exec_lo, exec_lo, s40
	s_delay_alu instid0(SALU_CYCLE_1)
	s_and_b32 exec_lo, exec_lo, s41
	s_cbranch_execz .LBB12_3400
; %bb.3399:                             ;   in Loop: Header=BB12_3275 Depth=2
	flat_store_b16 v[8:9], v2 th:TH_STORE_NT
.LBB12_3400:                            ;   in Loop: Header=BB12_3275 Depth=2
	s_wait_xcnt 0x0
	s_or_b32 exec_lo, exec_lo, s13
	v_cmp_lt_i32_e64 s13, 0, v1
	s_and_saveexec_b32 s40, s2
	s_cbranch_execz .LBB12_3346
.LBB12_3401:                            ;   in Loop: Header=BB12_3275 Depth=2
	s_and_saveexec_b32 s41, s3
	s_delay_alu instid0(SALU_CYCLE_1)
	s_xor_b32 s41, exec_lo, s41
	s_cbranch_execz .LBB12_3416
; %bb.3402:                             ;   in Loop: Header=BB12_3275 Depth=2
	s_and_saveexec_b32 s74, s6
	s_cbranch_execz .LBB12_3415
; %bb.3403:                             ;   in Loop: Header=BB12_3275 Depth=2
	s_mov_b32 s76, exec_lo
	s_mov_b32 s75, exec_lo
	v_mbcnt_lo_u32_b32 v1, s76, 0
	global_wb scope:SCOPE_DEV
	s_wait_storecnt 0x0
	s_wait_loadcnt_dscnt 0x0
	global_inv scope:SCOPE_DEV
	v_cmpx_eq_u32_e32 0, v1
	s_cbranch_execz .LBB12_3405
; %bb.3404:                             ;   in Loop: Header=BB12_3275 Depth=2
	s_bcnt1_i32_b32 s76, s76
	s_delay_alu instid0(SALU_CYCLE_1)
	v_mov_b32_e32 v2, s76
	s_wait_loadcnt 0x0
	ds_add_u64 v0, v[2:3]
	s_trap 2
.LBB12_3405:                            ;   in Loop: Header=BB12_3275 Depth=2
	s_or_b32 exec_lo, exec_lo, s75
	s_trap 2
	ds_load_b64 v[6:7], v0
	s_wait_dscnt 0x0
	v_add_nc_u64_e32 v[56:57], v[56:57], v[60:61]
	s_mov_b32 s75, exec_lo
	s_delay_alu instid0(VALU_DEP_1)
	v_cmpx_lt_u64_e64 v[6:7], v[56:57]
	s_cbranch_execz .LBB12_3414
; %bb.3406:                             ;   in Loop: Header=BB12_3275 Depth=2
	s_mov_b32 s76, 0
	s_mov_b32 s79, 0
                                        ; implicit-def: $sgpr77
                                        ; implicit-def: $sgpr78
	s_branch .LBB12_3408
.LBB12_3407:                            ;   in Loop: Header=BB12_3408 Depth=3
	s_or_b32 exec_lo, exec_lo, s89
	s_delay_alu instid0(SALU_CYCLE_1) | instskip(NEXT) | instid1(SALU_CYCLE_1)
	s_and_b32 s88, exec_lo, s90
	s_or_b32 s76, s88, s76
	s_and_not1_b32 s77, s77, exec_lo
	s_and_b32 s88, s78, exec_lo
	s_delay_alu instid0(SALU_CYCLE_1)
	s_or_b32 s77, s77, s88
	s_and_not1_b32 exec_lo, exec_lo, s76
	s_cbranch_execz .LBB12_3412
.LBB12_3408:                            ;   Parent Loop BB12_47 Depth=1
                                        ;     Parent Loop BB12_3275 Depth=2
                                        ; =>    This Inner Loop Header: Depth=3
	s_add_co_i32 s79, s79, 1
	s_delay_alu instid0(SALU_CYCLE_1) | instskip(SKIP_1) | instid1(SALU_CYCLE_1)
	s_cmp_lg_u32 s79, 0x2710
	s_cselect_b32 s88, -1, 0
	s_and_b32 vcc_lo, exec_lo, s88
	s_cbranch_vccz .LBB12_3410
; %bb.3409:                             ;   in Loop: Header=BB12_3408 Depth=3
	s_mov_b32 s90, -1
	s_or_b32 s78, s78, exec_lo
	s_and_saveexec_b32 s89, s88
	s_cbranch_execz .LBB12_3407
	s_branch .LBB12_3411
.LBB12_3410:                            ;   in Loop: Header=BB12_3408 Depth=3
	s_trap 2
	ds_load_b64 v[6:7], v0
	s_and_not1_b32 s88, s88, exec_lo
	s_mov_b32 s79, 0
	s_wait_loadcnt_dscnt 0x0
	flat_load_b32 v1, v[6:7] scope:SCOPE_SYS
	s_wait_loadcnt_dscnt 0x0
	global_inv scope:SCOPE_SYS
	v_cmp_eq_u32_e32 vcc_lo, 0, v1
	s_and_b32 s89, vcc_lo, exec_lo
	s_delay_alu instid0(SALU_CYCLE_1)
	s_or_b32 s88, s88, s89
	s_mov_b32 s90, -1
	s_or_b32 s78, s78, exec_lo
	s_and_saveexec_b32 s89, s88
	s_cbranch_execz .LBB12_3407
.LBB12_3411:                            ;   in Loop: Header=BB12_3408 Depth=3
	s_sleep 1
	s_trap 2
	ds_load_b64 v[6:7], v0
	s_wait_dscnt 0x0
	s_and_not1_b32 s78, s78, exec_lo
	v_cmp_ge_u64_e32 vcc_lo, v[6:7], v[56:57]
	s_or_not1_b32 s90, vcc_lo, exec_lo
	s_branch .LBB12_3407
.LBB12_3412:                            ;   in Loop: Header=BB12_3275 Depth=2
	s_or_b32 exec_lo, exec_lo, s76
	s_and_saveexec_b32 s76, s77
	s_delay_alu instid0(SALU_CYCLE_1)
	s_xor_b32 s76, exec_lo, s76
	s_cbranch_execz .LBB12_3414
; %bb.3413:                             ;   in Loop: Header=BB12_3275 Depth=2
	v_mov_b32_e32 v1, 1
	ds_store_b32 v0, v1
	s_trap 2
.LBB12_3414:                            ;   in Loop: Header=BB12_3275 Depth=2
	s_or_b32 exec_lo, exec_lo, s75
	;;#ASMSTART
	s_wakeup
	;;#ASMEND
.LBB12_3415:                            ;   in Loop: Header=BB12_3275 Depth=2
	s_or_b32 exec_lo, exec_lo, s74
.LBB12_3416:                            ;   in Loop: Header=BB12_3275 Depth=2
	s_and_not1_saveexec_b32 s41, s41
	s_cbranch_execz .LBB12_3418
; %bb.3417:                             ;   in Loop: Header=BB12_3275 Depth=2
	global_wb scope:SCOPE_DEV
	s_wait_storecnt 0x0
	s_wait_loadcnt_dscnt 0x0
	global_inv scope:SCOPE_DEV
	s_barrier_signal -1
	s_barrier_wait -1
.LBB12_3418:                            ;   in Loop: Header=BB12_3275 Depth=2
	s_or_b32 exec_lo, exec_lo, s41
	s_delay_alu instid0(SALU_CYCLE_1) | instskip(SKIP_1) | instid1(SALU_CYCLE_1)
	s_or_b32 exec_lo, exec_lo, s40
	s_and_saveexec_b32 s40, s10
	s_xor_b32 s40, exec_lo, s40
	s_cbranch_execnz .LBB12_3347
.LBB12_3419:                            ;   in Loop: Header=BB12_3275 Depth=2
	s_and_not1_saveexec_b32 s13, s40
	s_cbranch_execz .LBB12_3438
.LBB12_3420:                            ;   in Loop: Header=BB12_3275 Depth=2
	s_and_saveexec_b32 s40, s3
	s_delay_alu instid0(SALU_CYCLE_1)
	s_xor_b32 s40, exec_lo, s40
	s_cbranch_execz .LBB12_3435
; %bb.3421:                             ;   in Loop: Header=BB12_3275 Depth=2
	s_and_saveexec_b32 s41, s6
	s_cbranch_execz .LBB12_3434
; %bb.3422:                             ;   in Loop: Header=BB12_3275 Depth=2
	s_mov_b32 s75, exec_lo
	s_mov_b32 s74, exec_lo
	v_mbcnt_lo_u32_b32 v1, s75, 0
	;;#ASMSTART
	s_waitcnt lgkmcnt(0) vmcnt(0)
	;;#ASMEND
	s_delay_alu instid0(VALU_DEP_1)
	v_cmpx_eq_u32_e32 0, v1
	s_cbranch_execz .LBB12_3424
; %bb.3423:                             ;   in Loop: Header=BB12_3275 Depth=2
	s_bcnt1_i32_b32 s75, s75
	s_delay_alu instid0(SALU_CYCLE_1)
	v_mov_b32_e32 v2, s75
	s_wait_storecnt 0x0
	s_wait_loadcnt_dscnt 0x0
	ds_add_u64 v0, v[2:3]
	s_trap 2
.LBB12_3424:                            ;   in Loop: Header=BB12_3275 Depth=2
	s_or_b32 exec_lo, exec_lo, s74
	s_trap 2
	s_wait_loadcnt 0x1
	ds_load_b64 v[6:7], v0
	s_wait_dscnt 0x0
	v_add_nc_u64_e32 v[56:57], v[56:57], v[60:61]
	s_mov_b32 s74, exec_lo
	s_delay_alu instid0(VALU_DEP_1)
	v_cmpx_lt_u64_e64 v[6:7], v[56:57]
	s_cbranch_execz .LBB12_3433
; %bb.3425:                             ;   in Loop: Header=BB12_3275 Depth=2
	s_mov_b32 s75, 0
	s_mov_b32 s78, 0
                                        ; implicit-def: $sgpr76
                                        ; implicit-def: $sgpr77
	s_branch .LBB12_3427
.LBB12_3426:                            ;   in Loop: Header=BB12_3427 Depth=3
	s_or_b32 exec_lo, exec_lo, s88
	s_delay_alu instid0(SALU_CYCLE_1) | instskip(NEXT) | instid1(SALU_CYCLE_1)
	s_and_b32 s79, exec_lo, s89
	s_or_b32 s75, s79, s75
	s_and_not1_b32 s76, s76, exec_lo
	s_and_b32 s79, s77, exec_lo
	s_delay_alu instid0(SALU_CYCLE_1)
	s_or_b32 s76, s76, s79
	s_and_not1_b32 exec_lo, exec_lo, s75
	s_cbranch_execz .LBB12_3431
.LBB12_3427:                            ;   Parent Loop BB12_47 Depth=1
                                        ;     Parent Loop BB12_3275 Depth=2
                                        ; =>    This Inner Loop Header: Depth=3
	s_add_co_i32 s78, s78, 1
	s_delay_alu instid0(SALU_CYCLE_1) | instskip(SKIP_1) | instid1(SALU_CYCLE_1)
	s_cmp_lg_u32 s78, 0x2710
	s_cselect_b32 s79, -1, 0
	s_and_b32 vcc_lo, exec_lo, s79
	s_cbranch_vccz .LBB12_3429
; %bb.3428:                             ;   in Loop: Header=BB12_3427 Depth=3
	s_mov_b32 s89, -1
	s_or_b32 s77, s77, exec_lo
	s_and_saveexec_b32 s88, s79
	s_cbranch_execz .LBB12_3426
	s_branch .LBB12_3430
.LBB12_3429:                            ;   in Loop: Header=BB12_3427 Depth=3
	s_trap 2
	ds_load_b64 v[6:7], v0
	s_and_not1_b32 s79, s79, exec_lo
	s_mov_b32 s78, 0
	s_wait_storecnt 0x0
	s_wait_loadcnt_dscnt 0x0
	flat_load_b32 v1, v[6:7] scope:SCOPE_SYS
	s_wait_loadcnt_dscnt 0x0
	global_inv scope:SCOPE_SYS
	v_cmp_eq_u32_e32 vcc_lo, 0, v1
	s_and_b32 s88, vcc_lo, exec_lo
	s_delay_alu instid0(SALU_CYCLE_1)
	s_or_b32 s79, s79, s88
	s_mov_b32 s89, -1
	s_or_b32 s77, s77, exec_lo
	s_and_saveexec_b32 s88, s79
	s_cbranch_execz .LBB12_3426
.LBB12_3430:                            ;   in Loop: Header=BB12_3427 Depth=3
	s_sleep 1
	s_trap 2
	ds_load_b64 v[6:7], v0
	s_wait_dscnt 0x0
	s_and_not1_b32 s77, s77, exec_lo
	v_cmp_ge_u64_e32 vcc_lo, v[6:7], v[56:57]
	s_or_not1_b32 s89, vcc_lo, exec_lo
	s_branch .LBB12_3426
.LBB12_3431:                            ;   in Loop: Header=BB12_3275 Depth=2
	s_or_b32 exec_lo, exec_lo, s75
	s_and_saveexec_b32 s75, s76
	s_delay_alu instid0(SALU_CYCLE_1)
	s_xor_b32 s75, exec_lo, s75
	s_cbranch_execz .LBB12_3433
; %bb.3432:                             ;   in Loop: Header=BB12_3275 Depth=2
	v_mov_b32_e32 v1, 1
	ds_store_b32 v0, v1
	s_trap 2
.LBB12_3433:                            ;   in Loop: Header=BB12_3275 Depth=2
	s_or_b32 exec_lo, exec_lo, s74
	;;#ASMSTART
	s_wakeup
	;;#ASMEND
.LBB12_3434:                            ;   in Loop: Header=BB12_3275 Depth=2
	s_or_b32 exec_lo, exec_lo, s41
.LBB12_3435:                            ;   in Loop: Header=BB12_3275 Depth=2
	s_and_not1_saveexec_b32 s40, s40
	s_cbranch_execz .LBB12_3437
; %bb.3436:                             ;   in Loop: Header=BB12_3275 Depth=2
	;;#ASMSTART
	s_waitcnt lgkmcnt(0) vmcnt(0)
	;;#ASMEND
	s_barrier_signal -1
	s_barrier_wait -1
.LBB12_3437:                            ;   in Loop: Header=BB12_3275 Depth=2
	s_or_b32 exec_lo, exec_lo, s40
.LBB12_3438:                            ;   in Loop: Header=BB12_3275 Depth=2
	s_delay_alu instid0(SALU_CYCLE_1) | instskip(SKIP_2) | instid1(VALU_DEP_1)
	s_or_b32 exec_lo, exec_lo, s13
	v_and_b32_e32 v1, 32, v126
	s_mov_b32 s13, exec_lo
	v_cmpx_ne_u32_e32 0, v1
	s_cbranch_execz .LBB12_3274
; %bb.3439:                             ;   in Loop: Header=BB12_3275 Depth=2
	v_add_nc_u64_e32 v[116:117], 2, v[116:117]
	global_wb scope:SCOPE_SYS
	s_wait_storecnt 0x0
	s_wait_loadcnt_dscnt 0x0
	flat_store_b64 v[40:41], v[116:117] scope:SCOPE_SYS
	s_branch .LBB12_3274
.LBB12_3440:                            ;   in Loop: Header=BB12_47 Depth=1
	s_or_b32 exec_lo, exec_lo, s15
.LBB12_3441:                            ;   in Loop: Header=BB12_47 Depth=1
	s_delay_alu instid0(SALU_CYCLE_1) | instskip(NEXT) | instid1(SALU_CYCLE_1)
	s_or_b32 exec_lo, exec_lo, s14
	s_mov_b32 s14, exec_lo
	v_cmpx_gt_i32_e32 2, v1
	s_cbranch_execz .LBB12_46
; %bb.3442:                             ;   in Loop: Header=BB12_47 Depth=1
	v_cmp_eq_u32_e64 s18, 0, v1
	s_mov_b32 s15, 0
	s_branch .LBB12_3444
.LBB12_3443:                            ;   in Loop: Header=BB12_3444 Depth=2
	s_wait_xcnt 0x0
	s_or_b32 exec_lo, exec_lo, s13
	v_add_nc_u32_e32 v0, v75, v0
	s_mov_b32 s18, 0
	s_and_not1_b32 exec_lo, exec_lo, s15
	s_cbranch_execz .LBB12_45
.LBB12_3444:                            ;   Parent Loop BB12_47 Depth=1
                                        ; =>  This Loop Header: Depth=2
                                        ;       Child Loop BB12_3450 Depth 3
                                        ;       Child Loop BB12_3474 Depth 3
	;; [unrolled: 1-line block ×3, first 2 shown]
	v_and_b32_e32 v1, 4, v126
	s_mov_b32 s27, exec_lo
	s_delay_alu instid0(VALU_DEP_1)
	v_cmpx_ne_u32_e32 0, v1
	s_cbranch_execz .LBB12_3466
; %bb.3445:                             ;   in Loop: Header=BB12_3444 Depth=2
	v_add_nc_u64_e32 v[4:5], 2, v[116:117]
	s_mov_b32 s40, exec_lo
	s_wait_dscnt 0x1
	s_delay_alu instid0(VALU_DEP_1)
	v_cmpx_lt_u64_e64 v[58:59], v[4:5]
	s_cbranch_execz .LBB12_3457
; %bb.3446:                             ;   in Loop: Header=BB12_3444 Depth=2
	v_and_b32_e32 v1, 64, v126
	s_mov_b32 s41, 0
	s_mov_b32 s77, 0
                                        ; implicit-def: $sgpr74
                                        ; implicit-def: $sgpr75
                                        ; implicit-def: $sgpr76
	s_delay_alu instid0(VALU_DEP_1)
	v_cmp_eq_u32_e32 vcc_lo, 0, v1
	s_branch .LBB12_3450
.LBB12_3447:                            ;   in Loop: Header=BB12_3450 Depth=3
	s_wait_loadcnt_dscnt 0x0
	v_cmp_ge_u64_e64 s13, v[58:59], v[4:5]
	s_or_b32 s88, s88, exec_lo
	s_or_not1_b32 s79, s13, exec_lo
.LBB12_3448:                            ;   in Loop: Header=BB12_3450 Depth=3
	s_or_b32 exec_lo, exec_lo, s90
	s_delay_alu instid0(SALU_CYCLE_1)
	s_and_not1_b32 s13, s76, exec_lo
	s_and_b32 s76, s88, exec_lo
	s_and_not1_b32 s75, s75, exec_lo
	s_and_b32 s79, s79, exec_lo
	s_or_b32 s76, s13, s76
	s_or_b32 s75, s75, s79
.LBB12_3449:                            ;   in Loop: Header=BB12_3450 Depth=3
	s_or_b32 exec_lo, exec_lo, s78
	s_delay_alu instid0(SALU_CYCLE_1) | instskip(NEXT) | instid1(SALU_CYCLE_1)
	s_and_b32 s13, exec_lo, s75
	s_or_b32 s41, s13, s41
	s_and_not1_b32 s13, s74, exec_lo
	s_and_b32 s74, s76, exec_lo
	s_delay_alu instid0(SALU_CYCLE_1)
	s_or_b32 s74, s13, s74
	s_and_not1_b32 exec_lo, exec_lo, s41
	s_cbranch_execz .LBB12_3454
.LBB12_3450:                            ;   Parent Loop BB12_47 Depth=1
                                        ;     Parent Loop BB12_3444 Depth=2
                                        ; =>    This Inner Loop Header: Depth=3
	s_sleep 1
	s_wait_loadcnt_dscnt 0x0
	flat_load_b64 v[58:59], v[40:41] scope:SCOPE_SYS
	s_or_b32 s76, s76, exec_lo
	s_or_b32 s75, s75, exec_lo
                                        ; implicit-def: $vgpr1
	s_wait_xcnt 0x0
	s_and_saveexec_b32 s78, vcc_lo
	s_cbranch_execz .LBB12_3449
; %bb.3451:                             ;   in Loop: Header=BB12_3450 Depth=3
	s_cmp_lt_i32 s77, 0x270f
	s_mov_b32 s79, -1
	s_cselect_b32 s89, -1, 0
	s_cmp_gt_i32 s77, 0x270e
	s_cbranch_scc0 .LBB12_3453
; %bb.3452:                             ;   in Loop: Header=BB12_3450 Depth=3
	s_trap 2
	s_wait_loadcnt 0x2
	ds_load_b64 v[6:7], v0
	s_and_not1_b32 s77, s89, exec_lo
	s_mov_b32 s88, 0
	s_wait_storecnt 0x0
	s_wait_loadcnt_dscnt 0x0
	flat_load_b32 v1, v[6:7] scope:SCOPE_SYS
	s_wait_loadcnt_dscnt 0x0
	global_inv scope:SCOPE_SYS
	v_cmp_eq_u32_e64 s13, 0, v1
	s_and_b32 s13, s13, exec_lo
	s_delay_alu instid0(SALU_CYCLE_1)
	s_or_b32 s89, s77, s13
	s_mov_b32 s77, 0
	s_and_saveexec_b32 s90, s89
	s_cbranch_execz .LBB12_3448
	s_branch .LBB12_3447
.LBB12_3453:                            ;   in Loop: Header=BB12_3450 Depth=3
	s_add_co_i32 s77, s77, 1
	s_mov_b32 s88, -1
                                        ; implicit-def: $vgpr1
	s_and_saveexec_b32 s90, s89
	s_cbranch_execz .LBB12_3448
	s_branch .LBB12_3447
.LBB12_3454:                            ;   in Loop: Header=BB12_3444 Depth=2
	s_or_b32 exec_lo, exec_lo, s41
	s_xor_b32 s13, s74, -1
	s_delay_alu instid0(SALU_CYCLE_1) | instskip(NEXT) | instid1(SALU_CYCLE_1)
	s_and_saveexec_b32 s41, s13
	s_xor_b32 s13, exec_lo, s41
	s_cbranch_execz .LBB12_3456
; %bb.3455:                             ;   in Loop: Header=BB12_3444 Depth=2
	v_or_b32_e32 v126, 64, v126
	s_wait_storecnt 0x0
	s_wait_loadcnt_dscnt 0x0
	ds_store_b32 v0, v1
	s_trap 2
.LBB12_3456:                            ;   in Loop: Header=BB12_3444 Depth=2
	s_or_b32 exec_lo, exec_lo, s13
.LBB12_3457:                            ;   in Loop: Header=BB12_3444 Depth=2
	s_delay_alu instid0(SALU_CYCLE_1)
	s_or_b32 exec_lo, exec_lo, s40
	v_and_b32_e32 v1, 0x100, v126
	v_and_b32_e32 v2, 7, v116
	s_mov_b32 s13, -1
	s_mov_b32 s40, exec_lo
	;;#ASMSTART
	s_wakeup
	;;#ASMEND
                                        ; implicit-def: $vgpr8_vgpr9
	v_cmpx_ne_u32_e32 0, v1
	s_cbranch_execz .LBB12_3461
; %bb.3458:                             ;   in Loop: Header=BB12_3444 Depth=2
	s_wait_loadcnt 0x0
	scratch_load_b128 v[6:9], off, s33 offset:272 ; 16-byte Folded Reload
	s_mov_b32 s41, exec_lo
                                        ; implicit-def: $vgpr8_vgpr9
	s_wait_loadcnt 0x0
	v_mad_nc_u64_u32 v[10:11], v2, 24, v[6:7]
	flat_load_b32 v1, v[10:11]
	s_wait_loadcnt_dscnt 0x0
	v_cmp_ne_u32_e32 vcc_lo, 1, v1
	s_wait_xcnt 0x0
	v_cmpx_eq_u32_e32 1, v1
	s_cbranch_execz .LBB12_3460
; %bb.3459:                             ;   in Loop: Header=BB12_3444 Depth=2
	flat_load_b32 v6, v[10:11] offset:4 scope:SCOPE_SYS
	s_wait_loadcnt_dscnt 0x0
	v_ashrrev_i32_e32 v7, 31, v6
	s_delay_alu instid0(VALU_DEP_1)
	v_lshrrev_b64 v[8:9], 1, v[6:7]
.LBB12_3460:                            ;   in Loop: Header=BB12_3444 Depth=2
	s_wait_xcnt 0x0
	s_or_b32 exec_lo, exec_lo, s41
	s_delay_alu instid0(SALU_CYCLE_1)
	s_or_not1_b32 s13, vcc_lo, exec_lo
.LBB12_3461:                            ;   in Loop: Header=BB12_3444 Depth=2
	s_or_b32 exec_lo, exec_lo, s40
	s_and_saveexec_b32 s40, s13
	s_cbranch_execz .LBB12_3463
; %bb.3462:                             ;   in Loop: Header=BB12_3444 Depth=2
	s_wait_loadcnt 0x1
	scratch_load_b64 v[6:7], off, s33 offset:296 ; 8-byte Folded Reload
	s_wait_loadcnt 0x0
	v_mul_u64_e32 v[8:9], v[2:3], v[6:7]
.LBB12_3463:                            ;   in Loop: Header=BB12_3444 Depth=2
	s_wait_xcnt 0x0
	s_or_b32 exec_lo, exec_lo, s40
	s_wait_loadcnt 0x1
	scratch_load_b64 v[6:7], off, s33 offset:264 ; 8-byte Folded Reload
	v_and_b32_e32 v1, 0x2000, v126
	s_mov_b32 s13, exec_lo
	s_wait_loadcnt 0x0
	v_lshl_add_u64 v[6:7], v[8:9], 1, v[6:7]
	ds_store_b64 v0, v[6:7] offset:720
	s_wait_xcnt 0x0
	v_cmpx_ne_u32_e32 0, v1
	s_cbranch_execz .LBB12_3465
; %bb.3464:                             ;   in Loop: Header=BB12_3444 Depth=2
	ds_load_b64 v[6:7], v0 offset:872
	s_wait_dscnt 0x0
	v_add_nc_u64_e32 v[6:7], 1, v[6:7]
	ds_store_b64 v0, v[6:7] offset:872
.LBB12_3465:                            ;   in Loop: Header=BB12_3444 Depth=2
	s_or_b32 exec_lo, exec_lo, s13
	v_mov_b64_e32 v[116:117], v[4:5]
.LBB12_3466:                            ;   in Loop: Header=BB12_3444 Depth=2
	s_or_b32 exec_lo, exec_lo, s27
	s_xor_b32 s13, s18, -1
	s_delay_alu instid0(SALU_CYCLE_1) | instskip(NEXT) | instid1(SALU_CYCLE_1)
	s_and_b32 s13, exec_lo, s13
	s_or_b32 s15, s13, s15
	s_and_saveexec_b32 s13, s2
	s_cbranch_execz .LBB12_3485
; %bb.3467:                             ;   in Loop: Header=BB12_3444 Depth=2
	s_and_saveexec_b32 s18, s3
	s_delay_alu instid0(SALU_CYCLE_1)
	s_xor_b32 s18, exec_lo, s18
	s_cbranch_execz .LBB12_3482
; %bb.3468:                             ;   in Loop: Header=BB12_3444 Depth=2
	s_and_saveexec_b32 s27, s6
	s_cbranch_execz .LBB12_3481
; %bb.3469:                             ;   in Loop: Header=BB12_3444 Depth=2
	s_mov_b32 s41, exec_lo
	s_mov_b32 s40, exec_lo
	v_mbcnt_lo_u32_b32 v1, s41, 0
	global_wb scope:SCOPE_DEV
	s_wait_storecnt 0x0
	s_wait_loadcnt_dscnt 0x0
	global_inv scope:SCOPE_DEV
	v_cmpx_eq_u32_e32 0, v1
	s_cbranch_execz .LBB12_3471
; %bb.3470:                             ;   in Loop: Header=BB12_3444 Depth=2
	s_bcnt1_i32_b32 s41, s41
	s_delay_alu instid0(SALU_CYCLE_1)
	v_mov_b32_e32 v2, s41
	s_wait_loadcnt 0x0
	ds_add_u64 v0, v[2:3]
	s_trap 2
.LBB12_3471:                            ;   in Loop: Header=BB12_3444 Depth=2
	s_or_b32 exec_lo, exec_lo, s40
	s_trap 2
	ds_load_b64 v[4:5], v0
	s_wait_dscnt 0x0
	v_add_nc_u64_e32 v[56:57], v[56:57], v[60:61]
	s_mov_b32 s40, exec_lo
	s_delay_alu instid0(VALU_DEP_1)
	v_cmpx_lt_u64_e64 v[4:5], v[56:57]
	s_cbranch_execz .LBB12_3480
; %bb.3472:                             ;   in Loop: Header=BB12_3444 Depth=2
	s_mov_b32 s41, 0
	s_mov_b32 s76, 0
                                        ; implicit-def: $sgpr74
                                        ; implicit-def: $sgpr75
	s_branch .LBB12_3474
.LBB12_3473:                            ;   in Loop: Header=BB12_3474 Depth=3
	s_or_b32 exec_lo, exec_lo, s78
	s_delay_alu instid0(SALU_CYCLE_1) | instskip(NEXT) | instid1(SALU_CYCLE_1)
	s_and_b32 s77, exec_lo, s79
	s_or_b32 s41, s77, s41
	s_and_not1_b32 s74, s74, exec_lo
	s_and_b32 s77, s75, exec_lo
	s_delay_alu instid0(SALU_CYCLE_1)
	s_or_b32 s74, s74, s77
	s_and_not1_b32 exec_lo, exec_lo, s41
	s_cbranch_execz .LBB12_3478
.LBB12_3474:                            ;   Parent Loop BB12_47 Depth=1
                                        ;     Parent Loop BB12_3444 Depth=2
                                        ; =>    This Inner Loop Header: Depth=3
	s_add_co_i32 s76, s76, 1
	s_delay_alu instid0(SALU_CYCLE_1) | instskip(SKIP_1) | instid1(SALU_CYCLE_1)
	s_cmp_lg_u32 s76, 0x2710
	s_cselect_b32 s77, -1, 0
	s_and_b32 vcc_lo, exec_lo, s77
	s_cbranch_vccz .LBB12_3476
; %bb.3475:                             ;   in Loop: Header=BB12_3474 Depth=3
	s_mov_b32 s79, -1
	s_or_b32 s75, s75, exec_lo
	s_and_saveexec_b32 s78, s77
	s_cbranch_execz .LBB12_3473
	s_branch .LBB12_3477
.LBB12_3476:                            ;   in Loop: Header=BB12_3474 Depth=3
	s_trap 2
	ds_load_b64 v[4:5], v0
	s_and_not1_b32 s77, s77, exec_lo
	s_mov_b32 s76, 0
	s_wait_loadcnt_dscnt 0x0
	flat_load_b32 v1, v[4:5] scope:SCOPE_SYS
	s_wait_loadcnt_dscnt 0x0
	global_inv scope:SCOPE_SYS
	v_cmp_eq_u32_e32 vcc_lo, 0, v1
	s_and_b32 s78, vcc_lo, exec_lo
	s_delay_alu instid0(SALU_CYCLE_1)
	s_or_b32 s77, s77, s78
	s_mov_b32 s79, -1
	s_or_b32 s75, s75, exec_lo
	s_and_saveexec_b32 s78, s77
	s_cbranch_execz .LBB12_3473
.LBB12_3477:                            ;   in Loop: Header=BB12_3474 Depth=3
	s_sleep 1
	s_trap 2
	ds_load_b64 v[4:5], v0
	s_wait_dscnt 0x0
	s_and_not1_b32 s75, s75, exec_lo
	v_cmp_ge_u64_e32 vcc_lo, v[4:5], v[56:57]
	s_or_not1_b32 s79, vcc_lo, exec_lo
	s_branch .LBB12_3473
.LBB12_3478:                            ;   in Loop: Header=BB12_3444 Depth=2
	s_or_b32 exec_lo, exec_lo, s41
	s_and_saveexec_b32 s41, s74
	s_delay_alu instid0(SALU_CYCLE_1)
	s_xor_b32 s41, exec_lo, s41
	s_cbranch_execz .LBB12_3480
; %bb.3479:                             ;   in Loop: Header=BB12_3444 Depth=2
	v_mov_b32_e32 v1, 1
	ds_store_b32 v0, v1
	s_trap 2
.LBB12_3480:                            ;   in Loop: Header=BB12_3444 Depth=2
	s_or_b32 exec_lo, exec_lo, s40
	;;#ASMSTART
	s_wakeup
	;;#ASMEND
.LBB12_3481:                            ;   in Loop: Header=BB12_3444 Depth=2
	s_or_b32 exec_lo, exec_lo, s27
.LBB12_3482:                            ;   in Loop: Header=BB12_3444 Depth=2
	s_and_not1_saveexec_b32 s18, s18
	s_cbranch_execz .LBB12_3484
; %bb.3483:                             ;   in Loop: Header=BB12_3444 Depth=2
	global_wb scope:SCOPE_DEV
	s_wait_storecnt 0x0
	s_wait_loadcnt_dscnt 0x0
	global_inv scope:SCOPE_DEV
	s_barrier_signal -1
	s_barrier_wait -1
.LBB12_3484:                            ;   in Loop: Header=BB12_3444 Depth=2
	s_or_b32 exec_lo, exec_lo, s18
.LBB12_3485:                            ;   in Loop: Header=BB12_3444 Depth=2
	s_delay_alu instid0(SALU_CYCLE_1) | instskip(SKIP_1) | instid1(VALU_DEP_1)
	s_or_b32 exec_lo, exec_lo, s13
	v_sub_nc_u32_e32 v1, v74, v0
	v_min_i32_e32 v75, v75, v1
	s_and_saveexec_b32 s13, s10
	s_delay_alu instid0(SALU_CYCLE_1)
	s_xor_b32 s18, exec_lo, s13
	s_cbranch_execz .LBB12_3489
; %bb.3486:                             ;   in Loop: Header=BB12_3444 Depth=2
	s_trap 2
	ds_load_b32 v1, v0
	v_cmp_lt_i32_e32 vcc_lo, 0, v75
	s_wait_dscnt 0x0
	v_readfirstlane_b32 s13, v1
	v_and_b32_e32 v1, 16, v126
	s_cmp_eq_u32 s13, 0
	s_delay_alu instid0(VALU_DEP_1) | instskip(SKIP_1) | instid1(SALU_CYCLE_1)
	v_cmp_ne_u32_e64 s13, 0, v1
	s_cselect_b32 s27, -1, 0
	s_and_b32 s27, vcc_lo, s27
	s_delay_alu instid0(SALU_CYCLE_1) | instskip(NEXT) | instid1(SALU_CYCLE_1)
	s_and_b32 s27, s13, s27
	s_and_saveexec_b32 s13, s27
	s_cbranch_execz .LBB12_3488
; %bb.3487:                             ;   in Loop: Header=BB12_3444 Depth=2
	global_wb scope:SCOPE_SYS
	s_wait_loadcnt 0x0
	s_wait_storecnt 0x0
	global_inv scope:SCOPE_SYS
.LBB12_3488:                            ;   in Loop: Header=BB12_3444 Depth=2
	s_or_b32 exec_lo, exec_lo, s13
.LBB12_3489:                            ;   in Loop: Header=BB12_3444 Depth=2
	s_and_not1_saveexec_b32 s13, s18
	s_cbranch_execz .LBB12_3508
; %bb.3490:                             ;   in Loop: Header=BB12_3444 Depth=2
	s_and_saveexec_b32 s18, s3
	s_delay_alu instid0(SALU_CYCLE_1)
	s_xor_b32 s18, exec_lo, s18
	s_cbranch_execz .LBB12_3505
; %bb.3491:                             ;   in Loop: Header=BB12_3444 Depth=2
	s_and_saveexec_b32 s27, s6
	s_cbranch_execz .LBB12_3504
; %bb.3492:                             ;   in Loop: Header=BB12_3444 Depth=2
	s_mov_b32 s41, exec_lo
	s_mov_b32 s40, exec_lo
	v_mbcnt_lo_u32_b32 v1, s41, 0
	;;#ASMSTART
	s_waitcnt lgkmcnt(0) vmcnt(0)
	;;#ASMEND
	s_delay_alu instid0(VALU_DEP_1)
	v_cmpx_eq_u32_e32 0, v1
	s_cbranch_execz .LBB12_3494
; %bb.3493:                             ;   in Loop: Header=BB12_3444 Depth=2
	s_bcnt1_i32_b32 s41, s41
	s_delay_alu instid0(SALU_CYCLE_1)
	v_mov_b32_e32 v2, s41
	s_wait_storecnt 0x0
	s_wait_loadcnt_dscnt 0x0
	ds_add_u64 v0, v[2:3]
	s_trap 2
.LBB12_3494:                            ;   in Loop: Header=BB12_3444 Depth=2
	s_or_b32 exec_lo, exec_lo, s40
	s_trap 2
	ds_load_b64 v[4:5], v0
	s_wait_dscnt 0x0
	v_add_nc_u64_e32 v[56:57], v[56:57], v[60:61]
	s_mov_b32 s40, exec_lo
	s_delay_alu instid0(VALU_DEP_1)
	v_cmpx_lt_u64_e64 v[4:5], v[56:57]
	s_cbranch_execz .LBB12_3503
; %bb.3495:                             ;   in Loop: Header=BB12_3444 Depth=2
	s_mov_b32 s41, 0
	s_mov_b32 s76, 0
                                        ; implicit-def: $sgpr74
                                        ; implicit-def: $sgpr75
	s_branch .LBB12_3497
.LBB12_3496:                            ;   in Loop: Header=BB12_3497 Depth=3
	s_or_b32 exec_lo, exec_lo, s78
	s_delay_alu instid0(SALU_CYCLE_1) | instskip(NEXT) | instid1(SALU_CYCLE_1)
	s_and_b32 s77, exec_lo, s79
	s_or_b32 s41, s77, s41
	s_and_not1_b32 s74, s74, exec_lo
	s_and_b32 s77, s75, exec_lo
	s_delay_alu instid0(SALU_CYCLE_1)
	s_or_b32 s74, s74, s77
	s_and_not1_b32 exec_lo, exec_lo, s41
	s_cbranch_execz .LBB12_3501
.LBB12_3497:                            ;   Parent Loop BB12_47 Depth=1
                                        ;     Parent Loop BB12_3444 Depth=2
                                        ; =>    This Inner Loop Header: Depth=3
	s_add_co_i32 s76, s76, 1
	s_delay_alu instid0(SALU_CYCLE_1) | instskip(SKIP_1) | instid1(SALU_CYCLE_1)
	s_cmp_lg_u32 s76, 0x2710
	s_cselect_b32 s77, -1, 0
	s_and_b32 vcc_lo, exec_lo, s77
	s_cbranch_vccz .LBB12_3499
; %bb.3498:                             ;   in Loop: Header=BB12_3497 Depth=3
	s_mov_b32 s79, -1
	s_or_b32 s75, s75, exec_lo
	s_and_saveexec_b32 s78, s77
	s_cbranch_execz .LBB12_3496
	s_branch .LBB12_3500
.LBB12_3499:                            ;   in Loop: Header=BB12_3497 Depth=3
	s_trap 2
	ds_load_b64 v[4:5], v0
	s_and_not1_b32 s77, s77, exec_lo
	s_mov_b32 s76, 0
	s_wait_storecnt 0x0
	s_wait_loadcnt_dscnt 0x0
	flat_load_b32 v1, v[4:5] scope:SCOPE_SYS
	s_wait_loadcnt_dscnt 0x0
	global_inv scope:SCOPE_SYS
	v_cmp_eq_u32_e32 vcc_lo, 0, v1
	s_and_b32 s78, vcc_lo, exec_lo
	s_delay_alu instid0(SALU_CYCLE_1)
	s_or_b32 s77, s77, s78
	s_mov_b32 s79, -1
	s_or_b32 s75, s75, exec_lo
	s_and_saveexec_b32 s78, s77
	s_cbranch_execz .LBB12_3496
.LBB12_3500:                            ;   in Loop: Header=BB12_3497 Depth=3
	s_sleep 1
	s_trap 2
	ds_load_b64 v[4:5], v0
	s_wait_dscnt 0x0
	s_and_not1_b32 s75, s75, exec_lo
	v_cmp_ge_u64_e32 vcc_lo, v[4:5], v[56:57]
	s_or_not1_b32 s79, vcc_lo, exec_lo
	s_branch .LBB12_3496
.LBB12_3501:                            ;   in Loop: Header=BB12_3444 Depth=2
	s_or_b32 exec_lo, exec_lo, s41
	s_and_saveexec_b32 s41, s74
	s_delay_alu instid0(SALU_CYCLE_1)
	s_xor_b32 s41, exec_lo, s41
	s_cbranch_execz .LBB12_3503
; %bb.3502:                             ;   in Loop: Header=BB12_3444 Depth=2
	v_mov_b32_e32 v1, 1
	ds_store_b32 v0, v1
	s_trap 2
.LBB12_3503:                            ;   in Loop: Header=BB12_3444 Depth=2
	s_or_b32 exec_lo, exec_lo, s40
	;;#ASMSTART
	s_wakeup
	;;#ASMEND
.LBB12_3504:                            ;   in Loop: Header=BB12_3444 Depth=2
	s_or_b32 exec_lo, exec_lo, s27
.LBB12_3505:                            ;   in Loop: Header=BB12_3444 Depth=2
	s_and_not1_saveexec_b32 s18, s18
	s_cbranch_execz .LBB12_3507
; %bb.3506:                             ;   in Loop: Header=BB12_3444 Depth=2
	;;#ASMSTART
	s_waitcnt lgkmcnt(0) vmcnt(0)
	;;#ASMEND
	s_barrier_signal -1
	s_barrier_wait -1
.LBB12_3507:                            ;   in Loop: Header=BB12_3444 Depth=2
	s_or_b32 exec_lo, exec_lo, s18
.LBB12_3508:                            ;   in Loop: Header=BB12_3444 Depth=2
	s_delay_alu instid0(SALU_CYCLE_1) | instskip(SKIP_2) | instid1(VALU_DEP_1)
	s_or_b32 exec_lo, exec_lo, s13
	v_and_b32_e32 v1, 32, v126
	s_mov_b32 s13, exec_lo
	v_cmpx_ne_u32_e32 0, v1
	s_cbranch_execz .LBB12_3443
; %bb.3509:                             ;   in Loop: Header=BB12_3444 Depth=2
	v_add_nc_u64_e32 v[116:117], 2, v[116:117]
	global_wb scope:SCOPE_SYS
	s_wait_storecnt 0x0
	s_wait_loadcnt_dscnt 0x0
	flat_store_b64 v[40:41], v[116:117] scope:SCOPE_SYS
	s_branch .LBB12_3443
.LBB12_3510:
	s_or_b32 exec_lo, exec_lo, s73
	s_clause 0x3
	scratch_load_b32 v31, off, s33 offset:428
	scratch_load_b64 v[18:19], off, s33 offset:432
	scratch_load_b32 v8, off, s33 offset:440
	scratch_load_b32 v17, off, s33 offset:444
.LBB12_3511:
	s_wait_xcnt 0x0
	s_or_b32 exec_lo, exec_lo, s43
	v_and_b32_e32 v0, 0x800, v126
	s_mov_b32 s1, exec_lo
	s_delay_alu instid0(VALU_DEP_1)
	v_cmpx_eq_u32_e32 0, v0
	s_cbranch_execz .LBB12_3544
; %bb.3512:
	v_and_b32_e32 v0, 48, v126
	s_mov_b32 s0, exec_lo
	s_delay_alu instid0(VALU_DEP_1)
	v_cmpx_ne_u32_e32 0, v0
	s_cbranch_execz .LBB12_3514
; %bb.3513:
	s_wait_loadcnt 0x2
	flat_store_b64 v[18:19], v[116:117] offset:104
.LBB12_3514:
	s_wait_xcnt 0x0
	s_or_b32 exec_lo, exec_lo, s0
	v_and_b32_e32 v0, 0x88, v126
	s_mov_b32 s2, exec_lo
	s_delay_alu instid0(VALU_DEP_1)
	v_cmpx_eq_u32_e32 0x88, v0
	s_cbranch_execz .LBB12_3524
; %bb.3515:
	scratch_load_b128 v[2:5], off, s33 offset:272 th:TH_LOAD_LU ; 16-byte Folded Reload
	s_wait_loadcnt 0x0
	v_dual_add_nc_u32 v0, 6, v116 :: v_dual_bitop2_b32 v4, 64, v126 bitop3:0x40
	s_mov_b32 s3, 0
	s_delay_alu instid0(VALU_DEP_1) | instskip(NEXT) | instid1(VALU_DEP_2)
	v_and_b32_e32 v0, 7, v0
	v_cmp_eq_u32_e64 s0, 0, v4
	s_delay_alu instid0(VALU_DEP_2)
	v_mad_nc_u64_u32 v[0:1], v0, 24, v[2:3]
	flat_load_b64 v[2:3], v[0:1] offset:8 scope:SCOPE_SYS
	s_wait_loadcnt_dscnt 0x0
	v_cmp_ne_u64_e32 vcc_lo, -1, v[2:3]
	s_and_b32 s0, vcc_lo, s0
	s_wait_xcnt 0x0
	s_and_b32 exec_lo, exec_lo, s0
	s_cbranch_execz .LBB12_3524
; %bb.3516:
	s_mov_b32 s5, 0
                                        ; implicit-def: $sgpr0
                                        ; implicit-def: $sgpr4
	s_branch .LBB12_3519
.LBB12_3517:                            ;   in Loop: Header=BB12_3519 Depth=1
	flat_load_b64 v[4:5], v[0:1] offset:8 scope:SCOPE_SYS
	s_wait_loadcnt 0x0
	s_and_not1_b32 s4, s4, exec_lo
	s_wait_dscnt 0x0
	v_cmp_eq_u64_e32 vcc_lo, -1, v[4:5]
	s_or_not1_b32 s7, vcc_lo, exec_lo
.LBB12_3518:                            ;   in Loop: Header=BB12_3519 Depth=1
	s_wait_xcnt 0x0
	s_or_b32 exec_lo, exec_lo, s10
	s_delay_alu instid0(SALU_CYCLE_1) | instskip(NEXT) | instid1(SALU_CYCLE_1)
	s_and_b32 s6, exec_lo, s7
	s_or_b32 s3, s6, s3
	s_and_not1_b32 s0, s0, exec_lo
	s_and_b32 s6, s4, exec_lo
	s_delay_alu instid0(SALU_CYCLE_1)
	s_or_b32 s0, s0, s6
	s_and_not1_b32 exec_lo, exec_lo, s3
	s_cbranch_execz .LBB12_3522
.LBB12_3519:                            ; =>This Inner Loop Header: Depth=1
	s_cmp_lt_i32 s5, 0x270f
	s_cselect_b32 s6, -1, 0
	s_delay_alu instid0(SALU_CYCLE_1)
	s_and_b32 vcc_lo, exec_lo, s6
	s_cbranch_vccnz .LBB12_3521
; %bb.3520:                             ;   in Loop: Header=BB12_3519 Depth=1
	s_trap 2
	ds_load_b64 v[2:3], v0
	s_and_not1_b32 s6, s6, exec_lo
	s_mov_b32 s5, 0
	s_wait_storecnt_dscnt 0x0
	flat_load_b32 v2, v[2:3] scope:SCOPE_SYS
	s_wait_loadcnt_dscnt 0x0
	global_inv scope:SCOPE_SYS
	v_cmp_eq_u32_e32 vcc_lo, 0, v2
	s_and_b32 s7, vcc_lo, exec_lo
	s_delay_alu instid0(SALU_CYCLE_1)
	s_or_b32 s6, s6, s7
	s_mov_b32 s7, -1
	s_or_b32 s4, s4, exec_lo
	s_wait_xcnt 0x0
	s_and_saveexec_b32 s10, s6
	s_cbranch_execz .LBB12_3518
	s_branch .LBB12_3517
.LBB12_3521:                            ;   in Loop: Header=BB12_3519 Depth=1
	s_add_co_i32 s5, s5, 1
                                        ; implicit-def: $vgpr2
	s_mov_b32 s7, -1
	s_or_b32 s4, s4, exec_lo
	s_and_saveexec_b32 s10, s6
	s_cbranch_execz .LBB12_3518
	s_branch .LBB12_3517
.LBB12_3522:
	s_or_b32 exec_lo, exec_lo, s3
	s_and_saveexec_b32 s3, s0
	s_delay_alu instid0(SALU_CYCLE_1)
	s_xor_b32 s3, exec_lo, s3
	s_cbranch_execz .LBB12_3524
; %bb.3523:
	s_wait_loadcnt 0x0
	s_wait_storecnt 0x0
	ds_store_b32 v0, v2
	s_trap 2
.LBB12_3524:
	s_or_b32 exec_lo, exec_lo, s2
	v_and_b32_e32 v0, 0x2000, v126
	s_mov_b32 s0, exec_lo
	s_delay_alu instid0(VALU_DEP_1)
	v_cmpx_ne_u32_e32 0, v0
	s_cbranch_execz .LBB12_3526
; %bb.3525:
	s_trap 2
	scratch_load_b64 v[2:3], off, s33 offset:448 th:TH_LOAD_LU ; 8-byte Folded Reload
	ds_load_b64 v[0:1], v0
	s_wait_loadcnt_dscnt 0x0
	flat_store_b64 v[2:3], v[0:1] offset:16
.LBB12_3526:
	s_wait_xcnt 0x0
	s_or_b32 exec_lo, exec_lo, s0
	s_wait_loadcnt 0x0
	v_cmp_ne_u32_e32 vcc_lo, 32, v17
	s_and_b32 exec_lo, exec_lo, vcc_lo
	s_cbranch_execz .LBB12_3544
; %bb.3527:
	s_mov_b32 s0, exec_lo
	v_cmpx_ne_u32_e64 v17, v8
	s_xor_b32 s0, exec_lo, s0
	s_cbranch_execz .LBB12_3542
; %bb.3528:
	v_and_b32_e32 v0, 31, v31
	s_mov_b32 s2, exec_lo
	s_delay_alu instid0(VALU_DEP_1)
	v_cmpx_eq_u32_e32 0, v0
	s_cbranch_execz .LBB12_3541
; %bb.3529:
	s_mov_b32 s4, exec_lo
	s_mov_b32 s3, exec_lo
	v_mbcnt_lo_u32_b32 v0, s4, 0
	global_wb scope:SCOPE_DEV
	s_wait_storecnt_dscnt 0x0
	global_inv scope:SCOPE_DEV
	v_cmpx_eq_u32_e32 0, v0
	s_cbranch_execz .LBB12_3531
; %bb.3530:
	s_bcnt1_i32_b32 s4, s4
	s_delay_alu instid0(SALU_CYCLE_1)
	v_dual_mov_b32 v1, 0 :: v_dual_mov_b32 v0, s4
	s_wait_loadcnt 0x0
	ds_add_u64 v0, v[0:1]
	s_trap 2
.LBB12_3531:
	s_or_b32 exec_lo, exec_lo, s3
	s_trap 2
	ds_load_b64 v[2:3], v0
	s_wait_dscnt 0x0
	v_dual_mov_b32 v1, 0 :: v_dual_lshrrev_b32 v0, 5, v17
	s_mov_b32 s3, exec_lo
	s_delay_alu instid0(VALU_DEP_1) | instskip(NEXT) | instid1(VALU_DEP_1)
	v_add_nc_u64_e32 v[0:1], v[56:57], v[0:1]
	v_cmpx_lt_u64_e64 v[2:3], v[0:1]
	s_cbranch_execz .LBB12_3540
; %bb.3532:
	s_mov_b32 s4, 0
	s_mov_b32 s7, 0
                                        ; implicit-def: $sgpr5
                                        ; implicit-def: $sgpr6
	s_branch .LBB12_3534
.LBB12_3533:                            ;   in Loop: Header=BB12_3534 Depth=1
	s_or_b32 exec_lo, exec_lo, s11
	s_delay_alu instid0(SALU_CYCLE_1) | instskip(NEXT) | instid1(SALU_CYCLE_1)
	s_and_b32 s10, exec_lo, s12
	s_or_b32 s4, s10, s4
	s_and_not1_b32 s5, s5, exec_lo
	s_and_b32 s10, s6, exec_lo
	s_delay_alu instid0(SALU_CYCLE_1)
	s_or_b32 s5, s5, s10
	s_and_not1_b32 exec_lo, exec_lo, s4
	s_cbranch_execz .LBB12_3538
.LBB12_3534:                            ; =>This Inner Loop Header: Depth=1
	s_add_co_i32 s7, s7, 1
	s_delay_alu instid0(SALU_CYCLE_1) | instskip(SKIP_1) | instid1(SALU_CYCLE_1)
	s_cmp_lg_u32 s7, 0x2710
	s_cselect_b32 s10, -1, 0
	s_and_b32 vcc_lo, exec_lo, s10
	s_cbranch_vccz .LBB12_3536
; %bb.3535:                             ;   in Loop: Header=BB12_3534 Depth=1
	s_mov_b32 s12, -1
	s_or_b32 s6, s6, exec_lo
	s_and_saveexec_b32 s11, s10
	s_cbranch_execz .LBB12_3533
	s_branch .LBB12_3537
.LBB12_3536:                            ;   in Loop: Header=BB12_3534 Depth=1
	s_trap 2
	ds_load_b64 v[2:3], v0
	s_and_not1_b32 s10, s10, exec_lo
	s_mov_b32 s7, 0
	s_wait_loadcnt_dscnt 0x0
	flat_load_b32 v2, v[2:3] scope:SCOPE_SYS
	s_wait_loadcnt_dscnt 0x0
	global_inv scope:SCOPE_SYS
	v_cmp_eq_u32_e32 vcc_lo, 0, v2
	s_and_b32 s11, vcc_lo, exec_lo
	s_delay_alu instid0(SALU_CYCLE_1)
	s_or_b32 s10, s10, s11
	s_mov_b32 s12, -1
	s_or_b32 s6, s6, exec_lo
	s_and_saveexec_b32 s11, s10
	s_cbranch_execz .LBB12_3533
.LBB12_3537:                            ;   in Loop: Header=BB12_3534 Depth=1
	s_sleep 1
	s_trap 2
	ds_load_b64 v[2:3], v0
	s_wait_dscnt 0x0
	s_and_not1_b32 s6, s6, exec_lo
	v_cmp_ge_u64_e32 vcc_lo, v[2:3], v[0:1]
	s_or_not1_b32 s12, vcc_lo, exec_lo
	s_branch .LBB12_3533
.LBB12_3538:
	s_or_b32 exec_lo, exec_lo, s4
	s_and_saveexec_b32 s4, s5
	s_delay_alu instid0(SALU_CYCLE_1)
	s_xor_b32 s4, exec_lo, s4
	s_cbranch_execz .LBB12_3540
; %bb.3539:
	v_mov_b32_e32 v0, 1
	ds_store_b32 v0, v0
	s_trap 2
.LBB12_3540:
	s_or_b32 exec_lo, exec_lo, s3
	;;#ASMSTART
	s_wakeup
	;;#ASMEND
.LBB12_3541:
	s_or_b32 exec_lo, exec_lo, s2
.LBB12_3542:
	s_and_not1_saveexec_b32 s0, s0
	s_cbranch_execz .LBB12_3544
; %bb.3543:
	global_wb scope:SCOPE_DEV
	s_wait_storecnt 0x0
	s_wait_loadcnt_dscnt 0x0
	global_inv scope:SCOPE_DEV
	s_barrier_signal -1
	s_barrier_wait -1
.LBB12_3544:
	s_or_b32 exec_lo, exec_lo, s1
.LBB12_3545:
	s_and_not1_saveexec_b32 s21, s42
	s_cbranch_execz .LBB12_3547
; %bb.3546:
	s_get_pc_i64 s[0:1]
	s_add_nc_u64 s[0:1], s[0:1], __PRETTY_FUNCTION__._ZN10PrimitivesI12hip_bfloat168FuncProdIS0_E12FanSymmetricILi1EELi0E11ProtoSimpleILi2ELi2ELi0ELi4ELi0ELi0EELi0ELb0ELi0ELi1ELi0EEC2EiiPKiS9_PKvPvmhhhP15ncclDevWorkCollP14ncclDevWorkP2pii@rel64+4
	s_get_pc_i64 s[2:3]
	s_add_nc_u64 s[2:3], s[2:3], __assert_fail@rel64+4
	v_dual_mov_b32 v0, s0 :: v_dual_mov_b32 v1, s1
	s_swap_pc_i64 s[30:31], s[2:3]
	; divergent unreachable
.LBB12_3547:
	s_or_b32 exec_lo, exec_lo, s21
	s_clause 0x22
	scratch_load_b32 v126, off, s33
	scratch_load_b32 v125, off, s33 offset:4
	scratch_load_b32 v124, off, s33 offset:8
	;; [unrolled: 1-line block ×34, first 2 shown]
	s_wait_dscnt 0x1
	s_clause 0xb
	scratch_load_b32 v59, off, s33 offset:140
	scratch_load_b32 v58, off, s33 offset:144
	;; [unrolled: 1-line block ×12, first 2 shown]
	v_readlane_b32 s30, v127, 0
	v_readlane_b32 s31, v127, 1
	s_mov_b32 s32, s33
	s_wait_xcnt 0x0
	s_or_saveexec_b32 s0, -1
	scratch_load_b32 v127, off, s33 offset:456 ; 4-byte Folded Reload
	s_wait_xcnt 0x0
	s_mov_b32 exec_lo, s0
	s_mov_b32 s33, s94
	s_wait_loadcnt_dscnt 0x0
	s_set_pc_i64 s[30:31]
.Lfunc_end12:
	.size	_ZN12_GLOBAL__N_17runRingI12hip_bfloat168FuncProdIS1_E11ProtoSimpleILi2ELi2ELi0ELi4ELi0ELi0EELi0ELi0ELi4ELi1EEEviiP15ncclDevWorkColl, .Lfunc_end12-_ZN12_GLOBAL__N_17runRingI12hip_bfloat168FuncProdIS1_E11ProtoSimpleILi2ELi2ELi0ELi4ELi0ELi0EELi0ELi0ELi4ELi1EEEviiP15ncclDevWorkColl
                                        ; -- End function
	.set .L_ZN12_GLOBAL__N_17runRingI12hip_bfloat168FuncProdIS1_E11ProtoSimpleILi2ELi2ELi0ELi4ELi0ELi0EELi0ELi0ELi4ELi1EEEviiP15ncclDevWorkColl.num_vgpr, max(128, .L__assert_fail.num_vgpr)
	.set .L_ZN12_GLOBAL__N_17runRingI12hip_bfloat168FuncProdIS1_E11ProtoSimpleILi2ELi2ELi0ELi4ELi0ELi0EELi0ELi0ELi4ELi1EEEviiP15ncclDevWorkColl.num_agpr, max(0, .L__assert_fail.num_agpr)
	.set .L_ZN12_GLOBAL__N_17runRingI12hip_bfloat168FuncProdIS1_E11ProtoSimpleILi2ELi2ELi0ELi4ELi0ELi0EELi0ELi0ELi4ELi1EEEviiP15ncclDevWorkColl.numbered_sgpr, max(95, .L__assert_fail.numbered_sgpr)
	.set .L_ZN12_GLOBAL__N_17runRingI12hip_bfloat168FuncProdIS1_E11ProtoSimpleILi2ELi2ELi0ELi4ELi0ELi0EELi0ELi0ELi4ELi1EEEviiP15ncclDevWorkColl.num_named_barrier, max(0, .L__assert_fail.num_named_barrier)
	.set .L_ZN12_GLOBAL__N_17runRingI12hip_bfloat168FuncProdIS1_E11ProtoSimpleILi2ELi2ELi0ELi4ELi0ELi0EELi0ELi0ELi4ELi1EEEviiP15ncclDevWorkColl.private_seg_size, 464+max(.L__assert_fail.private_seg_size)
	.set .L_ZN12_GLOBAL__N_17runRingI12hip_bfloat168FuncProdIS1_E11ProtoSimpleILi2ELi2ELi0ELi4ELi0ELi0EELi0ELi0ELi4ELi1EEEviiP15ncclDevWorkColl.uses_vcc, or(1, .L__assert_fail.uses_vcc)
	.set .L_ZN12_GLOBAL__N_17runRingI12hip_bfloat168FuncProdIS1_E11ProtoSimpleILi2ELi2ELi0ELi4ELi0ELi0EELi0ELi0ELi4ELi1EEEviiP15ncclDevWorkColl.uses_flat_scratch, or(1, .L__assert_fail.uses_flat_scratch)
	.set .L_ZN12_GLOBAL__N_17runRingI12hip_bfloat168FuncProdIS1_E11ProtoSimpleILi2ELi2ELi0ELi4ELi0ELi0EELi0ELi0ELi4ELi1EEEviiP15ncclDevWorkColl.has_dyn_sized_stack, or(0, .L__assert_fail.has_dyn_sized_stack)
	.set .L_ZN12_GLOBAL__N_17runRingI12hip_bfloat168FuncProdIS1_E11ProtoSimpleILi2ELi2ELi0ELi4ELi0ELi0EELi0ELi0ELi4ELi1EEEviiP15ncclDevWorkColl.has_recursion, or(1, .L__assert_fail.has_recursion)
	.set .L_ZN12_GLOBAL__N_17runRingI12hip_bfloat168FuncProdIS1_E11ProtoSimpleILi2ELi2ELi0ELi4ELi0ELi0EELi0ELi0ELi4ELi1EEEviiP15ncclDevWorkColl.has_indirect_call, or(0, .L__assert_fail.has_indirect_call)
	.section	.AMDGPU.csdata,"",@progbits
; Function info:
; codeLenInByte = 125832
; TotalNumSgprs: 97
; NumVgprs: 128
; ScratchSize: 528
; MemoryBound: 1
	.text
	.p2align	2                               ; -- Begin function _Z49ncclDevFunc_AllReduce_RING_SIMPLE_Prod_bf16_0_1_4v
	.type	_Z49ncclDevFunc_AllReduce_RING_SIMPLE_Prod_bf16_0_1_4v,@function
_Z49ncclDevFunc_AllReduce_RING_SIMPLE_Prod_bf16_0_1_4v: ; @_Z49ncclDevFunc_AllReduce_RING_SIMPLE_Prod_bf16_0_1_4v
; %bb.0:
	s_wait_loadcnt_dscnt 0x0
	s_wait_kmcnt 0x0
	s_mov_b32 s0, s33
	s_mov_b32 s33, s32
	s_or_saveexec_b32 s1, -1
	scratch_store_b32 off, v42, s33 offset:12 ; 4-byte Folded Spill
	s_wait_xcnt 0x0
	s_mov_b32 exec_lo, s1
	v_writelane_b32 v42, s0, 7
	s_add_co_i32 s32, s32, 32
	s_clause 0x2
	scratch_store_b32 off, v40, s33 offset:8
	; meta instruction
	scratch_store_b32 off, v41, s33 offset:4
	; meta instruction
	scratch_store_b32 off, v127, s33
	v_writelane_b32 v42, s34, 0
	v_writelane_b32 v42, s35, 1
	;; [unrolled: 1-line block ×7, first 2 shown]
	s_trap 2
	ds_load_b32 v0, v0
	s_wait_xcnt 0x2
	v_mov_b32_e32 v40, v31
	s_mov_b64 s[34:35], s[8:9]
	s_wait_dscnt 0x0
	v_cmp_gt_i32_e32 vcc_lo, 1, v0
	s_cbranch_vccnz .LBB13_8
; %bb.1:
	s_wait_xcnt 0x1
	v_and_b32_e32 v41, 0x3ff, v40
	s_mov_b32 s95, s12
	s_mov_b32 vcc_hi, 0
	s_get_pc_i64 s[36:37]
	s_add_nc_u64 s[36:37], s[36:37], _ZN12_GLOBAL__N_17runRingI12hip_bfloat168FuncProdIS1_E11ProtoSimpleILi2ELi2ELi0ELi4ELi0ELi0EELi0ELi0ELi4ELi1EEEviiP15ncclDevWorkColl@rel64+4
	s_branch .LBB13_3
.LBB13_2:                               ;   in Loop: Header=BB13_3 Depth=1
	s_or_b32 exec_lo, exec_lo, s38
	s_trap 2
	ds_load_b32 v0, v0
	s_add_co_i32 vcc_hi, vcc_hi, 1
	s_wait_dscnt 0x0
	v_cmp_lt_i32_e32 vcc_lo, vcc_hi, v0
	s_cbranch_vccz .LBB13_8
.LBB13_3:                               ; =>This Inner Loop Header: Depth=1
	s_trap 2
	ds_load_b32 v0, v0
	s_cmp_eq_u32 vcc_hi, 0
	s_cbranch_scc1 .LBB13_6
; %bb.4:                                ;   in Loop: Header=BB13_3 Depth=1
	s_trap 2
	s_wait_dscnt 0x0
	ds_load_b32 v1, v0
	s_wait_dscnt 0x0
	v_xor_b32_e32 v1, v1, v0
	s_delay_alu instid0(VALU_DEP_1) | instskip(NEXT) | instid1(VALU_DEP_1)
	v_and_b32_e32 v1, 0xff0000, v1
	v_cmp_eq_u32_e32 vcc_lo, 0, v1
	s_cbranch_vccnz .LBB13_6
; %bb.5:                                ;   in Loop: Header=BB13_3 Depth=1
	s_wait_storecnt 0x0
	s_barrier_signal -1
	s_barrier_wait -1
	ds_load_b32 v0, v0
.LBB13_6:                               ;   in Loop: Header=BB13_3 Depth=1
	s_wait_dscnt 0x0
	v_lshrrev_b32_e32 v0, 11, v0
	s_mov_b32 s38, exec_lo
	s_delay_alu instid0(VALU_DEP_1) | instskip(SKIP_1) | instid1(VALU_DEP_1)
	v_and_b32_e32 v1, 0x1fe0, v0
	s_wait_xcnt 0x0
	v_cmpx_lt_u32_e64 v41, v1
	s_cbranch_execz .LBB13_2
; %bb.7:                                ;   in Loop: Header=BB13_3 Depth=1
	s_mov_b64 s[0:1], src_shared_base
	v_dual_mov_b32 v31, v40 :: v_dual_mov_b32 v0, v41
	v_mov_b32_e32 v3, s1
	s_mov_b64 s[8:9], s[34:35]
	s_mov_b32 s12, s95
	s_swap_pc_i64 s[30:31], s[36:37]
	s_branch .LBB13_2
.LBB13_8:
	s_clause 0x2
	scratch_load_b32 v127, off, s33
	scratch_load_b32 v41, off, s33 offset:4
	scratch_load_b32 v40, off, s33 offset:8
	v_readlane_b32 s30, v42, 5
	v_readlane_b32 s31, v42, 6
	v_readlane_b32 s38, v42, 4
	v_readlane_b32 s37, v42, 3
	v_readlane_b32 s36, v42, 2
	v_readlane_b32 s35, v42, 1
	v_readlane_b32 s34, v42, 0
	s_mov_b32 s32, s33
	v_readlane_b32 s0, v42, 7
	s_wait_xcnt 0x0
	s_or_saveexec_b32 s1, -1
	scratch_load_b32 v42, off, s33 offset:12 ; 4-byte Folded Reload
	s_wait_xcnt 0x0
	s_mov_b32 exec_lo, s1
	s_mov_b32 s33, s0
	s_wait_loadcnt 0x0
	s_set_pc_i64 s[30:31]
.Lfunc_end13:
	.size	_Z49ncclDevFunc_AllReduce_RING_SIMPLE_Prod_bf16_0_1_4v, .Lfunc_end13-_Z49ncclDevFunc_AllReduce_RING_SIMPLE_Prod_bf16_0_1_4v
                                        ; -- End function
	.set .L_Z49ncclDevFunc_AllReduce_RING_SIMPLE_Prod_bf16_0_1_4v.num_vgpr, max(128, .L_ZN12_GLOBAL__N_17runRingI12hip_bfloat168FuncProdIS1_E11ProtoSimpleILi2ELi2ELi0ELi4ELi0ELi0EELi0ELi0ELi4ELi1EEEviiP15ncclDevWorkColl.num_vgpr)
	.set .L_Z49ncclDevFunc_AllReduce_RING_SIMPLE_Prod_bf16_0_1_4v.num_agpr, max(0, .L_ZN12_GLOBAL__N_17runRingI12hip_bfloat168FuncProdIS1_E11ProtoSimpleILi2ELi2ELi0ELi4ELi0ELi0EELi0ELi0ELi4ELi1EEEviiP15ncclDevWorkColl.num_agpr)
	.set .L_Z49ncclDevFunc_AllReduce_RING_SIMPLE_Prod_bf16_0_1_4v.numbered_sgpr, max(96, .L_ZN12_GLOBAL__N_17runRingI12hip_bfloat168FuncProdIS1_E11ProtoSimpleILi2ELi2ELi0ELi4ELi0ELi0EELi0ELi0ELi4ELi1EEEviiP15ncclDevWorkColl.numbered_sgpr)
	.set .L_Z49ncclDevFunc_AllReduce_RING_SIMPLE_Prod_bf16_0_1_4v.num_named_barrier, max(0, .L_ZN12_GLOBAL__N_17runRingI12hip_bfloat168FuncProdIS1_E11ProtoSimpleILi2ELi2ELi0ELi4ELi0ELi0EELi0ELi0ELi4ELi1EEEviiP15ncclDevWorkColl.num_named_barrier)
	.set .L_Z49ncclDevFunc_AllReduce_RING_SIMPLE_Prod_bf16_0_1_4v.private_seg_size, 32+max(.L_ZN12_GLOBAL__N_17runRingI12hip_bfloat168FuncProdIS1_E11ProtoSimpleILi2ELi2ELi0ELi4ELi0ELi0EELi0ELi0ELi4ELi1EEEviiP15ncclDevWorkColl.private_seg_size)
	.set .L_Z49ncclDevFunc_AllReduce_RING_SIMPLE_Prod_bf16_0_1_4v.uses_vcc, or(1, .L_ZN12_GLOBAL__N_17runRingI12hip_bfloat168FuncProdIS1_E11ProtoSimpleILi2ELi2ELi0ELi4ELi0ELi0EELi0ELi0ELi4ELi1EEEviiP15ncclDevWorkColl.uses_vcc)
	.set .L_Z49ncclDevFunc_AllReduce_RING_SIMPLE_Prod_bf16_0_1_4v.uses_flat_scratch, or(1, .L_ZN12_GLOBAL__N_17runRingI12hip_bfloat168FuncProdIS1_E11ProtoSimpleILi2ELi2ELi0ELi4ELi0ELi0EELi0ELi0ELi4ELi1EEEviiP15ncclDevWorkColl.uses_flat_scratch)
	.set .L_Z49ncclDevFunc_AllReduce_RING_SIMPLE_Prod_bf16_0_1_4v.has_dyn_sized_stack, or(0, .L_ZN12_GLOBAL__N_17runRingI12hip_bfloat168FuncProdIS1_E11ProtoSimpleILi2ELi2ELi0ELi4ELi0ELi0EELi0ELi0ELi4ELi1EEEviiP15ncclDevWorkColl.has_dyn_sized_stack)
	.set .L_Z49ncclDevFunc_AllReduce_RING_SIMPLE_Prod_bf16_0_1_4v.has_recursion, or(1, .L_ZN12_GLOBAL__N_17runRingI12hip_bfloat168FuncProdIS1_E11ProtoSimpleILi2ELi2ELi0ELi4ELi0ELi0EELi0ELi0ELi4ELi1EEEviiP15ncclDevWorkColl.has_recursion)
	.set .L_Z49ncclDevFunc_AllReduce_RING_SIMPLE_Prod_bf16_0_1_4v.has_indirect_call, or(0, .L_ZN12_GLOBAL__N_17runRingI12hip_bfloat168FuncProdIS1_E11ProtoSimpleILi2ELi2ELi0ELi4ELi0ELi0EELi0ELi0ELi4ELi1EEEviiP15ncclDevWorkColl.has_indirect_call)
	.section	.AMDGPU.csdata,"",@progbits
; Function info:
; codeLenInByte = 560
; TotalNumSgprs: 98
; NumVgprs: 128
; ScratchSize: 560
; MemoryBound: 0
	.text
	.p2alignl 7, 3214868480
	.fill 96, 4, 3214868480
	.section	.AMDGPU.gpr_maximums,"",@progbits
	.set amdgpu.max_num_vgpr, 128
	.set amdgpu.max_num_agpr, 0
	.set amdgpu.max_num_sgpr, 96
	.text
	.type	__const.__assert_fail.fmt,@object ; @__const.__assert_fail.fmt
	.section	.rodata.str1.16,"aMS",@progbits,1
	.p2align	4, 0x0
__const.__assert_fail.fmt:
	.asciz	"%s:%u: %s: Device-side assertion `%s' failed.\n"
	.size	__const.__assert_fail.fmt, 47

	.type	.str.3,@object                  ; @.str.3
	.section	.rodata.str1.1,"aMS",@progbits,1
.str.3:
	.asciz	"2*(nrecv+nsend) <= nthreads"
	.size	.str.3, 28

	.type	.str.4,@object                  ; @.str.4
.str.4:
	.asciz	"/root/src/amdgpu-assembly/repos/ROCm__rccl/hipify/src/device/prims_simple.h"
	.size	.str.4, 76

	.type	__PRETTY_FUNCTION__._ZN10PrimitivesI12hip_bfloat168FuncProdIS0_E12FanSymmetricILi1EELi0E11ProtoSimpleILi2ELi2ELi0ELi1ELi0ELi0EELi0ELb0ELi0ELi0ELi0EEC2EiiPKiS9_PKvPvmhhhP15ncclDevWorkCollP14ncclDevWorkP2pii,@object ; @__PRETTY_FUNCTION__._ZN10PrimitivesI12hip_bfloat168FuncProdIS0_E12FanSymmetricILi1EELi0E11ProtoSimpleILi2ELi2ELi0ELi1ELi0ELi0EELi0ELb0ELi0ELi0ELi0EEC2EiiPKiS9_PKvPvmhhhP15ncclDevWorkCollP14ncclDevWorkP2pii
__PRETTY_FUNCTION__._ZN10PrimitivesI12hip_bfloat168FuncProdIS0_E12FanSymmetricILi1EELi0E11ProtoSimpleILi2ELi2ELi0ELi1ELi0ELi0EELi0ELb0ELi0ELi0ELi0EEC2EiiPKiS9_PKvPvmhhhP15ncclDevWorkCollP14ncclDevWorkP2pii:
	.asciz	"Primitives<hip_bfloat16, FuncProd<hip_bfloat16>, FanSymmetric<1>, 0, ProtoSimple<2, 2, 0, 1>, 0>::Primitives(int, int, const int *, const int *, const void *, void *, uint64_t, uint8_t, uint8_t, uint8_t, struct ncclDevWorkColl *, struct ncclDevWorkP2p *, int, int) [T = hip_bfloat16, RedOp = FuncProd<hip_bfloat16>, Fan = FanSymmetric<1>, Direct = 0, Proto = ProtoSimple<2, 2, 0, 1>, P2p = 0, isNetOffload = false, Metadata = 0, Pipeline = 0, useAcc = 0]"
	.size	__PRETTY_FUNCTION__._ZN10PrimitivesI12hip_bfloat168FuncProdIS0_E12FanSymmetricILi1EELi0E11ProtoSimpleILi2ELi2ELi0ELi1ELi0ELi0EELi0ELb0ELi0ELi0ELi0EEC2EiiPKiS9_PKvPvmhhhP15ncclDevWorkCollP14ncclDevWorkP2pii, 455

	.type	__PRETTY_FUNCTION__._ZN10PrimitivesI12hip_bfloat168FuncProdIS0_E12FanSymmetricILi1EELi0E11ProtoSimpleILi2ELi2ELi0ELi1ELi0ELi0EELi0ELb0ELi0ELi1ELi0EEC2EiiPKiS9_PKvPvmhhhP15ncclDevWorkCollP14ncclDevWorkP2pii,@object ; @__PRETTY_FUNCTION__._ZN10PrimitivesI12hip_bfloat168FuncProdIS0_E12FanSymmetricILi1EELi0E11ProtoSimpleILi2ELi2ELi0ELi1ELi0ELi0EELi0ELb0ELi0ELi1ELi0EEC2EiiPKiS9_PKvPvmhhhP15ncclDevWorkCollP14ncclDevWorkP2pii
__PRETTY_FUNCTION__._ZN10PrimitivesI12hip_bfloat168FuncProdIS0_E12FanSymmetricILi1EELi0E11ProtoSimpleILi2ELi2ELi0ELi1ELi0ELi0EELi0ELb0ELi0ELi1ELi0EEC2EiiPKiS9_PKvPvmhhhP15ncclDevWorkCollP14ncclDevWorkP2pii:
	.asciz	"Primitives<hip_bfloat16, FuncProd<hip_bfloat16>, FanSymmetric<1>, 0, ProtoSimple<2, 2, 0, 1>, 0, false, 0, 1>::Primitives(int, int, const int *, const int *, const void *, void *, uint64_t, uint8_t, uint8_t, uint8_t, struct ncclDevWorkColl *, struct ncclDevWorkP2p *, int, int) [T = hip_bfloat16, RedOp = FuncProd<hip_bfloat16>, Fan = FanSymmetric<1>, Direct = 0, Proto = ProtoSimple<2, 2, 0, 1>, P2p = 0, isNetOffload = false, Metadata = 0, Pipeline = 1, useAcc = 0]"
	.size	__PRETTY_FUNCTION__._ZN10PrimitivesI12hip_bfloat168FuncProdIS0_E12FanSymmetricILi1EELi0E11ProtoSimpleILi2ELi2ELi0ELi1ELi0ELi0EELi0ELb0ELi0ELi1ELi0EEC2EiiPKiS9_PKvPvmhhhP15ncclDevWorkCollP14ncclDevWorkP2pii, 468

	.type	__PRETTY_FUNCTION__._ZN10PrimitivesI12hip_bfloat168FuncProdIS0_E12FanSymmetricILi1EELi0E11ProtoSimpleILi2ELi2ELi0ELi2ELi0ELi0EELi0ELb0ELi0ELi0ELi0EEC2EiiPKiS9_PKvPvmhhhP15ncclDevWorkCollP14ncclDevWorkP2pii,@object ; @__PRETTY_FUNCTION__._ZN10PrimitivesI12hip_bfloat168FuncProdIS0_E12FanSymmetricILi1EELi0E11ProtoSimpleILi2ELi2ELi0ELi2ELi0ELi0EELi0ELb0ELi0ELi0ELi0EEC2EiiPKiS9_PKvPvmhhhP15ncclDevWorkCollP14ncclDevWorkP2pii
__PRETTY_FUNCTION__._ZN10PrimitivesI12hip_bfloat168FuncProdIS0_E12FanSymmetricILi1EELi0E11ProtoSimpleILi2ELi2ELi0ELi2ELi0ELi0EELi0ELb0ELi0ELi0ELi0EEC2EiiPKiS9_PKvPvmhhhP15ncclDevWorkCollP14ncclDevWorkP2pii:
	.asciz	"Primitives<hip_bfloat16, FuncProd<hip_bfloat16>, FanSymmetric<1>, 0, ProtoSimple<2, 2, 0, 2>, 0>::Primitives(int, int, const int *, const int *, const void *, void *, uint64_t, uint8_t, uint8_t, uint8_t, struct ncclDevWorkColl *, struct ncclDevWorkP2p *, int, int) [T = hip_bfloat16, RedOp = FuncProd<hip_bfloat16>, Fan = FanSymmetric<1>, Direct = 0, Proto = ProtoSimple<2, 2, 0, 2>, P2p = 0, isNetOffload = false, Metadata = 0, Pipeline = 0, useAcc = 0]"
	.size	__PRETTY_FUNCTION__._ZN10PrimitivesI12hip_bfloat168FuncProdIS0_E12FanSymmetricILi1EELi0E11ProtoSimpleILi2ELi2ELi0ELi2ELi0ELi0EELi0ELb0ELi0ELi0ELi0EEC2EiiPKiS9_PKvPvmhhhP15ncclDevWorkCollP14ncclDevWorkP2pii, 455

	.type	__PRETTY_FUNCTION__._ZN10PrimitivesI12hip_bfloat168FuncProdIS0_E12FanSymmetricILi1EELi0E11ProtoSimpleILi2ELi2ELi0ELi2ELi0ELi0EELi0ELb0ELi0ELi1ELi0EEC2EiiPKiS9_PKvPvmhhhP15ncclDevWorkCollP14ncclDevWorkP2pii,@object ; @__PRETTY_FUNCTION__._ZN10PrimitivesI12hip_bfloat168FuncProdIS0_E12FanSymmetricILi1EELi0E11ProtoSimpleILi2ELi2ELi0ELi2ELi0ELi0EELi0ELb0ELi0ELi1ELi0EEC2EiiPKiS9_PKvPvmhhhP15ncclDevWorkCollP14ncclDevWorkP2pii
__PRETTY_FUNCTION__._ZN10PrimitivesI12hip_bfloat168FuncProdIS0_E12FanSymmetricILi1EELi0E11ProtoSimpleILi2ELi2ELi0ELi2ELi0ELi0EELi0ELb0ELi0ELi1ELi0EEC2EiiPKiS9_PKvPvmhhhP15ncclDevWorkCollP14ncclDevWorkP2pii:
	.asciz	"Primitives<hip_bfloat16, FuncProd<hip_bfloat16>, FanSymmetric<1>, 0, ProtoSimple<2, 2, 0, 2>, 0, false, 0, 1>::Primitives(int, int, const int *, const int *, const void *, void *, uint64_t, uint8_t, uint8_t, uint8_t, struct ncclDevWorkColl *, struct ncclDevWorkP2p *, int, int) [T = hip_bfloat16, RedOp = FuncProd<hip_bfloat16>, Fan = FanSymmetric<1>, Direct = 0, Proto = ProtoSimple<2, 2, 0, 2>, P2p = 0, isNetOffload = false, Metadata = 0, Pipeline = 1, useAcc = 0]"
	.size	__PRETTY_FUNCTION__._ZN10PrimitivesI12hip_bfloat168FuncProdIS0_E12FanSymmetricILi1EELi0E11ProtoSimpleILi2ELi2ELi0ELi2ELi0ELi0EELi0ELb0ELi0ELi1ELi0EEC2EiiPKiS9_PKvPvmhhhP15ncclDevWorkCollP14ncclDevWorkP2pii, 468

	.type	__PRETTY_FUNCTION__._ZN10PrimitivesI12hip_bfloat168FuncProdIS0_E12FanSymmetricILi1EELi0E11ProtoSimpleILi2ELi2ELi0ELi4ELi0ELi0EELi0ELb0ELi0ELi0ELi0EEC2EiiPKiS9_PKvPvmhhhP15ncclDevWorkCollP14ncclDevWorkP2pii,@object ; @__PRETTY_FUNCTION__._ZN10PrimitivesI12hip_bfloat168FuncProdIS0_E12FanSymmetricILi1EELi0E11ProtoSimpleILi2ELi2ELi0ELi4ELi0ELi0EELi0ELb0ELi0ELi0ELi0EEC2EiiPKiS9_PKvPvmhhhP15ncclDevWorkCollP14ncclDevWorkP2pii
__PRETTY_FUNCTION__._ZN10PrimitivesI12hip_bfloat168FuncProdIS0_E12FanSymmetricILi1EELi0E11ProtoSimpleILi2ELi2ELi0ELi4ELi0ELi0EELi0ELb0ELi0ELi0ELi0EEC2EiiPKiS9_PKvPvmhhhP15ncclDevWorkCollP14ncclDevWorkP2pii:
	.asciz	"Primitives<hip_bfloat16, FuncProd<hip_bfloat16>, FanSymmetric<1>, 0, ProtoSimple<2, 2, 0, 4>, 0>::Primitives(int, int, const int *, const int *, const void *, void *, uint64_t, uint8_t, uint8_t, uint8_t, struct ncclDevWorkColl *, struct ncclDevWorkP2p *, int, int) [T = hip_bfloat16, RedOp = FuncProd<hip_bfloat16>, Fan = FanSymmetric<1>, Direct = 0, Proto = ProtoSimple<2, 2, 0, 4>, P2p = 0, isNetOffload = false, Metadata = 0, Pipeline = 0, useAcc = 0]"
	.size	__PRETTY_FUNCTION__._ZN10PrimitivesI12hip_bfloat168FuncProdIS0_E12FanSymmetricILi1EELi0E11ProtoSimpleILi2ELi2ELi0ELi4ELi0ELi0EELi0ELb0ELi0ELi0ELi0EEC2EiiPKiS9_PKvPvmhhhP15ncclDevWorkCollP14ncclDevWorkP2pii, 455

	.type	__PRETTY_FUNCTION__._ZN10PrimitivesI12hip_bfloat168FuncProdIS0_E12FanSymmetricILi1EELi0E11ProtoSimpleILi2ELi2ELi0ELi4ELi0ELi0EELi0ELb0ELi0ELi1ELi0EEC2EiiPKiS9_PKvPvmhhhP15ncclDevWorkCollP14ncclDevWorkP2pii,@object ; @__PRETTY_FUNCTION__._ZN10PrimitivesI12hip_bfloat168FuncProdIS0_E12FanSymmetricILi1EELi0E11ProtoSimpleILi2ELi2ELi0ELi4ELi0ELi0EELi0ELb0ELi0ELi1ELi0EEC2EiiPKiS9_PKvPvmhhhP15ncclDevWorkCollP14ncclDevWorkP2pii
__PRETTY_FUNCTION__._ZN10PrimitivesI12hip_bfloat168FuncProdIS0_E12FanSymmetricILi1EELi0E11ProtoSimpleILi2ELi2ELi0ELi4ELi0ELi0EELi0ELb0ELi0ELi1ELi0EEC2EiiPKiS9_PKvPvmhhhP15ncclDevWorkCollP14ncclDevWorkP2pii:
	.asciz	"Primitives<hip_bfloat16, FuncProd<hip_bfloat16>, FanSymmetric<1>, 0, ProtoSimple<2, 2, 0, 4>, 0, false, 0, 1>::Primitives(int, int, const int *, const int *, const void *, void *, uint64_t, uint8_t, uint8_t, uint8_t, struct ncclDevWorkColl *, struct ncclDevWorkP2p *, int, int) [T = hip_bfloat16, RedOp = FuncProd<hip_bfloat16>, Fan = FanSymmetric<1>, Direct = 0, Proto = ProtoSimple<2, 2, 0, 4>, P2p = 0, isNetOffload = false, Metadata = 0, Pipeline = 1, useAcc = 0]"
	.size	__PRETTY_FUNCTION__._ZN10PrimitivesI12hip_bfloat168FuncProdIS0_E12FanSymmetricILi1EELi0E11ProtoSimpleILi2ELi2ELi0ELi4ELi0ELi0EELi0ELb0ELi0ELi1ELi0EEC2EiiPKiS9_PKvPvmhhhP15ncclDevWorkCollP14ncclDevWorkP2pii, 468

	.type	__hip_cuid_b515b1c441999a7a,@object ; @__hip_cuid_b515b1c441999a7a
	.section	.bss,"aw",@nobits
	.globl	__hip_cuid_b515b1c441999a7a
__hip_cuid_b515b1c441999a7a:
	.byte	0                               ; 0x0
	.size	__hip_cuid_b515b1c441999a7a, 1

	.ident	"AMD clang version 22.0.0git (https://github.com/RadeonOpenCompute/llvm-project roc-7.2.4 26084 f58b06dce1f9c15707c5f808fd002e18c2accf7e)"
	.section	".note.GNU-stack","",@progbits
	.addrsig
	.addrsig_sym _Z49ncclDevFunc_AllReduce_RING_SIMPLE_Prod_bf16_0_0_1v
	.addrsig_sym _Z49ncclDevFunc_AllReduce_RING_SIMPLE_Prod_bf16_0_1_1v
	.addrsig_sym _Z49ncclDevFunc_AllReduce_RING_SIMPLE_Prod_bf16_0_0_2v
	.addrsig_sym _Z49ncclDevFunc_AllReduce_RING_SIMPLE_Prod_bf16_0_1_2v
	.addrsig_sym _Z49ncclDevFunc_AllReduce_RING_SIMPLE_Prod_bf16_0_0_4v
	.addrsig_sym _Z49ncclDevFunc_AllReduce_RING_SIMPLE_Prod_bf16_0_1_4v
	.addrsig_sym ncclShmem
	.addrsig_sym __hip_cuid_b515b1c441999a7a
	.amdgpu_metadata
---
amdhsa.kernels:  []
amdhsa.target:   amdgcn-amd-amdhsa--gfx1250
amdhsa.version:
  - 1
  - 2
...

	.end_amdgpu_metadata
